;; amdgpu-corpus repo=vllm-project/vllm kind=compiled arch=gfx1250 opt=O3
	.amdgcn_target "amdgcn-amd-amdhsa--gfx1250"
	.amdhsa_code_object_version 6
	.text
	.protected	_ZN4vllm4gptq31reconstruct_exllama_8bit_kernelEPKjPKiS2_PK6__halfiiibPS5_ ; -- Begin function _ZN4vllm4gptq31reconstruct_exllama_8bit_kernelEPKjPKiS2_PK6__halfiiibPS5_
	.globl	_ZN4vllm4gptq31reconstruct_exllama_8bit_kernelEPKjPKiS2_PK6__halfiiibPS5_
	.p2align	8
	.type	_ZN4vllm4gptq31reconstruct_exllama_8bit_kernelEPKjPKiS2_PK6__halfiiibPS5_,@function
_ZN4vllm4gptq31reconstruct_exllama_8bit_kernelEPKjPKiS2_PK6__halfiiibPS5_: ; @_ZN4vllm4gptq31reconstruct_exllama_8bit_kernelEPKjPKiS2_PK6__halfiiibPS5_
; %bb.0:
	s_clause 0x1
	s_load_b64 s[8:9], s[0:1], 0x8
	s_load_b128 s[4:7], s[0:1], 0x20
	s_bfe_u32 s2, ttmp6, 0x40010
	s_bfe_u32 s10, ttmp6, 0x40004
	s_add_co_i32 s2, s2, 1
	s_getreg_b32 s3, hwreg(HW_REG_IB_STS2, 6, 4)
	s_mul_i32 s2, ttmp7, s2
	s_delay_alu instid0(SALU_CYCLE_1) | instskip(SKIP_2) | instid1(SALU_CYCLE_1)
	s_add_co_i32 s10, s10, s2
	s_cmp_eq_u32 s3, 0
	s_cselect_b32 s15, ttmp7, s10
	s_lshl_b32 s2, s15, 7
	s_wait_kmcnt 0x0
	s_cmp_lg_u64 s[8:9], 0
	s_cselect_b32 s16, -1, 0
	s_cmp_eq_u64 s[8:9], 0
	s_cbranch_scc1 .LBB0_4
; %bb.1:
	v_add_nc_u32_e32 v1, s2, v0
	s_mov_b32 s10, exec_lo
	s_delay_alu instid0(VALU_DEP_1)
	v_cmpx_gt_u32_e64 s4, v1
	s_cbranch_execz .LBB0_3
; %bb.2:
	global_load_b32 v1, v1, s[8:9] scale_offset
	v_lshlrev_b32_e32 v2, 2, v0
	s_wait_loadcnt 0x0
	ds_store_b32 v2, v1
.LBB0_3:
	s_or_b32 exec_lo, exec_lo, s10
.LBB0_4:
	s_bfe_u32 s8, ttmp6, 0x4000c
	s_and_b32 s9, ttmp6, 15
	s_add_co_i32 s8, s8, 1
	v_lshlrev_b32_e32 v22, 2, v0
	s_mul_i32 s8, ttmp9, s8
	s_delay_alu instid0(SALU_CYCLE_1) | instskip(SKIP_2) | instid1(SALU_CYCLE_1)
	s_add_co_i32 s9, s9, s8
	s_cmp_eq_u32 s3, 0
	s_cselect_b32 s3, ttmp9, s9
	s_lshl_b32 s49, s3, 9
	s_mov_b32 s3, exec_lo
	v_add_nc_u32_e32 v12, s49, v22
	s_delay_alu instid0(VALU_DEP_1)
	v_cmpx_gt_i32_e64 s5, v12
	s_cbranch_execz .LBB0_26
; %bb.5:
	s_add_co_i32 s3, s2, 0x80
	v_cvt_f64_i32_e32 v[0:1], s4
	v_cvt_f64_u32_e32 v[2:3], s3
	s_abs_i32 s3, s6
	s_abs_i32 s10, s4
	s_cvt_f32_u32 s8, s3
	s_sub_co_i32 s9, 0, s3
	s_xor_b32 s4, s4, s6
	s_wait_dscnt 0x0
	s_ashr_i32 s4, s4, 31
	s_barrier_signal -1
	s_barrier_wait -1
	s_delay_alu instid0(VALU_DEP_1) | instskip(SKIP_2) | instid1(TRANS32_DEP_1)
	v_min_num_f64_e32 v[0:1], v[2:3], v[0:1]
	v_rcp_iflag_f32_e32 v2, s8
	v_nop
	v_readfirstlane_b32 s8, v2
	s_mul_f32 s8, s8, 0x4f7ffffe
	s_delay_alu instid0(SALU_CYCLE_3) | instskip(NEXT) | instid1(SALU_CYCLE_3)
	s_cvt_u32_f32 s8, s8
	s_mul_i32 s9, s9, s8
	s_delay_alu instid0(SALU_CYCLE_1) | instskip(NEXT) | instid1(SALU_CYCLE_1)
	s_mul_hi_u32 s9, s8, s9
	s_add_co_i32 s8, s8, s9
	s_delay_alu instid0(SALU_CYCLE_1) | instskip(NEXT) | instid1(SALU_CYCLE_1)
	s_mul_hi_u32 s8, s10, s8
	s_mul_i32 s6, s8, s3
	s_add_co_i32 s9, s8, 1
	s_sub_co_i32 s6, s10, s6
	v_cvt_i32_f64_e32 v23, v[0:1]
	s_sub_co_i32 s10, s6, s3
	s_cmp_ge_u32 s6, s3
	s_cselect_b32 s8, s9, s8
	s_cselect_b32 s6, s10, s6
	s_add_co_i32 s9, s8, 1
	s_cmp_ge_u32 s6, s3
	s_cselect_b32 s3, s9, s8
	s_delay_alu instid0(SALU_CYCLE_1) | instskip(NEXT) | instid1(SALU_CYCLE_1)
	s_xor_b32 s3, s3, s4
	s_sub_co_i32 s4, s3, s4
	s_delay_alu instid0(SALU_CYCLE_1) | instskip(NEXT) | instid1(SALU_CYCLE_3)
	s_cvt_f32_u32 s3, s4
	v_rcp_iflag_f32_e32 v0, s3
	s_mov_b32 s3, 0
	v_nop
	s_delay_alu instid0(TRANS32_DEP_1) | instskip(NEXT) | instid1(VALU_DEP_3)
	v_readfirstlane_b32 s6, v0
	v_cmp_ge_i32_e32 vcc_lo, s2, v23
	s_cbranch_vccnz .LBB0_26
; %bb.6:
	s_mul_f32 s6, s6, 0x4f7ffffe
	s_sub_co_i32 s8, 0, s4
	s_mov_b32 s9, s3
	s_mov_b32 s18, s5
	s_cvt_u32_f32 s6, s6
	v_dual_mov_b32 v15, v12 :: v_dual_ashrrev_i32 v24, 2, v12
	s_delay_alu instid0(SALU_CYCLE_2) | instskip(NEXT) | instid1(SALU_CYCLE_1)
	s_mul_i32 s8, s8, s6
	s_mul_hi_u32 s8, s6, s8
	s_delay_alu instid0(SALU_CYCLE_1) | instskip(NEXT) | instid1(SALU_CYCLE_1)
	s_add_co_i32 s8, s6, s8
	s_mul_u64 s[12:13], s[2:3], s[8:9]
	s_load_b128 s[8:11], s[0:1], 0x10
	s_mul_i32 s6, s13, s4
	s_add_co_i32 s12, s13, 1
	s_sub_co_i32 s6, s2, s6
	s_delay_alu instid0(SALU_CYCLE_1)
	s_sub_co_i32 s14, s6, s4
	s_cmp_ge_u32 s6, s4
	s_cselect_b32 s12, s12, s13
	s_cselect_b32 s6, s14, s6
	s_add_co_i32 s13, s12, 1
	s_cmp_ge_u32 s6, s4
	s_mov_b32 s14, s5
	s_cselect_b32 s17, s13, s12
	s_delay_alu instid0(SALU_CYCLE_1) | instskip(NEXT) | instid1(SALU_CYCLE_1)
	s_mul_i32 s6, s17, s5
	v_add_nc_u32_e32 v0, s6, v12
	s_ashr_i32 s12, s6, 31
	s_delay_alu instid0(SALU_CYCLE_1) | instskip(NEXT) | instid1(SALU_CYCLE_1)
	s_lshr_b32 s12, s12, 30
	s_add_co_i32 s6, s6, s12
	s_delay_alu instid0(VALU_DEP_1)
	v_ashrrev_i32_e32 v1, 31, v0
	s_ashr_i32 s6, s6, 2
	s_load_b64 s[12:13], s[0:1], 0x0
	v_add_nc_u32_e32 v4, s6, v24
	s_wait_xcnt 0x0
	s_load_b64 s[0:1], s[0:1], 0x30
	s_wait_kmcnt 0x0
	v_lshl_add_u64 v[2:3], v[0:1], 1, s[10:11]
	s_bitcmp1_b32 s7, 0
	s_mul_i32 s6, s15, s5
	global_load_b32 v5, v4, s[8:9] scale_offset
	global_load_b64 v[0:1], v[2:3], off
	s_cselect_b32 s7, -1, 0
	s_lshr_b32 s21, s2, 2
	s_add_co_i32 s22, s2, 30
	s_add_co_i32 s23, s2, 28
	;; [unrolled: 1-line block ×24, first 2 shown]
	s_mul_i32 s46, s5, s21
	s_add_co_i32 s50, s2, 3
	s_add_co_i32 s51, s2, 1
	s_mul_i32 s21, s5, s22
	s_mul_i32 s22, s5, s23
	;; [unrolled: 1-line block ×24, first 2 shown]
	s_ashr_i32 s47, s46, 31
	v_ashrrev_i32_e32 v13, 31, v12
	s_mul_i32 s53, s5, s50
	s_mul_i32 s54, s5, s51
	s_lshl_b64 s[50:51], s[46:47], 2
	s_lshl_b32 s52, s6, 7
	s_xor_b32 s6, s7, -1
	s_add_nc_u64 s[12:13], s[12:13], s[50:51]
	s_add_co_i32 s48, s2, 2
	v_cndmask_b32_e64 v25, 0, 1, s6
	s_ashr_i32 s15, s5, 31
	s_mul_i32 s48, s5, s48
	s_add_co_i32 s19, s4, s2
	s_lshl_b32 s20, s5, 5
	s_lshl_b64 s[6:7], s[14:15], 5
	s_add_co_i32 s21, s21, s49
	s_add_co_i32 s22, s22, s49
	;; [unrolled: 1-line block ×28, first 2 shown]
	s_wait_loadcnt 0x1
	v_and_b32_e32 v26, 0xff, v5
	s_wait_loadcnt 0x0
	v_lshrrev_b32_e32 v2, 16, v1
	v_and_b32_e32 v1, 0xffff, v1
	v_lshrrev_b32_e32 v3, 16, v0
	v_and_b32_e32 v0, 0xffff, v0
	v_bfe_u32 v27, v5, 8, 8
	v_bfe_u32 v28, v5, 16, 8
	v_lshrrev_b32_e32 v29, 24, v5
	v_lshl_add_u64 v[16:17], v[12:13], 2, s[12:13]
	v_mul_u32_u24_e32 v30, 0x10001, v2
	v_mul_u32_u24_e32 v31, 0x10001, v1
	;; [unrolled: 1-line block ×4, first 2 shown]
	s_lshl_b64 s[12:13], s[14:15], 2
	s_branch .LBB0_8
.LBB0_7:                                ;   in Loop: Header=BB0_8 Depth=1
	s_wait_xcnt 0x2
	v_mad_u32 v0, v3, s5, v12
	v_dual_lshrrev_b32 v2, 16, v7 :: v_dual_lshrrev_b32 v6, 16, v6
	v_and_b32_e32 v3, 0xffff0000, v5
	v_and_b32_e32 v4, 0xffff0000, v4
	s_add_co_i32 s2, s2, 32
	v_add_nc_u64_e32 v[16:17], s[6:7], v[16:17]
	v_cmp_lt_i32_e32 vcc_lo, s2, v23
	s_addk_co_i32 s3, 0x80
	s_add_co_i32 s21, s21, s20
	s_add_co_i32 s22, s22, s20
	v_dual_ashrrev_i32 v1, 31, v0 :: v_dual_bitop2_b32 v3, v3, v2 bitop3:0x54
	v_or_b32_e32 v2, v4, v6
	s_add_co_i32 s23, s23, s20
	s_add_co_i32 s24, s24, s20
	s_delay_alu instid0(VALU_DEP_2)
	v_lshl_add_u64 v[0:1], v[0:1], 1, s[0:1]
	s_add_co_i32 s25, s25, s20
	s_add_co_i32 s26, s26, s20
	;; [unrolled: 1-line block ×24, first 2 shown]
	global_store_b64 v[0:1], v[2:3], off
	s_cbranch_vccz .LBB0_26
.LBB0_8:                                ; =>This Inner Loop Header: Depth=1
	s_cmp_lg_u32 s2, s19
	s_cbranch_scc1 .LBB0_10
; %bb.9:                                ;   in Loop: Header=BB0_8 Depth=1
	s_add_co_i32 s17, s17, 1
	s_add_co_i32 s19, s19, s4
	s_mul_i32 s14, s17, s5
	s_wait_xcnt 0x0
	v_add_nc_u32_e32 v0, s14, v12
	s_ashr_i32 s15, s14, 31
	s_delay_alu instid0(SALU_CYCLE_1) | instskip(NEXT) | instid1(SALU_CYCLE_1)
	s_lshr_b32 s15, s15, 30
	s_add_co_i32 s14, s14, s15
	s_delay_alu instid0(VALU_DEP_1) | instskip(SKIP_1) | instid1(SALU_CYCLE_1)
	v_ashrrev_i32_e32 v1, 31, v0
	s_ashr_i32 s14, s14, 2
	v_add_nc_u32_e32 v4, s14, v24
	s_delay_alu instid0(VALU_DEP_2)
	v_lshl_add_u64 v[0:1], v[0:1], 1, s[10:11]
	global_load_b32 v5, v4, s[8:9] scale_offset
	global_load_b64 v[2:3], v[0:1], off
	s_wait_loadcnt 0x1
	v_and_b32_e32 v26, 0xff, v5
	s_wait_loadcnt 0x0
	s_wait_xcnt 0x0
	v_and_b32_e32 v0, 0xffff, v2
	v_lshrrev_b32_e32 v1, 16, v2
	v_and_b32_e32 v2, 0xffff, v3
	v_lshrrev_b32_e32 v3, 16, v3
	v_bfe_u32 v27, v5, 8, 8
	v_bfe_u32 v28, v5, 16, 8
	v_lshrrev_b32_e32 v29, 24, v5
	v_mul_u32_u24_e32 v33, 0x10001, v0
	v_mul_u32_u24_e32 v32, 0x10001, v1
	;; [unrolled: 1-line block ×4, first 2 shown]
.LBB0_10:                               ;   in Loop: Header=BB0_8 Depth=1
	v_add_nc_u64_e32 v[8:9], s[12:13], v[16:17]
	global_load_b128 v[4:7], v[16:17], off
	s_wait_xcnt 0x2
	v_dual_add_nc_u32 v37, v26, v25 :: v_dual_add_nc_u32 v36, v27, v25
	v_dual_add_nc_u32 v35, v28, v25 :: v_dual_add_nc_u32 v34, v29, v25
	s_and_not1_b32 vcc_lo, exec_lo, s16
	global_load_b128 v[0:3], v[8:9], off
	s_wait_loadcnt 0x1
	v_and_b32_e32 v10, 0xff, v4
	v_bfe_u32 v11, v4, 8, 8
	v_bfe_u32 v13, v4, 16, 8
	v_lshrrev_b32_e32 v4, 24, v4
	v_and_b32_e32 v14, 0xff, v5
	v_bfe_u32 v18, v5, 8, 8
	v_bfe_u32 v19, v5, 16, 8
	v_lshrrev_b32_e32 v5, 24, v5
	;; [unrolled: 4-line block ×3, first 2 shown]
	v_and_b32_e32 v39, 0xff, v7
	v_bfe_u32 v40, v7, 8, 8
	v_bfe_u32 v41, v7, 16, 8
	v_dual_lshrrev_b32 v7, 24, v7 :: v_dual_sub_nc_u32 v10, v10, v37
	v_dual_sub_nc_u32 v11, v11, v37 :: v_dual_sub_nc_u32 v13, v13, v37
	v_dual_sub_nc_u32 v4, v4, v37 :: v_dual_sub_nc_u32 v14, v14, v36
	;; [unrolled: 1-line block ×7, first 2 shown]
	v_sub_nc_u32_e32 v7, v7, v34
	s_wait_loadcnt 0x0
	v_and_b32_e32 v42, 0xff, v0
	v_bfe_u32 v43, v0, 8, 8
	v_bfe_u32 v44, v0, 16, 8
	v_lshrrev_b32_e32 v0, 24, v0
	v_and_b32_e32 v45, 0xff, v1
	v_bfe_u32 v46, v1, 8, 8
	v_bfe_u32 v47, v1, 16, 8
	v_lshrrev_b32_e32 v1, 24, v1
	;; [unrolled: 4-line block ×4, first 2 shown]
	v_cvt_f32_i32_e32 v10, v10
	v_cvt_f32_i32_e32 v11, v11
	;; [unrolled: 1-line block ×16, first 2 shown]
	v_dual_sub_nc_u32 v42, v42, v37 :: v_dual_sub_nc_u32 v43, v43, v37
	v_dual_sub_nc_u32 v44, v44, v37 :: v_dual_sub_nc_u32 v45, v45, v36
	;; [unrolled: 1-line block ×8, first 2 shown]
	v_cvt_f16_f32_e32 v10, v10
	v_cvt_f16_f32_e32 v11, v11
	;; [unrolled: 1-line block ×16, first 2 shown]
	v_cvt_f32_i32_e32 v42, v42
	v_cvt_f32_i32_e32 v43, v43
	;; [unrolled: 1-line block ×16, first 2 shown]
	v_pack_b32_f16 v10, v10, v11
	v_pack_b32_f16 v4, v13, v4
	;; [unrolled: 1-line block ×8, first 2 shown]
	v_cvt_f16_f32_e32 v18, v42
	v_cvt_f16_f32_e32 v19, v43
	;; [unrolled: 1-line block ×16, first 2 shown]
	v_pk_mul_f16 v10, v33, v10
	v_pk_mul_f16 v11, v32, v11
	;; [unrolled: 1-line block ×8, first 2 shown]
	v_pack_b32_f16 v18, v18, v19
	v_pack_b32_f16 v0, v20, v0
	;; [unrolled: 1-line block ×8, first 2 shown]
	v_dual_lshlrev_b32 v54, 16, v14 :: v_dual_lshlrev_b32 v49, 16, v11
	v_dual_lshrrev_b32 v50, 16, v13 :: v_dual_lshrrev_b32 v46, 16, v10
	v_and_b32_e32 v57, 0xffff, v13
	v_and_b32_e32 v55, 0xffff, v10
	;; [unrolled: 1-line block ×4, first 2 shown]
	v_dual_lshlrev_b32 v47, 16, v7 :: v_dual_lshlrev_b32 v48, 16, v5
	v_and_b32_e32 v52, 0xffff, v6
	v_and_b32_e32 v53, 0xffff, v4
	v_dual_lshrrev_b32 v41, 16, v6 :: v_dual_lshrrev_b32 v6, 16, v4
	v_and_b32_e32 v45, 0xffff0000, v7
	v_and_b32_e32 v10, 0xffff0000, v5
	v_pk_mul_f16 v4, v33, v18
	v_pk_mul_f16 v5, v32, v19
	;; [unrolled: 1-line block ×8, first 2 shown]
	v_dual_lshlrev_b32 v21, 16, v11 :: v_dual_lshlrev_b32 v20, 16, v5
	v_and_b32_e32 v42, 0xffff, v7
	v_and_b32_e32 v40, 0xffff, v4
	v_dual_lshrrev_b32 v38, 16, v7 :: v_dual_lshrrev_b32 v39, 16, v4
	v_and_b32_e32 v43, 0xffff0000, v11
	v_and_b32_e32 v44, 0xffff0000, v5
	v_dual_lshlrev_b32 v7, 16, v13 :: v_dual_lshlrev_b32 v4, 16, v14
	v_and_b32_e32 v11, 0xffff, v19
	v_and_b32_e32 v5, 0xffff, v18
	s_cbranch_vccnz .LBB0_21
; %bb.11:                               ;   in Loop: Header=BB0_8 Depth=1
	v_dual_mov_b32 v0, s3 :: v_dual_bitop2_b32 v65, v54, v57 bitop3:0x54
	v_or_b32_e32 v72, v10, v6
	ds_load_b128 v[58:61], v0
	ds_load_b128 v[0:3], v0 offset:16
	s_wait_dscnt 0x1
	v_mad_u32 v58, v58, s18, v12
	v_mad_u32 v62, v59, s5, v15
	;; [unrolled: 1-line block ×3, first 2 shown]
	v_or_b32_e32 v64, v49, v55
	s_wait_dscnt 0x0
	v_mad_u32 v0, v0, s18, v12
	v_or_b32_e32 v69, v47, v52
	v_or_b32_e32 v67, v56, v50
	;; [unrolled: 1-line block ×3, first 2 shown]
	v_mad_u32 v70, v61, s5, v15
	v_dual_ashrrev_i32 v59, 31, v58 :: v_dual_bitop2_b32 v68, v48, v53 bitop3:0x54
	v_dual_ashrrev_i32 v63, 31, v62 :: v_dual_ashrrev_i32 v61, 31, v60
	s_delay_alu instid0(VALU_DEP_2) | instskip(NEXT) | instid1(VALU_DEP_2)
	v_lshl_add_u64 v[58:59], v[58:59], 1, s[0:1]
	v_lshl_add_u64 v[62:63], v[62:63], 1, s[0:1]
	s_delay_alu instid0(VALU_DEP_3)
	v_lshl_add_u64 v[60:61], v[60:61], 1, s[0:1]
	v_ashrrev_i32_e32 v71, 31, v70
	global_store_b64 v[58:59], v[64:65], off
	s_wait_xcnt 0x0
	v_mad_u32 v58, v1, s5, v15
	v_ashrrev_i32_e32 v1, 31, v0
	global_store_b64 v[62:63], v[66:67], off
	s_wait_xcnt 0x0
	v_mad_u32 v62, v2, s5, v12
	v_or_b32_e32 v73, v45, v41
	v_or_b32_e32 v64, v20, v40
	global_store_b64 v[60:61], v[68:69], off
	s_wait_xcnt 0x0
	v_lshl_add_u64 v[68:69], v[70:71], 1, s[0:1]
	v_or_b32_e32 v65, v21, v42
	v_lshl_add_u64 v[0:1], v[0:1], 1, s[0:1]
	v_or_b32_e32 v61, v43, v38
	v_dual_ashrrev_i32 v59, 31, v58 :: v_dual_bitop2_b32 v60, v44, v39 bitop3:0x54
	v_dual_ashrrev_i32 v63, 31, v62 :: v_dual_bitop2_b32 v67, v7, v11 bitop3:0x54
	v_or_b32_e32 v66, v4, v5
	s_delay_alu instid0(VALU_DEP_3) | instskip(NEXT) | instid1(VALU_DEP_3)
	v_lshl_add_u64 v[58:59], v[58:59], 1, s[0:1]
	v_lshl_add_u64 v[62:63], v[62:63], 1, s[0:1]
	s_clause 0x3
	global_store_b64 v[68:69], v[72:73], off
	global_store_b64 v[0:1], v[64:65], off
	;; [unrolled: 1-line block ×4, first 2 shown]
	s_cbranch_execnz .LBB0_13
.LBB0_12:                               ;   in Loop: Header=BB0_8 Depth=1
	s_wait_xcnt 0x2
	v_dual_add_nc_u32 v0, s48, v22 :: v_dual_add_nc_u32 v2, s49, v22
	s_wait_xcnt 0x1
	v_dual_add_nc_u32 v54, s46, v22 :: v_dual_bitop2_b32 v59, v54, v57 bitop3:0x54
	s_delay_alu instid0(VALU_DEP_2) | instskip(NEXT) | instid1(VALU_DEP_3)
	v_dual_ashrrev_i32 v1, 31, v0 :: v_dual_bitop2_b32 v58, v49, v55 bitop3:0x54
	v_ashrrev_i32_e32 v3, 31, v2
	v_or_b32_e32 v57, v56, v50
	s_delay_alu instid0(VALU_DEP_4) | instskip(SKIP_3) | instid1(VALU_DEP_4)
	v_ashrrev_i32_e32 v55, 31, v54
	v_dual_add_nc_u32 v50, s47, v22 :: v_dual_bitop2_b32 v47, v47, v52 bitop3:0x54
	v_lshl_add_u64 v[0:1], v[0:1], 1, s[0:1]
	v_lshl_add_u64 v[2:3], v[2:3], 1, s[0:1]
	;; [unrolled: 1-line block ×3, first 2 shown]
	s_add_co_i32 s14, s2, 7
	v_or_b32_e32 v49, v45, v41
	global_store_b64 v[0:1], v[58:59], off
	s_wait_xcnt 0x0
	v_add_nc_u32_e32 v0, s44, v22
	v_or_b32_e32 v56, v51, v46
	v_dual_ashrrev_i32 v51, 31, v50 :: v_dual_bitop2_b32 v46, v48, v53 bitop3:0x54
	v_or_b32_e32 v20, v20, v40
	s_delay_alu instid0(VALU_DEP_4)
	v_ashrrev_i32_e32 v1, 31, v0
	s_clause 0x1
	global_store_b64 v[2:3], v[56:57], off
	global_store_b64 v[54:55], v[46:47], off
	s_wait_xcnt 0x1
	v_add_nc_u32_e32 v2, s45, v22
	s_wait_xcnt 0x0
	v_lshl_add_u64 v[46:47], v[50:51], 1, s[0:1]
	v_add_nc_u32_e32 v50, s43, v22
	v_or_b32_e32 v48, v10, v6
	v_or_b32_e32 v21, v21, v42
	v_dual_ashrrev_i32 v3, 31, v2 :: v_dual_bitop2_b32 v42, v44, v39 bitop3:0x54
	s_delay_alu instid0(VALU_DEP_4) | instskip(SKIP_1) | instid1(VALU_DEP_3)
	v_dual_ashrrev_i32 v51, 31, v50 :: v_dual_bitop2_b32 v7, v7, v11 bitop3:0x54
	v_lshl_add_u64 v[0:1], v[0:1], 1, s[0:1]
	v_lshl_add_u64 v[40:41], v[2:3], 1, s[0:1]
	v_dual_mov_b32 v3, s14 :: v_dual_bitop2_b32 v43, v43, v38 bitop3:0x54
	s_delay_alu instid0(VALU_DEP_4)
	v_lshl_add_u64 v[38:39], v[50:51], 1, s[0:1]
	v_or_b32_e32 v6, v4, v5
	s_clause 0x3
	global_store_b64 v[46:47], v[48:49], off
	global_store_b64 v[0:1], v[20:21], off
	global_store_b64 v[40:41], v[42:43], off
	global_store_b64 v[38:39], v[6:7], off
.LBB0_13:                               ;   in Loop: Header=BB0_8 Depth=1
	s_wait_xcnt 0x2
	v_add_nc_u64_e32 v[0:1], s[12:13], v[8:9]
	v_mad_u32 v20, v3, s5, v12
	v_dual_lshrrev_b32 v2, 16, v19 :: v_dual_lshrrev_b32 v18, 16, v18
	v_and_b32_e32 v3, 0xffff0000, v13
	v_and_b32_e32 v13, 0xffff0000, v14
	s_and_not1_b32 vcc_lo, exec_lo, s16
	global_load_b128 v[8:11], v[0:1], off
	s_wait_xcnt 0x0
	v_add_nc_u64_e32 v[0:1], s[12:13], v[0:1]
	v_or_b32_e32 v3, v3, v2
	v_dual_ashrrev_i32 v21, 31, v20 :: v_dual_bitop2_b32 v2, v13, v18 bitop3:0x54
	global_load_b128 v[4:7], v[0:1], off
	v_lshl_add_u64 v[20:21], v[20:21], 1, s[0:1]
	s_wait_loadcnt 0x1
	v_and_b32_e32 v13, 0xff, v8
	v_bfe_u32 v14, v8, 8, 8
	v_bfe_u32 v18, v8, 16, 8
	v_and_b32_e32 v19, 0xff, v9
	v_bfe_u32 v38, v9, 8, 8
	v_bfe_u32 v39, v9, 16, 8
	v_lshrrev_b32_e32 v9, 24, v9
	v_and_b32_e32 v40, 0xff, v10
	v_bfe_u32 v41, v10, 8, 8
	v_bfe_u32 v42, v10, 16, 8
	v_lshrrev_b32_e32 v10, 24, v10
	v_and_b32_e32 v43, 0xff, v11
	v_bfe_u32 v44, v11, 8, 8
	v_lshrrev_b32_e32 v8, 24, v8
	v_bfe_u32 v45, v11, 16, 8
	v_dual_lshrrev_b32 v11, 24, v11 :: v_dual_sub_nc_u32 v13, v13, v37
	s_delay_alu instid0(VALU_DEP_3)
	v_dual_sub_nc_u32 v14, v14, v37 :: v_dual_sub_nc_u32 v8, v8, v37
	v_dual_sub_nc_u32 v18, v18, v37 :: v_dual_sub_nc_u32 v19, v19, v36
	;; [unrolled: 1-line block ×5, first 2 shown]
	v_cvt_f32_i32_e32 v13, v13
	v_cvt_f32_i32_e32 v14, v14
	;; [unrolled: 1-line block ×6, first 2 shown]
	v_dual_sub_nc_u32 v9, v9, v36 :: v_dual_sub_nc_u32 v40, v40, v35
	v_dual_sub_nc_u32 v41, v41, v35 :: v_dual_sub_nc_u32 v42, v42, v35
	s_wait_loadcnt 0x0
	v_bfe_u32 v47, v4, 8, 8
	v_bfe_u32 v48, v4, 16, 8
	;; [unrolled: 1-line block ×3, first 2 shown]
	v_cvt_f16_f32_e32 v13, v13
	v_cvt_f16_f32_e32 v14, v14
	;; [unrolled: 1-line block ×6, first 2 shown]
	v_sub_nc_u32_e32 v11, v11, v34
	v_and_b32_e32 v46, 0xff, v4
	v_lshrrev_b32_e32 v4, 24, v4
	v_and_b32_e32 v49, 0xff, v5
	v_bfe_u32 v50, v5, 8, 8
	v_bfe_u32 v51, v5, 16, 8
	v_lshrrev_b32_e32 v5, 24, v5
	v_and_b32_e32 v52, 0xff, v6
	v_bfe_u32 v53, v6, 8, 8
	v_bfe_u32 v54, v6, 16, 8
	v_lshrrev_b32_e32 v6, 24, v6
	v_and_b32_e32 v55, 0xff, v7
	v_bfe_u32 v57, v7, 16, 8
	v_dual_lshrrev_b32 v7, 24, v7 :: v_dual_sub_nc_u32 v46, v46, v37
	v_cvt_f32_i32_e32 v18, v18
	v_cvt_f32_i32_e32 v8, v8
	v_cvt_f32_i32_e32 v40, v40
	v_cvt_f32_i32_e32 v41, v41
	v_dual_sub_nc_u32 v47, v47, v37 :: v_dual_sub_nc_u32 v48, v48, v37
	v_dual_sub_nc_u32 v56, v56, v34 :: v_dual_sub_nc_u32 v57, v57, v34
	v_pack_b32_f16 v13, v13, v14
	v_pack_b32_f16 v14, v19, v38
	;; [unrolled: 1-line block ×3, first 2 shown]
	v_cvt_f32_i32_e32 v39, v39
	v_cvt_f32_i32_e32 v9, v9
	;; [unrolled: 1-line block ×6, first 2 shown]
	v_dual_sub_nc_u32 v4, v4, v37 :: v_dual_sub_nc_u32 v49, v49, v36
	v_dual_sub_nc_u32 v50, v50, v36 :: v_dual_sub_nc_u32 v51, v51, v36
	;; [unrolled: 1-line block ×5, first 2 shown]
	v_cvt_f16_f32_e32 v18, v18
	v_cvt_f16_f32_e32 v8, v8
	v_cvt_f16_f32_e32 v40, v40
	v_cvt_f16_f32_e32 v41, v41
	v_cvt_f32_i32_e32 v48, v48
	v_cvt_f32_i32_e32 v56, v56
	v_pk_mul_f16 v19, v30, v19
	v_sub_nc_u32_e32 v7, v7, v34
	v_cvt_f16_f32_e32 v39, v39
	v_cvt_f16_f32_e32 v9, v9
	;; [unrolled: 1-line block ×6, first 2 shown]
	v_cvt_f32_i32_e32 v46, v46
	v_cvt_f32_i32_e32 v47, v47
	;; [unrolled: 1-line block ×13, first 2 shown]
	v_pack_b32_f16 v8, v18, v8
	v_pack_b32_f16 v18, v40, v41
	v_cvt_f16_f32_e32 v40, v48
	v_cvt_f16_f32_e32 v48, v56
	v_lshlrev_b32_e32 v56, 16, v19
	v_cvt_f32_i32_e32 v7, v7
	v_pack_b32_f16 v9, v39, v9
	v_pack_b32_f16 v10, v42, v10
	;; [unrolled: 1-line block ×3, first 2 shown]
	v_cvt_f16_f32_e32 v38, v46
	v_cvt_f16_f32_e32 v39, v47
	;; [unrolled: 1-line block ×14, first 2 shown]
	v_pk_mul_f16 v13, v33, v13
	v_pk_mul_f16 v14, v32, v14
	;; [unrolled: 1-line block ×6, first 2 shown]
	v_pack_b32_f16 v38, v38, v39
	v_pack_b32_f16 v4, v40, v4
	;; [unrolled: 1-line block ×8, first 2 shown]
	v_pk_mul_f16 v8, v33, v8
	v_dual_lshlrev_b32 v51, 16, v14 :: v_dual_lshrrev_b32 v48, 16, v13
	v_dual_lshrrev_b32 v52, 16, v18 :: v_dual_lshlrev_b32 v49, 16, v11
	v_and_b32_e32 v59, 0xffff, v18
	v_and_b32_e32 v57, 0xffff, v13
	;; [unrolled: 1-line block ×4, first 2 shown]
	v_dual_lshlrev_b32 v50, 16, v9 :: v_dual_lshrrev_b32 v43, 16, v10
	v_and_b32_e32 v54, 0xffff, v10
	v_and_b32_e32 v47, 0xffff0000, v11
	;; [unrolled: 1-line block ×3, first 2 shown]
	v_pk_mul_f16 v9, v33, v38
	v_pk_mul_f16 v11, v32, v39
	;; [unrolled: 1-line block ×8, first 2 shown]
	v_and_b32_e32 v55, 0xffff, v8
	v_dual_lshrrev_b32 v8, 16, v8 :: v_dual_lshlrev_b32 v39, 16, v45
	v_lshlrev_b32_e32 v38, 16, v11
	v_and_b32_e32 v44, 0xffff, v40
	v_and_b32_e32 v42, 0xffff, v9
	v_dual_lshrrev_b32 v40, 16, v40 :: v_dual_lshrrev_b32 v41, 16, v9
	v_lshlrev_b32_e32 v6, 16, v14
	v_and_b32_e32 v45, 0xffff0000, v45
	v_and_b32_e32 v46, 0xffff0000, v11
	v_lshlrev_b32_e32 v9, 16, v13
	v_and_b32_e32 v11, 0xffff, v19
	v_and_b32_e32 v7, 0xffff, v18
	global_store_b64 v[20:21], v[2:3], off
	s_cbranch_vccnz .LBB0_22
; %bb.14:                               ;   in Loop: Header=BB0_8 Depth=1
	s_wait_xcnt 0x0
	v_dual_mov_b32 v2, s3 :: v_dual_bitop2_b32 v21, v56, v59 bitop3:0x54
	ds_load_b128 v[60:63], v2 offset:32
	ds_load_b128 v[2:5], v2 offset:48
	s_wait_dscnt 0x1
	v_mad_u32 v60, v60, s18, v12
	v_mad_u32 v64, v61, s5, v15
	v_or_b32_e32 v20, v51, v57
	v_mad_u32 v62, v62, s18, v12
	s_wait_dscnt 0x0
	v_mad_u32 v2, v2, s18, v12
	v_ashrrev_i32_e32 v61, 31, v60
	v_ashrrev_i32_e32 v65, 31, v64
	s_delay_alu instid0(VALU_DEP_2)
	v_lshl_add_u64 v[60:61], v[60:61], 1, s[0:1]
	global_store_b64 v[60:61], v[20:21], off
	s_wait_xcnt 0x0
	v_lshl_add_u64 v[20:21], v[64:65], 1, s[0:1]
	v_or_b32_e32 v61, v58, v52
	v_or_b32_e32 v60, v53, v48
	global_store_b64 v[20:21], v[60:61], off
	s_wait_xcnt 0x0
	v_mad_u32 v60, v63, s5, v15
	v_ashrrev_i32_e32 v63, 31, v62
	v_or_b32_e32 v21, v49, v54
	v_or_b32_e32 v20, v50, v55
	s_delay_alu instid0(VALU_DEP_3)
	v_lshl_add_u64 v[62:63], v[62:63], 1, s[0:1]
	v_ashrrev_i32_e32 v61, 31, v60
	global_store_b64 v[62:63], v[20:21], off
	s_wait_xcnt 0x0
	v_lshl_add_u64 v[20:21], v[60:61], 1, s[0:1]
	v_or_b32_e32 v61, v47, v43
	v_or_b32_e32 v60, v10, v8
	global_store_b64 v[20:21], v[60:61], off
	s_wait_xcnt 0x0
	v_mad_u32 v60, v3, s5, v15
	v_dual_ashrrev_i32 v3, 31, v2 :: v_dual_bitop2_b32 v21, v39, v44 bitop3:0x54
	v_or_b32_e32 v20, v38, v42
	s_delay_alu instid0(VALU_DEP_2) | instskip(NEXT) | instid1(VALU_DEP_4)
	v_lshl_add_u64 v[2:3], v[2:3], 1, s[0:1]
	v_ashrrev_i32_e32 v61, 31, v60
	global_store_b64 v[2:3], v[20:21], off
	s_wait_xcnt 0x0
	v_or_b32_e32 v21, v45, v40
	v_or_b32_e32 v20, v46, v41
	v_lshl_add_u64 v[2:3], v[60:61], 1, s[0:1]
	global_store_b64 v[2:3], v[20:21], off
	s_wait_xcnt 0x0
	v_mad_u32 v2, v4, s5, v12
	v_or_b32_e32 v21, v9, v11
	s_delay_alu instid0(VALU_DEP_2) | instskip(NEXT) | instid1(VALU_DEP_1)
	v_dual_ashrrev_i32 v3, 31, v2 :: v_dual_bitop2_b32 v20, v6, v7 bitop3:0x54
	v_lshl_add_u64 v[2:3], v[2:3], 1, s[0:1]
	global_store_b64 v[2:3], v[20:21], off
	s_cbranch_execnz .LBB0_16
.LBB0_15:                               ;   in Loop: Header=BB0_8 Depth=1
	s_wait_xcnt 0x0
	v_dual_add_nc_u32 v2, s42, v22 :: v_dual_add_nc_u32 v4, s41, v22
	v_dual_add_nc_u32 v56, s39, v22 :: v_dual_bitop2_b32 v21, v56, v59 bitop3:0x54
	s_delay_alu instid0(VALU_DEP_2) | instskip(NEXT) | instid1(VALU_DEP_3)
	v_dual_ashrrev_i32 v3, 31, v2 :: v_dual_bitop2_b32 v20, v51, v57 bitop3:0x54
	v_ashrrev_i32_e32 v5, 31, v4
	v_dual_add_nc_u32 v52, s40, v22 :: v_dual_bitop2_b32 v59, v58, v52 bitop3:0x54
	s_delay_alu instid0(VALU_DEP_4) | instskip(NEXT) | instid1(VALU_DEP_4)
	v_ashrrev_i32_e32 v57, 31, v56
	v_lshl_add_u64 v[2:3], v[2:3], 1, s[0:1]
	s_delay_alu instid0(VALU_DEP_4)
	v_lshl_add_u64 v[4:5], v[4:5], 1, s[0:1]
	v_or_b32_e32 v58, v53, v48
	v_dual_ashrrev_i32 v53, 31, v52 :: v_dual_bitop2_b32 v49, v49, v54 bitop3:0x54
	v_lshl_add_u64 v[56:57], v[56:57], 1, s[0:1]
	v_or_b32_e32 v48, v50, v55
	global_store_b64 v[2:3], v[20:21], off
	s_wait_xcnt 0x0
	v_add_nc_u32_e32 v2, s37, v22
	s_clause 0x1
	global_store_b64 v[4:5], v[58:59], off
	global_store_b64 v[56:57], v[48:49], off
	s_wait_xcnt 0x1
	v_dual_add_nc_u32 v4, s38, v22 :: v_dual_add_nc_u32 v50, s36, v22
	s_wait_xcnt 0x0
	v_dual_ashrrev_i32 v3, 31, v2 :: v_dual_bitop2_b32 v48, v10, v8 bitop3:0x54
	s_delay_alu instid0(VALU_DEP_2) | instskip(NEXT) | instid1(VALU_DEP_3)
	v_dual_ashrrev_i32 v5, 31, v4 :: v_dual_bitop2_b32 v49, v47, v43 bitop3:0x54
	v_ashrrev_i32_e32 v51, 31, v50
	s_add_co_i32 s14, s2, 15
	v_lshl_add_u64 v[20:21], v[52:53], 1, s[0:1]
	v_or_b32_e32 v39, v39, v44
	v_or_b32_e32 v38, v38, v42
	v_lshl_add_u64 v[42:43], v[4:5], 1, s[0:1]
	v_mov_b32_e32 v5, s14
	v_lshl_add_u64 v[2:3], v[2:3], 1, s[0:1]
	v_or_b32_e32 v45, v45, v40
	v_or_b32_e32 v44, v46, v41
	v_lshl_add_u64 v[40:41], v[50:51], 1, s[0:1]
	v_or_b32_e32 v9, v9, v11
	v_or_b32_e32 v8, v6, v7
	s_clause 0x3
	global_store_b64 v[20:21], v[48:49], off
	global_store_b64 v[2:3], v[38:39], off
	;; [unrolled: 1-line block ×4, first 2 shown]
.LBB0_16:                               ;   in Loop: Header=BB0_8 Depth=1
	s_wait_xcnt 0x1
	v_add_nc_u64_e32 v[0:1], s[12:13], v[0:1]
	s_wait_xcnt 0x0
	v_mad_u32 v20, v5, s5, v12
	v_dual_lshrrev_b32 v4, 16, v19 :: v_dual_lshrrev_b32 v18, 16, v18
	v_and_b32_e32 v5, 0xffff0000, v13
	v_and_b32_e32 v13, 0xffff0000, v14
	s_and_not1_b32 vcc_lo, exec_lo, s16
	global_load_b128 v[6:9], v[0:1], off
	v_add_nc_u64_e32 v[10:11], s[12:13], v[0:1]
	v_or_b32_e32 v5, v5, v4
	v_dual_ashrrev_i32 v21, 31, v20 :: v_dual_bitop2_b32 v4, v13, v18 bitop3:0x54
	global_load_b128 v[0:3], v[10:11], off
	v_lshl_add_u64 v[20:21], v[20:21], 1, s[0:1]
	s_wait_loadcnt 0x1
	v_and_b32_e32 v13, 0xff, v6
	v_bfe_u32 v14, v6, 8, 8
	v_and_b32_e32 v19, 0xff, v7
	v_bfe_u32 v38, v7, 8, 8
	v_bfe_u32 v39, v7, 16, 8
	v_lshrrev_b32_e32 v7, 24, v7
	v_and_b32_e32 v40, 0xff, v8
	v_bfe_u32 v41, v8, 8, 8
	v_bfe_u32 v42, v8, 16, 8
	v_lshrrev_b32_e32 v8, 24, v8
	v_and_b32_e32 v43, 0xff, v9
	v_bfe_u32 v44, v9, 8, 8
	v_bfe_u32 v45, v9, 16, 8
	v_dual_lshrrev_b32 v9, 24, v9 :: v_dual_sub_nc_u32 v19, v19, v36
	v_dual_sub_nc_u32 v13, v13, v37 :: v_dual_sub_nc_u32 v14, v14, v37
	v_dual_sub_nc_u32 v38, v38, v36 :: v_dual_sub_nc_u32 v40, v40, v35
	;; [unrolled: 1-line block ×4, first 2 shown]
	v_bfe_u32 v18, v6, 16, 8
	v_lshrrev_b32_e32 v6, 24, v6
	v_cvt_f32_i32_e32 v13, v13
	v_cvt_f32_i32_e32 v14, v14
	;; [unrolled: 1-line block ×6, first 2 shown]
	v_dual_sub_nc_u32 v18, v18, v37 :: v_dual_sub_nc_u32 v39, v39, v36
	v_dual_sub_nc_u32 v6, v6, v37 :: v_dual_sub_nc_u32 v7, v7, v36
	;; [unrolled: 1-line block ×3, first 2 shown]
	s_wait_loadcnt 0x0
	v_bfe_u32 v47, v0, 8, 8
	v_bfe_u32 v48, v0, 16, 8
	;; [unrolled: 1-line block ×3, first 2 shown]
	v_cvt_f16_f32_e32 v13, v13
	v_cvt_f16_f32_e32 v14, v14
	;; [unrolled: 1-line block ×6, first 2 shown]
	v_sub_nc_u32_e32 v9, v9, v34
	v_and_b32_e32 v46, 0xff, v0
	v_lshrrev_b32_e32 v0, 24, v0
	v_and_b32_e32 v49, 0xff, v1
	v_bfe_u32 v50, v1, 8, 8
	v_bfe_u32 v51, v1, 16, 8
	v_lshrrev_b32_e32 v1, 24, v1
	v_and_b32_e32 v52, 0xff, v2
	v_bfe_u32 v53, v2, 8, 8
	v_bfe_u32 v54, v2, 16, 8
	v_lshrrev_b32_e32 v2, 24, v2
	v_and_b32_e32 v55, 0xff, v3
	v_bfe_u32 v57, v3, 16, 8
	v_dual_lshrrev_b32 v3, 24, v3 :: v_dual_sub_nc_u32 v46, v46, v37
	v_cvt_f32_i32_e32 v18, v18
	v_cvt_f32_i32_e32 v6, v6
	;; [unrolled: 1-line block ×4, first 2 shown]
	v_dual_sub_nc_u32 v47, v47, v37 :: v_dual_sub_nc_u32 v48, v48, v37
	v_dual_sub_nc_u32 v56, v56, v34 :: v_dual_sub_nc_u32 v57, v57, v34
	v_pack_b32_f16 v13, v13, v14
	v_pack_b32_f16 v14, v19, v38
	;; [unrolled: 1-line block ×3, first 2 shown]
	v_cvt_f32_i32_e32 v39, v39
	v_cvt_f32_i32_e32 v7, v7
	;; [unrolled: 1-line block ×6, first 2 shown]
	v_dual_sub_nc_u32 v0, v0, v37 :: v_dual_sub_nc_u32 v49, v49, v36
	v_dual_sub_nc_u32 v50, v50, v36 :: v_dual_sub_nc_u32 v51, v51, v36
	;; [unrolled: 1-line block ×5, first 2 shown]
	v_cvt_f16_f32_e32 v18, v18
	v_cvt_f16_f32_e32 v6, v6
	v_cvt_f16_f32_e32 v40, v40
	v_cvt_f16_f32_e32 v41, v41
	v_cvt_f32_i32_e32 v48, v48
	v_cvt_f32_i32_e32 v56, v56
	v_pk_mul_f16 v19, v30, v19
	v_sub_nc_u32_e32 v3, v3, v34
	v_cvt_f16_f32_e32 v39, v39
	v_cvt_f16_f32_e32 v7, v7
	;; [unrolled: 1-line block ×6, first 2 shown]
	v_cvt_f32_i32_e32 v46, v46
	v_cvt_f32_i32_e32 v47, v47
	;; [unrolled: 1-line block ×13, first 2 shown]
	v_pack_b32_f16 v6, v18, v6
	v_pack_b32_f16 v18, v40, v41
	v_cvt_f16_f32_e32 v40, v48
	v_cvt_f16_f32_e32 v48, v56
	v_lshlrev_b32_e32 v56, 16, v19
	v_cvt_f32_i32_e32 v3, v3
	v_pack_b32_f16 v7, v39, v7
	v_pack_b32_f16 v8, v42, v8
	v_pack_b32_f16 v9, v45, v9
	v_cvt_f16_f32_e32 v38, v46
	v_cvt_f16_f32_e32 v39, v47
	;; [unrolled: 1-line block ×14, first 2 shown]
	v_pk_mul_f16 v13, v33, v13
	v_pk_mul_f16 v14, v32, v14
	;; [unrolled: 1-line block ×6, first 2 shown]
	v_pack_b32_f16 v38, v38, v39
	v_pack_b32_f16 v0, v40, v0
	v_pack_b32_f16 v39, v41, v42
	v_pack_b32_f16 v1, v43, v1
	v_pack_b32_f16 v40, v44, v45
	v_pack_b32_f16 v2, v46, v2
	v_pack_b32_f16 v41, v47, v48
	v_pack_b32_f16 v3, v49, v3
	v_pk_mul_f16 v6, v33, v6
	v_dual_lshlrev_b32 v51, 16, v14 :: v_dual_lshrrev_b32 v48, 16, v13
	v_dual_lshrrev_b32 v52, 16, v18 :: v_dual_lshlrev_b32 v49, 16, v9
	v_and_b32_e32 v59, 0xffff, v18
	v_and_b32_e32 v57, 0xffff, v13
	;; [unrolled: 1-line block ×4, first 2 shown]
	v_dual_lshlrev_b32 v50, 16, v7 :: v_dual_lshrrev_b32 v43, 16, v8
	v_and_b32_e32 v54, 0xffff, v8
	v_and_b32_e32 v47, 0xffff0000, v9
	;; [unrolled: 1-line block ×3, first 2 shown]
	v_pk_mul_f16 v7, v33, v38
	v_pk_mul_f16 v9, v32, v39
	;; [unrolled: 1-line block ×8, first 2 shown]
	v_and_b32_e32 v55, 0xffff, v6
	v_dual_lshrrev_b32 v6, 16, v6 :: v_dual_lshlrev_b32 v39, 16, v45
	v_lshlrev_b32_e32 v38, 16, v9
	v_and_b32_e32 v44, 0xffff, v40
	v_and_b32_e32 v42, 0xffff, v7
	v_dual_lshrrev_b32 v40, 16, v40 :: v_dual_lshrrev_b32 v41, 16, v7
	v_lshlrev_b32_e32 v7, 16, v13
	v_and_b32_e32 v45, 0xffff0000, v45
	v_and_b32_e32 v46, 0xffff0000, v9
	v_lshlrev_b32_e32 v0, 16, v14
	v_and_b32_e32 v9, 0xffff, v19
	v_and_b32_e32 v1, 0xffff, v18
	global_store_b64 v[20:21], v[4:5], off
	s_cbranch_vccnz .LBB0_23
; %bb.17:                               ;   in Loop: Header=BB0_8 Depth=1
	s_wait_xcnt 0x0
	v_dual_mov_b32 v2, s3 :: v_dual_bitop2_b32 v21, v56, v59 bitop3:0x54
	ds_load_b128 v[60:63], v2 offset:64
	ds_load_b128 v[2:5], v2 offset:80
	s_wait_dscnt 0x1
	v_mad_u32 v60, v60, s18, v12
	v_mad_u32 v64, v61, s5, v15
	v_or_b32_e32 v20, v51, v57
	v_mad_u32 v62, v62, s18, v12
	s_wait_dscnt 0x0
	v_mad_u32 v2, v2, s18, v12
	v_ashrrev_i32_e32 v61, 31, v60
	v_ashrrev_i32_e32 v65, 31, v64
	s_delay_alu instid0(VALU_DEP_2)
	v_lshl_add_u64 v[60:61], v[60:61], 1, s[0:1]
	global_store_b64 v[60:61], v[20:21], off
	s_wait_xcnt 0x0
	v_lshl_add_u64 v[20:21], v[64:65], 1, s[0:1]
	v_or_b32_e32 v61, v58, v52
	v_or_b32_e32 v60, v53, v48
	global_store_b64 v[20:21], v[60:61], off
	s_wait_xcnt 0x0
	v_mad_u32 v60, v63, s5, v15
	v_ashrrev_i32_e32 v63, 31, v62
	v_or_b32_e32 v21, v49, v54
	v_or_b32_e32 v20, v50, v55
	s_delay_alu instid0(VALU_DEP_3)
	v_lshl_add_u64 v[62:63], v[62:63], 1, s[0:1]
	v_ashrrev_i32_e32 v61, 31, v60
	global_store_b64 v[62:63], v[20:21], off
	s_wait_xcnt 0x0
	v_lshl_add_u64 v[20:21], v[60:61], 1, s[0:1]
	v_or_b32_e32 v61, v47, v43
	v_or_b32_e32 v60, v8, v6
	global_store_b64 v[20:21], v[60:61], off
	s_wait_xcnt 0x0
	v_mad_u32 v60, v3, s5, v15
	v_dual_ashrrev_i32 v3, 31, v2 :: v_dual_bitop2_b32 v21, v39, v44 bitop3:0x54
	v_or_b32_e32 v20, v38, v42
	s_delay_alu instid0(VALU_DEP_2) | instskip(NEXT) | instid1(VALU_DEP_4)
	v_lshl_add_u64 v[2:3], v[2:3], 1, s[0:1]
	v_ashrrev_i32_e32 v61, 31, v60
	global_store_b64 v[2:3], v[20:21], off
	s_wait_xcnt 0x0
	v_or_b32_e32 v21, v45, v40
	v_or_b32_e32 v20, v46, v41
	v_lshl_add_u64 v[2:3], v[60:61], 1, s[0:1]
	global_store_b64 v[2:3], v[20:21], off
	s_wait_xcnt 0x0
	v_mad_u32 v2, v4, s5, v12
	v_or_b32_e32 v21, v7, v9
	s_delay_alu instid0(VALU_DEP_2) | instskip(NEXT) | instid1(VALU_DEP_1)
	v_dual_ashrrev_i32 v3, 31, v2 :: v_dual_bitop2_b32 v20, v0, v1 bitop3:0x54
	v_lshl_add_u64 v[2:3], v[2:3], 1, s[0:1]
	global_store_b64 v[2:3], v[20:21], off
	s_cbranch_execnz .LBB0_19
.LBB0_18:                               ;   in Loop: Header=BB0_8 Depth=1
	s_wait_xcnt 0x0
	v_dual_add_nc_u32 v2, s35, v22 :: v_dual_add_nc_u32 v4, s34, v22
	v_dual_add_nc_u32 v56, s31, v22 :: v_dual_bitop2_b32 v21, v56, v59 bitop3:0x54
	s_delay_alu instid0(VALU_DEP_2) | instskip(NEXT) | instid1(VALU_DEP_3)
	v_dual_ashrrev_i32 v3, 31, v2 :: v_dual_bitop2_b32 v20, v51, v57 bitop3:0x54
	v_ashrrev_i32_e32 v5, 31, v4
	v_dual_add_nc_u32 v52, s33, v22 :: v_dual_bitop2_b32 v59, v58, v52 bitop3:0x54
	s_delay_alu instid0(VALU_DEP_4) | instskip(NEXT) | instid1(VALU_DEP_4)
	v_ashrrev_i32_e32 v57, 31, v56
	v_lshl_add_u64 v[2:3], v[2:3], 1, s[0:1]
	s_delay_alu instid0(VALU_DEP_4)
	v_lshl_add_u64 v[4:5], v[4:5], 1, s[0:1]
	v_or_b32_e32 v58, v53, v48
	v_dual_ashrrev_i32 v53, 31, v52 :: v_dual_bitop2_b32 v49, v49, v54 bitop3:0x54
	v_lshl_add_u64 v[56:57], v[56:57], 1, s[0:1]
	v_or_b32_e32 v48, v50, v55
	global_store_b64 v[2:3], v[20:21], off
	s_wait_xcnt 0x0
	v_add_nc_u32_e32 v2, s29, v22
	s_clause 0x1
	global_store_b64 v[4:5], v[58:59], off
	global_store_b64 v[56:57], v[48:49], off
	s_wait_xcnt 0x1
	v_dual_add_nc_u32 v4, s30, v22 :: v_dual_add_nc_u32 v50, s28, v22
	s_wait_xcnt 0x0
	v_dual_ashrrev_i32 v3, 31, v2 :: v_dual_bitop2_b32 v49, v47, v43 bitop3:0x54
	s_add_co_i32 s14, s2, 23
	s_delay_alu instid0(VALU_DEP_2)
	v_ashrrev_i32_e32 v5, 31, v4
	v_dual_ashrrev_i32 v51, 31, v50 :: v_dual_bitop2_b32 v39, v39, v44 bitop3:0x54
	v_lshl_add_u64 v[20:21], v[52:53], 1, s[0:1]
	v_or_b32_e32 v48, v8, v6
	v_or_b32_e32 v38, v38, v42
	v_lshl_add_u64 v[42:43], v[4:5], 1, s[0:1]
	v_mov_b32_e32 v5, s14
	v_lshl_add_u64 v[2:3], v[2:3], 1, s[0:1]
	v_or_b32_e32 v45, v45, v40
	v_or_b32_e32 v44, v46, v41
	v_lshl_add_u64 v[40:41], v[50:51], 1, s[0:1]
	v_or_b32_e32 v7, v7, v9
	v_or_b32_e32 v6, v0, v1
	s_clause 0x3
	global_store_b64 v[20:21], v[48:49], off
	global_store_b64 v[2:3], v[38:39], off
	;; [unrolled: 1-line block ×4, first 2 shown]
.LBB0_19:                               ;   in Loop: Header=BB0_8 Depth=1
	v_add_nc_u64_e32 v[0:1], s[12:13], v[10:11]
	s_wait_xcnt 0x0
	v_mad_u32 v4, v5, s5, v12
	v_dual_lshrrev_b32 v10, 16, v19 :: v_dual_lshrrev_b32 v18, 16, v18
	v_and_b32_e32 v11, 0xffff0000, v13
	v_and_b32_e32 v13, 0xffff0000, v14
	s_and_not1_b32 vcc_lo, exec_lo, s16
	global_load_b128 v[6:9], v[0:1], off
	s_wait_xcnt 0x0
	v_add_nc_u64_e32 v[0:1], s[12:13], v[0:1]
	v_or_b32_e32 v11, v11, v10
	v_dual_ashrrev_i32 v5, 31, v4 :: v_dual_bitop2_b32 v10, v13, v18 bitop3:0x54
	global_load_b128 v[0:3], v[0:1], off
	v_lshl_add_u64 v[18:19], v[4:5], 1, s[0:1]
	s_wait_loadcnt 0x1
	v_and_b32_e32 v4, 0xff, v6
	v_bfe_u32 v5, v6, 8, 8
	v_bfe_u32 v13, v6, 16, 8
	v_lshrrev_b32_e32 v6, 24, v6
	v_and_b32_e32 v14, 0xff, v7
	v_bfe_u32 v20, v7, 8, 8
	v_bfe_u32 v21, v7, 16, 8
	v_lshrrev_b32_e32 v7, 24, v7
	;; [unrolled: 4-line block ×3, first 2 shown]
	v_and_b32_e32 v41, 0xff, v9
	v_bfe_u32 v42, v9, 8, 8
	v_bfe_u32 v43, v9, 16, 8
	v_dual_lshrrev_b32 v9, 24, v9 :: v_dual_sub_nc_u32 v14, v14, v36
	v_dual_sub_nc_u32 v4, v4, v37 :: v_dual_sub_nc_u32 v5, v5, v37
	v_dual_sub_nc_u32 v13, v13, v37 :: v_dual_sub_nc_u32 v6, v6, v37
	;; [unrolled: 1-line block ×4, first 2 shown]
	v_sub_nc_u32_e32 v9, v9, v34
	s_wait_loadcnt 0x0
	v_and_b32_e32 v44, 0xff, v0
	v_bfe_u32 v45, v0, 8, 8
	v_bfe_u32 v46, v0, 16, 8
	s_wait_xcnt 0x0
	v_lshrrev_b32_e32 v0, 24, v0
	v_and_b32_e32 v47, 0xff, v1
	v_bfe_u32 v48, v1, 8, 8
	v_bfe_u32 v49, v1, 16, 8
	v_lshrrev_b32_e32 v1, 24, v1
	v_and_b32_e32 v50, 0xff, v2
	v_bfe_u32 v51, v2, 8, 8
	v_bfe_u32 v52, v2, 16, 8
	;; [unrolled: 4-line block ×3, first 2 shown]
	v_dual_lshrrev_b32 v3, 24, v3 :: v_dual_sub_nc_u32 v44, v44, v37
	v_cvt_f32_i32_e32 v4, v4
	v_cvt_f32_i32_e32 v5, v5
	;; [unrolled: 1-line block ×6, first 2 shown]
	v_dual_sub_nc_u32 v20, v20, v36 :: v_dual_sub_nc_u32 v21, v21, v36
	v_dual_sub_nc_u32 v8, v8, v35 :: v_dual_sub_nc_u32 v41, v41, v34
	;; [unrolled: 1-line block ×10, first 2 shown]
	v_sub_nc_u32_e32 v3, v3, v34
	v_cvt_f16_f32_e32 v4, v4
	v_cvt_f16_f32_e32 v5, v5
	;; [unrolled: 1-line block ×6, first 2 shown]
	v_cvt_f32_i32_e32 v14, v14
	v_cvt_f32_i32_e32 v20, v20
	;; [unrolled: 1-line block ×6, first 2 shown]
	v_pack_b32_f16 v4, v4, v5
	v_pack_b32_f16 v5, v13, v6
	;; [unrolled: 1-line block ×3, first 2 shown]
	v_cvt_f32_i32_e32 v21, v21
	v_cvt_f32_i32_e32 v7, v7
	;; [unrolled: 1-line block ×4, first 2 shown]
	v_cvt_f16_f32_e32 v14, v14
	v_cvt_f16_f32_e32 v20, v20
	v_cvt_f16_f32_e32 v39, v40
	v_cvt_f16_f32_e32 v40, v41
	v_cvt_f16_f32_e32 v41, v42
	v_cvt_f16_f32_e32 v42, v43
	v_cvt_f32_i32_e32 v43, v44
	v_cvt_f32_i32_e32 v44, v45
	;; [unrolled: 1-line block ×6, first 2 shown]
	v_pk_mul_f16 v13, v31, v13
	v_cvt_f16_f32_e32 v21, v21
	v_cvt_f16_f32_e32 v7, v7
	;; [unrolled: 1-line block ×4, first 2 shown]
	v_cvt_f32_i32_e32 v0, v0
	v_cvt_f32_i32_e32 v37, v37
	;; [unrolled: 1-line block ×9, first 2 shown]
	v_pack_b32_f16 v6, v14, v20
	v_pack_b32_f16 v14, v40, v41
	v_cvt_f16_f32_e32 v40, v48
	v_lshrrev_b32_e32 v48, 16, v13
	v_cvt_f32_i32_e32 v3, v3
	v_pack_b32_f16 v7, v21, v7
	v_pack_b32_f16 v8, v39, v8
	;; [unrolled: 1-line block ×3, first 2 shown]
	v_cvt_f16_f32_e32 v20, v43
	v_cvt_f16_f32_e32 v21, v44
	;; [unrolled: 1-line block ×15, first 2 shown]
	v_pk_mul_f16 v4, v33, v4
	v_pk_mul_f16 v6, v32, v6
	;; [unrolled: 1-line block ×7, first 2 shown]
	v_pack_b32_f16 v21, v20, v21
	v_pack_b32_f16 v0, v34, v0
	;; [unrolled: 1-line block ×8, first 2 shown]
	v_dual_lshlrev_b32 v52, 16, v14 :: v_dual_lshrrev_b32 v44, 16, v4
	v_dual_lshlrev_b32 v47, 16, v6 :: v_dual_lshlrev_b32 v45, 16, v9
	v_and_b32_e32 v55, 0xffff, v13
	v_and_b32_e32 v53, 0xffff, v4
	;; [unrolled: 1-line block ×4, first 2 shown]
	v_dual_lshlrev_b32 v46, 16, v7 :: v_dual_lshrrev_b32 v39, 16, v8
	v_and_b32_e32 v50, 0xffff, v8
	v_and_b32_e32 v51, 0xffff, v5
	;; [unrolled: 1-line block ×4, first 2 shown]
	v_pk_mul_f16 v8, v33, v21
	v_pk_mul_f16 v9, v32, v34
	;; [unrolled: 1-line block ×3, first 2 shown]
	v_lshrrev_b32_e32 v13, 16, v5
	v_pk_mul_f16 v21, v30, v35
	v_pk_mul_f16 v6, v33, v0
	;; [unrolled: 1-line block ×5, first 2 shown]
	v_dual_lshlrev_b32 v35, 16, v21 :: v_dual_lshrrev_b32 v37, 16, v8
	v_lshlrev_b32_e32 v34, 16, v9
	v_and_b32_e32 v40, 0xffff, v14
	v_and_b32_e32 v38, 0xffff, v8
	v_lshrrev_b32_e32 v36, 16, v14
	v_and_b32_e32 v41, 0xffff0000, v21
	v_and_b32_e32 v42, 0xffff0000, v9
	v_dual_lshlrev_b32 v14, 16, v5 :: v_dual_lshlrev_b32 v8, 16, v4
	v_and_b32_e32 v21, 0xffff, v7
	v_and_b32_e32 v9, 0xffff, v6
	global_store_b64 v[18:19], v[10:11], off
	s_cbranch_vccnz .LBB0_24
; %bb.20:                               ;   in Loop: Header=BB0_8 Depth=1
	s_wait_xcnt 0x0
	v_dual_mov_b32 v0, s3 :: v_dual_bitop2_b32 v11, v52, v55 bitop3:0x54
	v_or_b32_e32 v65, v35, v40
	v_or_b32_e32 v64, v34, v38
	ds_load_b128 v[56:59], v0 offset:96
	ds_load_b128 v[0:3], v0 offset:112
	v_or_b32_e32 v67, v41, v36
	v_or_b32_e32 v66, v42, v37
	;; [unrolled: 1-line block ×4, first 2 shown]
	s_wait_dscnt 0x1
	v_mad_u32 v56, v56, s18, v12
	v_mad_u32 v68, v57, s5, v15
	;; [unrolled: 1-line block ×4, first 2 shown]
	s_wait_dscnt 0x0
	v_mad_u32 v0, v0, s18, v12
	v_mad_u32 v72, v1, s5, v15
	;; [unrolled: 1-line block ×3, first 2 shown]
	v_or_b32_e32 v10, v47, v53
	v_or_b32_e32 v61, v45, v50
	;; [unrolled: 1-line block ×4, first 2 shown]
	v_ashrrev_i32_e32 v57, 31, v56
	v_dual_ashrrev_i32 v69, 31, v68 :: v_dual_ashrrev_i32 v59, 31, v58
	v_dual_ashrrev_i32 v71, 31, v70 :: v_dual_bitop2_b32 v60, v46, v51 bitop3:0x54
	v_dual_ashrrev_i32 v1, 31, v0 :: v_dual_bitop2_b32 v63, v43, v39 bitop3:0x54
	;; [unrolled: 1-line block ×3, first 2 shown]
	v_ashrrev_i32_e32 v75, 31, v74
	v_lshl_add_u64 v[56:57], v[56:57], 1, s[0:1]
	v_lshl_add_u64 v[68:69], v[68:69], 1, s[0:1]
	;; [unrolled: 1-line block ×7, first 2 shown]
	s_clause 0x6
	global_store_b64 v[56:57], v[10:11], off
	global_store_b64 v[68:69], v[18:19], off
	;; [unrolled: 1-line block ×7, first 2 shown]
	s_cbranch_execnz .LBB0_7
	s_branch .LBB0_25
.LBB0_21:                               ;   in Loop: Header=BB0_8 Depth=1
                                        ; implicit-def: $vgpr3
	s_branch .LBB0_12
.LBB0_22:                               ;   in Loop: Header=BB0_8 Depth=1
                                        ; implicit-def: $vgpr5
	s_branch .LBB0_15
.LBB0_23:                               ;   in Loop: Header=BB0_8 Depth=1
                                        ; implicit-def: $vgpr5
	s_branch .LBB0_18
.LBB0_24:                               ;   in Loop: Header=BB0_8 Depth=1
                                        ; implicit-def: $vgpr3
.LBB0_25:                               ;   in Loop: Header=BB0_8 Depth=1
	s_wait_xcnt 0x2
	v_dual_add_nc_u32 v0, s27, v22 :: v_dual_add_nc_u32 v2, s26, v22
	s_wait_xcnt 0x0
	v_dual_add_nc_u32 v18, s24, v22 :: v_dual_bitop2_b32 v11, v52, v55 bitop3:0x54
	s_delay_alu instid0(VALU_DEP_2) | instskip(NEXT) | instid1(VALU_DEP_3)
	v_dual_ashrrev_i32 v1, 31, v0 :: v_dual_bitop2_b32 v10, v47, v53 bitop3:0x54
	v_dual_ashrrev_i32 v3, 31, v2 :: v_dual_bitop2_b32 v53, v54, v48 bitop3:0x54
	v_add_nc_u32_e32 v48, s25, v22
	s_delay_alu instid0(VALU_DEP_4) | instskip(NEXT) | instid1(VALU_DEP_4)
	v_ashrrev_i32_e32 v19, 31, v18
	v_lshl_add_u64 v[0:1], v[0:1], 1, s[0:1]
	s_delay_alu instid0(VALU_DEP_4)
	v_lshl_add_u64 v[2:3], v[2:3], 1, s[0:1]
	v_or_b32_e32 v52, v49, v44
	v_dual_ashrrev_i32 v49, 31, v48 :: v_dual_bitop2_b32 v45, v45, v50 bitop3:0x54
	v_lshl_add_u64 v[18:19], v[18:19], 1, s[0:1]
	v_or_b32_e32 v44, v46, v51
	global_store_b64 v[0:1], v[10:11], off
	s_wait_xcnt 0x0
	v_add_nc_u32_e32 v0, s22, v22
	s_clause 0x1
	global_store_b64 v[2:3], v[52:53], off
	global_store_b64 v[18:19], v[44:45], off
	s_wait_xcnt 0x0
	v_dual_add_nc_u32 v2, s23, v22 :: v_dual_add_nc_u32 v44, s21, v22
	v_dual_ashrrev_i32 v1, 31, v0 :: v_dual_bitop2_b32 v18, v20, v13 bitop3:0x54
	s_delay_alu instid0(VALU_DEP_2) | instskip(SKIP_1) | instid1(VALU_DEP_4)
	v_dual_ashrrev_i32 v3, 31, v2 :: v_dual_bitop2_b32 v19, v43, v39 bitop3:0x54
	v_or_b32_e32 v35, v35, v40
	v_dual_ashrrev_i32 v45, 31, v44 :: v_dual_bitop2_b32 v34, v34, v38 bitop3:0x54
	s_add_co_i32 s14, s2, 31
	v_lshl_add_u64 v[10:11], v[48:49], 1, s[0:1]
	v_lshl_add_u64 v[38:39], v[2:3], 1, s[0:1]
	v_dual_mov_b32 v3, s14 :: v_dual_bitop2_b32 v41, v41, v36 bitop3:0x54
	v_lshl_add_u64 v[0:1], v[0:1], 1, s[0:1]
	v_or_b32_e32 v40, v42, v37
	v_lshl_add_u64 v[36:37], v[44:45], 1, s[0:1]
	v_or_b32_e32 v21, v14, v21
	v_or_b32_e32 v20, v8, v9
	s_clause 0x3
	global_store_b64 v[10:11], v[18:19], off
	global_store_b64 v[0:1], v[34:35], off
	;; [unrolled: 1-line block ×4, first 2 shown]
	s_branch .LBB0_7
.LBB0_26:
	s_sendmsg sendmsg(MSG_DEALLOC_VGPRS)
	s_endpgm
	.section	.rodata,"a",@progbits
	.p2align	6, 0x0
	.amdhsa_kernel _ZN4vllm4gptq31reconstruct_exllama_8bit_kernelEPKjPKiS2_PK6__halfiiibPS5_
		.amdhsa_group_segment_fixed_size 512
		.amdhsa_private_segment_fixed_size 0
		.amdhsa_kernarg_size 56
		.amdhsa_user_sgpr_count 2
		.amdhsa_user_sgpr_dispatch_ptr 0
		.amdhsa_user_sgpr_queue_ptr 0
		.amdhsa_user_sgpr_kernarg_segment_ptr 1
		.amdhsa_user_sgpr_dispatch_id 0
		.amdhsa_user_sgpr_kernarg_preload_length 0
		.amdhsa_user_sgpr_kernarg_preload_offset 0
		.amdhsa_user_sgpr_private_segment_size 0
		.amdhsa_wavefront_size32 1
		.amdhsa_uses_dynamic_stack 0
		.amdhsa_enable_private_segment 0
		.amdhsa_system_sgpr_workgroup_id_x 1
		.amdhsa_system_sgpr_workgroup_id_y 1
		.amdhsa_system_sgpr_workgroup_id_z 0
		.amdhsa_system_sgpr_workgroup_info 0
		.amdhsa_system_vgpr_workitem_id 0
		.amdhsa_next_free_vgpr 78
		.amdhsa_next_free_sgpr 55
		.amdhsa_named_barrier_count 0
		.amdhsa_reserve_vcc 1
		.amdhsa_float_round_mode_32 0
		.amdhsa_float_round_mode_16_64 0
		.amdhsa_float_denorm_mode_32 3
		.amdhsa_float_denorm_mode_16_64 3
		.amdhsa_fp16_overflow 0
		.amdhsa_memory_ordered 1
		.amdhsa_forward_progress 1
		.amdhsa_inst_pref_size 73
		.amdhsa_round_robin_scheduling 0
		.amdhsa_exception_fp_ieee_invalid_op 0
		.amdhsa_exception_fp_denorm_src 0
		.amdhsa_exception_fp_ieee_div_zero 0
		.amdhsa_exception_fp_ieee_overflow 0
		.amdhsa_exception_fp_ieee_underflow 0
		.amdhsa_exception_fp_ieee_inexact 0
		.amdhsa_exception_int_div_zero 0
	.end_amdhsa_kernel
	.text
.Lfunc_end0:
	.size	_ZN4vllm4gptq31reconstruct_exllama_8bit_kernelEPKjPKiS2_PK6__halfiiibPS5_, .Lfunc_end0-_ZN4vllm4gptq31reconstruct_exllama_8bit_kernelEPKjPKiS2_PK6__halfiiibPS5_
                                        ; -- End function
	.set _ZN4vllm4gptq31reconstruct_exllama_8bit_kernelEPKjPKiS2_PK6__halfiiibPS5_.num_vgpr, 78
	.set _ZN4vllm4gptq31reconstruct_exllama_8bit_kernelEPKjPKiS2_PK6__halfiiibPS5_.num_agpr, 0
	.set _ZN4vllm4gptq31reconstruct_exllama_8bit_kernelEPKjPKiS2_PK6__halfiiibPS5_.numbered_sgpr, 55
	.set _ZN4vllm4gptq31reconstruct_exllama_8bit_kernelEPKjPKiS2_PK6__halfiiibPS5_.num_named_barrier, 0
	.set _ZN4vllm4gptq31reconstruct_exllama_8bit_kernelEPKjPKiS2_PK6__halfiiibPS5_.private_seg_size, 0
	.set _ZN4vllm4gptq31reconstruct_exllama_8bit_kernelEPKjPKiS2_PK6__halfiiibPS5_.uses_vcc, 1
	.set _ZN4vllm4gptq31reconstruct_exllama_8bit_kernelEPKjPKiS2_PK6__halfiiibPS5_.uses_flat_scratch, 0
	.set _ZN4vllm4gptq31reconstruct_exllama_8bit_kernelEPKjPKiS2_PK6__halfiiibPS5_.has_dyn_sized_stack, 0
	.set _ZN4vllm4gptq31reconstruct_exllama_8bit_kernelEPKjPKiS2_PK6__halfiiibPS5_.has_recursion, 0
	.set _ZN4vllm4gptq31reconstruct_exllama_8bit_kernelEPKjPKiS2_PK6__halfiiibPS5_.has_indirect_call, 0
	.section	.AMDGPU.csdata,"",@progbits
; Kernel info:
; codeLenInByte = 9280
; TotalNumSgprs: 57
; NumVgprs: 78
; ScratchSize: 0
; MemoryBound: 0
; FloatMode: 240
; IeeeMode: 1
; LDSByteSize: 512 bytes/workgroup (compile time only)
; SGPRBlocks: 0
; VGPRBlocks: 4
; NumSGPRsForWavesPerEU: 57
; NumVGPRsForWavesPerEU: 78
; NamedBarCnt: 0
; Occupancy: 12
; WaveLimiterHint : 0
; COMPUTE_PGM_RSRC2:SCRATCH_EN: 0
; COMPUTE_PGM_RSRC2:USER_SGPR: 2
; COMPUTE_PGM_RSRC2:TRAP_HANDLER: 0
; COMPUTE_PGM_RSRC2:TGID_X_EN: 1
; COMPUTE_PGM_RSRC2:TGID_Y_EN: 1
; COMPUTE_PGM_RSRC2:TGID_Z_EN: 0
; COMPUTE_PGM_RSRC2:TIDIG_COMP_CNT: 0
	.text
	.protected	_ZN4vllm4gptq31reconstruct_exllama_4bit_kernelEPKjPKiS2_PK6__halfiiibPS5_ ; -- Begin function _ZN4vllm4gptq31reconstruct_exllama_4bit_kernelEPKjPKiS2_PK6__halfiiibPS5_
	.globl	_ZN4vllm4gptq31reconstruct_exllama_4bit_kernelEPKjPKiS2_PK6__halfiiibPS5_
	.p2align	8
	.type	_ZN4vllm4gptq31reconstruct_exllama_4bit_kernelEPKjPKiS2_PK6__halfiiibPS5_,@function
_ZN4vllm4gptq31reconstruct_exllama_4bit_kernelEPKjPKiS2_PK6__halfiiibPS5_: ; @_ZN4vllm4gptq31reconstruct_exllama_4bit_kernelEPKjPKiS2_PK6__halfiiibPS5_
; %bb.0:
	s_clause 0x1
	s_load_b64 s[8:9], s[0:1], 0x8
	s_load_b128 s[4:7], s[0:1], 0x20
	s_bfe_u32 s2, ttmp6, 0x40010
	s_bfe_u32 s10, ttmp6, 0x40004
	s_add_co_i32 s2, s2, 1
	s_getreg_b32 s3, hwreg(HW_REG_IB_STS2, 6, 4)
	s_mul_i32 s2, ttmp7, s2
	s_delay_alu instid0(SALU_CYCLE_1) | instskip(SKIP_2) | instid1(SALU_CYCLE_1)
	s_add_co_i32 s10, s10, s2
	s_cmp_eq_u32 s3, 0
	s_cselect_b32 s15, ttmp7, s10
	s_lshl_b32 s2, s15, 7
	s_wait_kmcnt 0x0
	s_cmp_lg_u64 s[8:9], 0
	s_cselect_b32 s16, -1, 0
	s_cmp_eq_u64 s[8:9], 0
	s_cbranch_scc1 .LBB1_4
; %bb.1:
	v_add_nc_u32_e32 v1, s2, v0
	s_mov_b32 s10, exec_lo
	s_delay_alu instid0(VALU_DEP_1)
	v_cmpx_gt_u32_e64 s4, v1
	s_cbranch_execz .LBB1_3
; %bb.2:
	global_load_b32 v1, v1, s[8:9] scale_offset
	v_lshlrev_b32_e32 v2, 2, v0
	s_wait_loadcnt 0x0
	ds_store_b32 v2, v1
.LBB1_3:
	s_or_b32 exec_lo, exec_lo, s10
.LBB1_4:
	s_bfe_u32 s8, ttmp6, 0x4000c
	s_and_b32 s9, ttmp6, 15
	s_add_co_i32 s8, s8, 1
	v_lshlrev_b32_e32 v18, 2, v0
	s_mul_i32 s8, ttmp9, s8
	s_delay_alu instid0(SALU_CYCLE_1) | instskip(SKIP_2) | instid1(SALU_CYCLE_1)
	s_add_co_i32 s9, s9, s8
	s_cmp_eq_u32 s3, 0
	s_cselect_b32 s3, ttmp9, s9
	s_lshl_b32 s50, s3, 9
	s_mov_b32 s3, exec_lo
	v_add_nc_u32_e32 v4, s50, v18
	s_delay_alu instid0(VALU_DEP_1)
	v_cmpx_gt_i32_e64 s5, v4
	s_cbranch_execz .LBB1_26
; %bb.5:
	s_add_co_i32 s3, s2, 0x80
	v_cvt_f64_i32_e32 v[2:3], s4
	v_cvt_f64_u32_e32 v[6:7], s3
	s_abs_i32 s3, s6
	s_abs_i32 s10, s4
	s_cvt_f32_u32 s8, s3
	s_sub_co_i32 s9, 0, s3
	s_xor_b32 s4, s4, s6
	s_wait_dscnt 0x0
	v_rcp_iflag_f32_e32 v1, s8
	s_ashr_i32 s4, s4, 31
	s_barrier_signal -1
	s_barrier_wait -1
	v_nop
	s_delay_alu instid0(TRANS32_DEP_1) | instskip(SKIP_1) | instid1(SALU_CYCLE_3)
	v_readfirstlane_b32 s8, v1
	s_mul_f32 s8, s8, 0x4f7ffffe
	s_cvt_u32_f32 s8, s8
	s_delay_alu instid0(SALU_CYCLE_3) | instskip(NEXT) | instid1(SALU_CYCLE_1)
	s_mul_i32 s9, s9, s8
	s_mul_hi_u32 s9, s8, s9
	s_delay_alu instid0(SALU_CYCLE_1) | instskip(SKIP_2) | instid1(SALU_CYCLE_1)
	s_add_co_i32 s8, s8, s9
	v_min_num_f64_e32 v[2:3], v[6:7], v[2:3]
	s_mul_hi_u32 s8, s10, s8
	s_mul_i32 s6, s8, s3
	s_add_co_i32 s9, s8, 1
	s_sub_co_i32 s6, s10, s6
	s_delay_alu instid0(SALU_CYCLE_1)
	s_sub_co_i32 s10, s6, s3
	s_cmp_ge_u32 s6, s3
	s_cselect_b32 s8, s9, s8
	s_cselect_b32 s6, s10, s6
	s_add_co_i32 s9, s8, 1
	s_cmp_ge_u32 s6, s3
	s_cselect_b32 s3, s9, s8
	s_delay_alu instid0(SALU_CYCLE_1) | instskip(NEXT) | instid1(SALU_CYCLE_1)
	s_xor_b32 s3, s3, s4
	s_sub_co_i32 s4, s3, s4
	s_delay_alu instid0(SALU_CYCLE_1) | instskip(NEXT) | instid1(SALU_CYCLE_3)
	s_cvt_f32_u32 s3, s4
	v_rcp_iflag_f32_e32 v1, s3
	s_mov_b32 s3, 0
	v_nop
	s_delay_alu instid0(TRANS32_DEP_1) | instskip(NEXT) | instid1(VALU_DEP_3)
	v_readfirstlane_b32 s6, v1
	v_cvt_i32_f64_e32 v19, v[2:3]
	s_delay_alu instid0(VALU_DEP_1)
	v_cmp_ge_i32_e32 vcc_lo, s2, v19
	s_cbranch_vccnz .LBB1_26
; %bb.6:
	s_mul_f32 s6, s6, 0x4f7ffffe
	s_sub_co_i32 s8, 0, s4
	s_mov_b32 s9, s3
	v_ashrrev_i32_e32 v5, 31, v4
	s_cvt_u32_f32 s6, s6
	s_mov_b32 s18, 0xe400e400
	s_mov_b32 s19, s5
	v_mov_b32_e32 v7, v4
	s_mul_i32 s8, s8, s6
	s_delay_alu instid0(SALU_CYCLE_1) | instskip(NEXT) | instid1(SALU_CYCLE_1)
	s_mul_hi_u32 s8, s6, s8
	s_add_co_i32 s8, s6, s8
	s_delay_alu instid0(SALU_CYCLE_1) | instskip(SKIP_4) | instid1(SALU_CYCLE_1)
	s_mul_u64 s[12:13], s[2:3], s[8:9]
	s_load_b128 s[8:11], s[0:1], 0x10
	s_mul_i32 s6, s13, s4
	s_add_co_i32 s12, s13, 1
	s_sub_co_i32 s6, s2, s6
	s_sub_co_i32 s14, s6, s4
	s_cmp_ge_u32 s6, s4
	s_cselect_b32 s12, s12, s13
	s_cselect_b32 s6, s14, s6
	s_add_co_i32 s13, s12, 1
	s_cmp_ge_u32 s6, s4
	s_mov_b32 s14, s5
	s_cselect_b32 s17, s13, s12
	s_delay_alu instid0(SALU_CYCLE_1) | instskip(NEXT) | instid1(SALU_CYCLE_1)
	s_mul_i32 s6, s17, s5
	v_dual_lshrrev_b32 v1, 29, v5 :: v_dual_add_nc_u32 v2, s6, v4
	s_ashr_i32 s12, s6, 31
	s_delay_alu instid0(SALU_CYCLE_1) | instskip(NEXT) | instid1(VALU_DEP_1)
	s_lshr_b32 s12, s12, 29
	v_dual_add_nc_u32 v1, v4, v1 :: v_dual_ashrrev_i32 v3, 31, v2
	s_add_co_i32 s12, s6, s12
	s_mul_i32 s6, s15, s5
	s_ashr_i32 s12, s12, 3
	s_delay_alu instid0(VALU_DEP_1) | instskip(SKIP_3) | instid1(VALU_DEP_1)
	v_ashrrev_i32_e32 v20, 3, v1
	s_bitcmp1_b32 s7, 0
	s_cselect_b32 s7, -1, 0
	s_lshr_b32 s22, s2, 3
	v_add_nc_u32_e32 v1, s12, v20
	s_load_b64 s[12:13], s[0:1], 0x0
	s_wait_kmcnt 0x0
	v_lshl_add_u64 v[2:3], v[2:3], 1, s[10:11]
	s_lshl_b32 s51, s6, 7
	s_add_co_i32 s53, s2, 1
	global_load_b32 v1, v1, s[8:9] scale_offset
	s_mul_i32 s52, s5, s22
	global_load_b64 v[2:3], v[2:3], off
	v_lshlrev_b32_e32 v0, 4, v0
	s_add_co_i32 s22, s51, s50
	s_mul_i32 s51, s5, s53
	s_ashr_i32 s53, s52, 31
	s_xor_b32 s6, s7, -1
	s_lshl_b64 s[52:53], s[52:53], 2
	v_cndmask_b32_e64 v22, 0, 1, s6
	s_load_b64 s[0:1], s[0:1], 0x30
	s_add_co_i32 s23, s2, 30
	s_add_co_i32 s24, s2, 28
	;; [unrolled: 1-line block ×5, first 2 shown]
	s_add_nc_u64 s[12:13], s[12:13], s[52:53]
	s_add_co_i32 s28, s2, 25
	v_lshl_add_u64 v[8:9], v[4:5], 2, s[12:13]
	s_add_co_i32 s29, s2, 24
	s_add_co_i32 s30, s2, 22
	;; [unrolled: 1-line block ×20, first 2 shown]
	s_ashr_i32 s15, s5, 31
	s_mul_i32 s23, s5, s23
	s_mul_i32 s24, s5, s24
	;; [unrolled: 1-line block ×26, first 2 shown]
	s_add_co_i32 s20, s4, s2
	s_lshl_b32 s21, s5, 5
	s_lshl_b64 s[6:7], s[14:15], 4
	s_add_co_i32 s23, s23, s50
	s_add_co_i32 s24, s24, s50
	;; [unrolled: 1-line block ×27, first 2 shown]
	s_lshl_b64 s[12:13], s[14:15], 2
	s_mov_b32 s14, 0xf000f
	s_mov_b32 s15, 0xf000f0
	s_wait_loadcnt 0x0
	v_dual_lshrrev_b32 v10, 16, v3 :: v_dual_bitop2_b32 v21, 16, v0 bitop3:0x40
	v_lshrrev_b32_e32 v0, v0, v1
	v_and_b32_e32 v3, 0xffff, v3
	v_lshrrev_b32_e32 v11, 16, v2
	v_and_b32_e32 v2, 0xffff, v2
	v_mul_u32_u24_e32 v23, 0x10001, v10
	v_dual_lshrrev_b32 v1, 8, v0 :: v_dual_lshrrev_b32 v6, 12, v0
	v_lshrrev_b32_e32 v5, 4, v0
	v_mul_u32_u24_e32 v25, 0x10001, v3
	v_mul_u32_u24_e32 v24, 0x10001, v2
	s_delay_alu instid0(VALU_DEP_4) | instskip(SKIP_1) | instid1(VALU_DEP_2)
	v_and_b32_e32 v1, 15, v1
	v_and_b32_e32 v0, 15, v0
	v_dual_add_nc_u32 v1, v1, v22 :: v_dual_bitop2_b32 v5, 15, v5 bitop3:0x40
	s_delay_alu instid0(VALU_DEP_1) | instskip(NEXT) | instid1(VALU_DEP_2)
	v_dual_add_nc_u32 v0, v0, v22 :: v_dual_add_nc_u32 v5, v5, v22
	v_cvt_f32_ubyte0_e32 v12, v1
	s_delay_alu instid0(VALU_DEP_2) | instskip(NEXT) | instid1(VALU_DEP_3)
	v_cvt_f32_ubyte0_e32 v14, v0
	v_cvt_f32_ubyte0_e32 v15, v5
	v_mad_u32_u24 v27, 0x10001, v0, s18
	v_mad_u32_u24 v28, 0x10001, v1, s18
	;; [unrolled: 1-line block ×3, first 2 shown]
	s_delay_alu instid0(VALU_DEP_4) | instskip(NEXT) | instid1(VALU_DEP_1)
	v_cvt_pk_f16_f32 v3, v15, v14
	v_pk_add_f16 v0, 0xd400, v3 op_sel_hi:[0,1] neg_lo:[0,1] neg_hi:[0,1]
	v_and_b32_e32 v6, 15, v6
	s_delay_alu instid0(VALU_DEP_2) | instskip(NEXT) | instid1(VALU_DEP_2)
	v_and_b32_e32 v3, 0xffff, v0
	v_dual_lshrrev_b32 v0, 16, v0 :: v_dual_add_nc_u32 v6, v6, v22
	s_delay_alu instid0(VALU_DEP_1) | instskip(SKIP_1) | instid1(VALU_DEP_2)
	v_cvt_f32_ubyte0_e32 v13, v6
	v_mad_u32_u24 v30, 0x10001, v6, s18
	v_cvt_pk_f16_f32 v10, v13, v12
	s_delay_alu instid0(VALU_DEP_1) | instskip(SKIP_1) | instid1(VALU_DEP_2)
	v_pk_add_f16 v2, 0xd400, v10 op_sel_hi:[0,1] neg_lo:[0,1] neg_hi:[0,1]
	v_mul_u32_u24_e32 v10, 0x10001, v3
	v_and_b32_e32 v1, 0xffff, v2
	v_lshrrev_b32_e32 v2, 16, v2
	v_mul_u32_u24_e32 v26, 0x10001, v11
	v_mul_u32_u24_e32 v11, 0x10001, v0
	s_delay_alu instid0(VALU_DEP_4) | instskip(NEXT) | instid1(VALU_DEP_4)
	v_mul_u32_u24_e32 v6, 0x10001, v1
	v_mul_u32_u24_e32 v5, 0x10001, v2
	s_branch .LBB1_8
.LBB1_7:                                ;   in Loop: Header=BB1_8 Depth=1
	s_wait_xcnt 0x0
	v_mad_u32 v0, v3, s5, v4
	v_dual_lshrrev_b32 v2, 16, v15 :: v_dual_lshrrev_b32 v14, 16, v14
	v_and_b32_e32 v3, 0xffff0000, v13
	v_and_b32_e32 v12, 0xffff0000, v12
	s_add_co_i32 s2, s2, 32
	v_add_nc_u64_e32 v[8:9], s[6:7], v[8:9]
	v_cmp_lt_i32_e32 vcc_lo, s2, v19
	s_addk_co_i32 s3, 0x80
	s_add_co_i32 s23, s23, s21
	s_add_co_i32 s24, s24, s21
	v_dual_ashrrev_i32 v1, 31, v0 :: v_dual_bitop2_b32 v3, v3, v2 bitop3:0x54
	v_or_b32_e32 v2, v12, v14
	s_add_co_i32 s25, s25, s21
	s_add_co_i32 s26, s26, s21
	s_delay_alu instid0(VALU_DEP_2)
	v_lshl_add_u64 v[0:1], v[0:1], 1, s[0:1]
	s_add_co_i32 s27, s27, s21
	s_add_co_i32 s28, s28, s21
	;; [unrolled: 1-line block ×24, first 2 shown]
	global_store_b64 v[0:1], v[2:3], off
	s_cbranch_vccz .LBB1_26
.LBB1_8:                                ; =>This Inner Loop Header: Depth=1
	s_cmp_lg_u32 s2, s20
	s_cbranch_scc1 .LBB1_10
; %bb.9:                                ;   in Loop: Header=BB1_8 Depth=1
	s_add_co_i32 s17, s17, 1
	s_add_co_i32 s20, s20, s4
	s_mul_i32 s51, s17, s5
	s_delay_alu instid0(SALU_CYCLE_1) | instskip(SKIP_3) | instid1(SALU_CYCLE_1)
	s_ashr_i32 s52, s51, 31
	s_wait_xcnt 0x0
	v_add_nc_u32_e32 v0, s51, v4
	s_lshr_b32 s52, s52, 29
	s_add_co_i32 s52, s51, s52
	s_delay_alu instid0(SALU_CYCLE_1) | instskip(NEXT) | instid1(SALU_CYCLE_1)
	s_ashr_i32 s51, s52, 3
	v_add_nc_u32_e32 v2, s51, v20
	global_load_b32 v2, v2, s[8:9] scale_offset
	s_wait_loadcnt 0x0
	s_wait_xcnt 0x0
	v_dual_lshrrev_b32 v2, v21, v2 :: v_dual_ashrrev_i32 v1, 31, v0
	s_delay_alu instid0(VALU_DEP_1) | instskip(NEXT) | instid1(VALU_DEP_2)
	v_lshrrev_b32_e32 v3, 4, v2
	v_lshl_add_u64 v[0:1], v[0:1], 1, s[10:11]
	v_dual_lshrrev_b32 v5, 8, v2 :: v_dual_lshrrev_b32 v6, 12, v2
	s_delay_alu instid0(VALU_DEP_3)
	v_and_b32_e32 v3, 15, v3
	global_load_b64 v[0:1], v[0:1], off
	v_and_b32_e32 v2, 15, v2
	v_and_b32_e32 v6, 15, v6
	s_wait_loadcnt 0x0
	v_and_b32_e32 v10, 0xffff, v0
	s_wait_xcnt 0x0
	v_dual_lshrrev_b32 v0, 16, v0 :: v_dual_bitop2_b32 v5, 15, v5 bitop3:0x40
	v_dual_add_nc_u32 v2, v2, v22 :: v_dual_add_nc_u32 v3, v3, v22
	v_and_b32_e32 v11, 0xffff, v1
	s_delay_alu instid0(VALU_DEP_3) | instskip(NEXT) | instid1(VALU_DEP_3)
	v_dual_lshrrev_b32 v1, 16, v1 :: v_dual_add_nc_u32 v5, v5, v22
	v_cvt_f32_ubyte0_e32 v12, v2
	s_delay_alu instid0(VALU_DEP_4) | instskip(SKIP_1) | instid1(VALU_DEP_4)
	v_cvt_f32_ubyte0_e32 v13, v3
	v_mul_u32_u24_e32 v24, 0x10001, v10
	v_mul_u32_u24_e32 v23, 0x10001, v1
	v_cvt_f32_ubyte0_e32 v14, v5
	v_mad_u32_u24 v27, 0x10001, v2, s18
	v_cvt_pk_f16_f32 v10, v13, v12
	v_mul_u32_u24_e32 v26, 0x10001, v0
	v_mad_u32_u24 v29, 0x10001, v3, s18
	v_mul_u32_u24_e32 v25, 0x10001, v11
	v_mad_u32_u24 v28, 0x10001, v5, s18
	v_pk_add_f16 v1, 0xd400, v10 op_sel_hi:[0,1] neg_lo:[0,1] neg_hi:[0,1]
	v_add_nc_u32_e32 v6, v6, v22
	s_delay_alu instid0(VALU_DEP_2) | instskip(SKIP_1) | instid1(VALU_DEP_3)
	v_and_b32_e32 v2, 0xffff, v1
	v_lshrrev_b32_e32 v1, 16, v1
	v_cvt_f32_ubyte0_e32 v15, v6
	v_mad_u32_u24 v30, 0x10001, v6, s18
	s_delay_alu instid0(VALU_DEP_4) | instskip(NEXT) | instid1(VALU_DEP_4)
	v_mul_u32_u24_e32 v10, 0x10001, v2
	v_mul_u32_u24_e32 v11, 0x10001, v1
	s_delay_alu instid0(VALU_DEP_4) | instskip(NEXT) | instid1(VALU_DEP_1)
	v_cvt_pk_f16_f32 v0, v15, v14
	v_pk_add_f16 v0, 0xd400, v0 op_sel_hi:[0,1] neg_lo:[0,1] neg_hi:[0,1]
	s_delay_alu instid0(VALU_DEP_1) | instskip(SKIP_1) | instid1(VALU_DEP_2)
	v_and_b32_e32 v3, 0xffff, v0
	v_lshrrev_b32_e32 v0, 16, v0
	v_mul_u32_u24_e32 v6, 0x10001, v3
	s_delay_alu instid0(VALU_DEP_2)
	v_mul_u32_u24_e32 v5, 0x10001, v0
.LBB1_10:                               ;   in Loop: Header=BB1_8 Depth=1
	global_load_b128 v[0:3], v[8:9], off
	s_and_not1_b32 vcc_lo, exec_lo, s16
	s_wait_loadcnt 0x0
	v_and_or_b32 v12, v0, s14, 0x64006400
	v_and_or_b32 v13, v0, s15, 0x64006400
	v_lshrrev_b32_e32 v0, 8, v0
	v_and_or_b32 v14, v1, s14, 0x64006400
	v_and_or_b32 v15, v1, s15, 0x64006400
	v_lshrrev_b32_e32 v1, 8, v1
	;; [unrolled: 3-line block ×4, first 2 shown]
	v_and_or_b32 v33, v0, s14, 0x64006400
	v_and_or_b32 v0, v0, s15, 0x64006400
	;; [unrolled: 1-line block ×8, first 2 shown]
	v_pk_add_f16 v12, v27, v12
	v_pk_fma_f16 v13, 0x2c00, v13, v11 op_sel_hi:[0,1,1]
	v_pk_add_f16 v14, v29, v14
	v_pk_fma_f16 v15, 0x2c00, v15, v10 op_sel_hi:[0,1,1]
	;; [unrolled: 2-line block ×8, first 2 shown]
	v_pk_mul_f16 v12, v24, v12
	v_pk_mul_f16 v37, v26, v14
	;; [unrolled: 1-line block ×16, first 2 shown]
	v_dual_lshlrev_b32 v53, 16, v31 :: v_dual_lshlrev_b32 v48, 16, v37
	v_dual_lshrrev_b32 v49, 16, v38 :: v_dual_lshrrev_b32 v45, 16, v12
	v_and_b32_e32 v56, 0xffff, v38
	v_and_b32_e32 v54, 0xffff, v12
	;; [unrolled: 1-line block ×4, first 2 shown]
	v_dual_lshlrev_b32 v46, 16, v32 :: v_dual_lshlrev_b32 v47, 16, v39
	v_and_b32_e32 v51, 0xffff, v40
	v_and_b32_e32 v52, 0xffff, v13
	v_dual_lshrrev_b32 v43, 16, v40 :: v_dual_lshrrev_b32 v34, 16, v13
	v_and_b32_e32 v44, 0xffff0000, v32
	v_and_b32_e32 v39, 0xffff0000, v39
	v_dual_lshlrev_b32 v35, 16, v58 :: v_dual_lshrrev_b32 v36, 16, v57
	v_dual_lshlrev_b32 v33, 16, v42 :: v_dual_lshrrev_b32 v37, 16, v41
	v_and_b32_e32 v40, 0xffff, v57
	v_and_b32_e32 v38, 0xffff, v41
	;; [unrolled: 1-line block ×4, first 2 shown]
	v_dual_lshlrev_b32 v31, 16, v15 :: v_dual_lshlrev_b32 v12, 16, v14
	v_and_b32_e32 v32, 0xffff, v17
	v_and_b32_e32 v13, 0xffff, v16
	s_cbranch_vccnz .LBB1_21
; %bb.11:                               ;   in Loop: Header=BB1_8 Depth=1
	v_dual_mov_b32 v0, s3 :: v_dual_bitop2_b32 v65, v53, v56 bitop3:0x54
	v_or_b32_e32 v72, v39, v34
	ds_load_b128 v[58:61], v0
	ds_load_b128 v[0:3], v0 offset:16
	s_wait_dscnt 0x1
	v_mad_u32 v58, v58, s19, v4
	v_mad_u32 v62, v59, s5, v7
	;; [unrolled: 1-line block ×3, first 2 shown]
	v_or_b32_e32 v67, v55, v49
	v_or_b32_e32 v66, v50, v45
	;; [unrolled: 1-line block ×3, first 2 shown]
	v_mad_u32 v70, v61, s5, v7
	s_wait_dscnt 0x0
	v_mad_u32 v0, v0, s19, v4
	v_or_b32_e32 v69, v46, v51
	v_dual_ashrrev_i32 v59, 31, v58 :: v_dual_bitop2_b32 v73, v44, v43 bitop3:0x54
	v_dual_ashrrev_i32 v63, 31, v62 :: v_dual_ashrrev_i32 v61, 31, v60
	s_wait_kmcnt 0x0
	s_delay_alu instid0(VALU_DEP_2) | instskip(NEXT) | instid1(VALU_DEP_2)
	v_lshl_add_u64 v[58:59], v[58:59], 1, s[0:1]
	v_lshl_add_u64 v[62:63], v[62:63], 1, s[0:1]
	s_delay_alu instid0(VALU_DEP_3)
	v_lshl_add_u64 v[60:61], v[60:61], 1, s[0:1]
	v_ashrrev_i32_e32 v71, 31, v70
	global_store_b64 v[58:59], v[64:65], off
	s_wait_xcnt 0x0
	v_mad_u32 v58, v1, s5, v7
	global_store_b64 v[62:63], v[66:67], off
	s_wait_xcnt 0x0
	v_mad_u32 v62, v2, s5, v4
	v_or_b32_e32 v68, v47, v52
	v_ashrrev_i32_e32 v1, 31, v0
	v_or_b32_e32 v65, v35, v40
	v_or_b32_e32 v64, v33, v38
	;; [unrolled: 1-line block ×4, first 2 shown]
	v_lshl_add_u64 v[0:1], v[0:1], 1, s[0:1]
	v_ashrrev_i32_e32 v59, 31, v58
	global_store_b64 v[60:61], v[68:69], off
	v_ashrrev_i32_e32 v63, 31, v62
	s_wait_xcnt 0x0
	v_lshl_add_u64 v[68:69], v[70:71], 1, s[0:1]
	v_or_b32_e32 v61, v41, v36
	v_or_b32_e32 v60, v42, v37
	v_lshl_add_u64 v[58:59], v[58:59], 1, s[0:1]
	v_lshl_add_u64 v[62:63], v[62:63], 1, s[0:1]
	s_clause 0x3
	global_store_b64 v[68:69], v[72:73], off
	global_store_b64 v[0:1], v[64:65], off
	;; [unrolled: 1-line block ×4, first 2 shown]
	s_cbranch_execnz .LBB1_13
.LBB1_12:                               ;   in Loop: Header=BB1_8 Depth=1
	s_wait_xcnt 0x2
	v_dual_add_nc_u32 v0, s22, v18 :: v_dual_add_nc_u32 v2, s50, v18
	s_wait_xcnt 0x1
	v_dual_add_nc_u32 v58, s48, v18 :: v_dual_bitop2_b32 v57, v53, v56 bitop3:0x54
	s_delay_alu instid0(VALU_DEP_2) | instskip(NEXT) | instid1(VALU_DEP_3)
	v_dual_ashrrev_i32 v1, 31, v0 :: v_dual_bitop2_b32 v49, v55, v49 bitop3:0x54
	v_ashrrev_i32_e32 v3, 31, v2
	v_or_b32_e32 v56, v48, v54
	s_delay_alu instid0(VALU_DEP_4)
	v_ashrrev_i32_e32 v59, 31, v58
	v_dual_add_nc_u32 v54, s49, v18 :: v_dual_bitop2_b32 v48, v50, v45 bitop3:0x54
	s_wait_kmcnt 0x0
	v_lshl_add_u64 v[0:1], v[0:1], 1, s[0:1]
	v_lshl_add_u64 v[2:3], v[2:3], 1, s[0:1]
	;; [unrolled: 1-line block ×3, first 2 shown]
	v_or_b32_e32 v51, v46, v51
	v_dual_ashrrev_i32 v55, 31, v54 :: v_dual_bitop2_b32 v50, v47, v52 bitop3:0x54
	global_store_b64 v[0:1], v[56:57], off
	s_wait_xcnt 0x0
	v_add_nc_u32_e32 v0, s46, v18
	s_clause 0x1
	global_store_b64 v[2:3], v[48:49], off
	global_store_b64 v[58:59], v[50:51], off
	s_wait_xcnt 0x1
	v_dual_add_nc_u32 v2, s47, v18 :: v_dual_add_nc_u32 v48, s45, v18
	v_or_b32_e32 v35, v35, v40
	v_dual_ashrrev_i32 v1, 31, v0 :: v_dual_bitop2_b32 v45, v44, v43 bitop3:0x54
	s_delay_alu instid0(VALU_DEP_3) | instskip(NEXT) | instid1(VALU_DEP_4)
	v_dual_ashrrev_i32 v3, 31, v2 :: v_dual_bitop2_b32 v41, v41, v36 bitop3:0x54
	v_dual_ashrrev_i32 v49, 31, v48 :: v_dual_bitop2_b32 v44, v39, v34 bitop3:0x54
	s_add_co_i32 s51, s2, 7
	v_lshl_add_u64 v[46:47], v[54:55], 1, s[0:1]
	v_or_b32_e32 v34, v33, v38
	v_lshl_add_u64 v[38:39], v[2:3], 1, s[0:1]
	v_mov_b32_e32 v3, s51
	v_lshl_add_u64 v[0:1], v[0:1], 1, s[0:1]
	v_or_b32_e32 v40, v42, v37
	v_lshl_add_u64 v[36:37], v[48:49], 1, s[0:1]
	v_or_b32_e32 v33, v31, v32
	v_or_b32_e32 v32, v12, v13
	s_clause 0x3
	global_store_b64 v[46:47], v[44:45], off
	global_store_b64 v[0:1], v[34:35], off
	;; [unrolled: 1-line block ×4, first 2 shown]
.LBB1_13:                               ;   in Loop: Header=BB1_8 Depth=1
	v_add_nc_u64_e32 v[12:13], s[12:13], v[8:9]
	s_wait_xcnt 0x2
	v_mad_u32 v0, v3, s5, v4
	v_dual_lshrrev_b32 v2, 16, v17 :: v_dual_lshrrev_b32 v16, 16, v16
	v_and_b32_e32 v3, 0xffff0000, v15
	v_and_b32_e32 v14, 0xffff0000, v14
	s_and_not1_b32 vcc_lo, exec_lo, s16
	global_load_b128 v[32:35], v[12:13], off
	v_or_b32_e32 v3, v3, v2
	v_or_b32_e32 v2, v14, v16
	v_ashrrev_i32_e32 v1, 31, v0
	s_wait_kmcnt 0x0
	s_delay_alu instid0(VALU_DEP_1)
	v_lshl_add_u64 v[0:1], v[0:1], 1, s[0:1]
	s_wait_loadcnt 0x0
	v_and_or_b32 v37, v35, s14, 0x64006400
	v_and_or_b32 v14, v32, s14, 0x64006400
	v_and_or_b32 v15, v32, s15, 0x64006400
	v_lshrrev_b32_e32 v16, 8, v32
	v_and_or_b32 v17, v33, s14, 0x64006400
	v_pk_add_f16 v37, v30, v37
	v_and_or_b32 v31, v33, s15, 0x64006400
	v_lshrrev_b32_e32 v32, 8, v33
	v_and_or_b32 v33, v34, s14, 0x64006400
	v_and_or_b32 v36, v34, s15, 0x64006400
	v_lshrrev_b32_e32 v34, 8, v34
	v_and_or_b32 v38, v35, s15, 0x64006400
	v_pk_mul_f16 v37, v23, v37
	v_lshrrev_b32_e32 v35, 8, v35
	v_and_or_b32 v39, v16, s14, 0x64006400
	v_and_or_b32 v16, v16, s15, 0x64006400
	;; [unrolled: 1-line block ×6, first 2 shown]
	v_lshlrev_b32_e32 v55, 16, v37
	v_and_or_b32 v42, v35, s14, 0x64006400
	v_and_or_b32 v35, v35, s15, 0x64006400
	v_pk_add_f16 v14, v27, v14
	v_pk_fma_f16 v15, 0x2c00, v15, v11 op_sel_hi:[0,1,1]
	v_pk_add_f16 v17, v29, v17
	v_pk_fma_f16 v31, 0x2c00, v31, v10 op_sel_hi:[0,1,1]
	;; [unrolled: 2-line block ×3, first 2 shown]
	v_pk_fma_f16 v38, 0x2c00, v38, v6 op_sel_hi:[0,1,1]
	v_pk_add_f16 v39, v27, v39
	v_pk_fma_f16 v16, 0x2c00, v16, v11 op_sel_hi:[0,1,1]
	v_pk_add_f16 v40, v29, v40
	;; [unrolled: 2-line block ×4, first 2 shown]
	v_pk_fma_f16 v35, 0x2c00, v35, v6 op_sel_hi:[0,1,1]
	v_pk_mul_f16 v43, v24, v14
	v_pk_mul_f16 v44, v26, v17
	;; [unrolled: 1-line block ×15, first 2 shown]
	v_dual_lshlrev_b32 v50, 16, v44 :: v_dual_lshrrev_b32 v51, 16, v33
	v_dual_lshrrev_b32 v47, 16, v43 :: v_dual_lshlrev_b32 v48, 16, v38
	v_and_b32_e32 v58, 0xffff, v33
	v_and_b32_e32 v56, 0xffff, v43
	;; [unrolled: 1-line block ×4, first 2 shown]
	v_dual_lshlrev_b32 v49, 16, v31 :: v_dual_lshrrev_b32 v45, 16, v36
	v_and_b32_e32 v53, 0xffff, v36
	v_and_b32_e32 v54, 0xffff, v46
	v_dual_lshrrev_b32 v36, 16, v46 :: v_dual_lshlrev_b32 v37, 16, v61
	v_and_b32_e32 v46, 0xffff0000, v38
	v_and_b32_e32 v41, 0xffff0000, v31
	v_dual_lshlrev_b32 v35, 16, v59 :: v_dual_lshrrev_b32 v38, 16, v60
	v_and_b32_e32 v42, 0xffff, v60
	v_and_b32_e32 v40, 0xffff, v39
	v_dual_lshrrev_b32 v39, 16, v39 :: v_dual_lshlrev_b32 v31, 16, v14
	v_and_b32_e32 v43, 0xffff0000, v61
	v_and_b32_e32 v44, 0xffff0000, v59
	v_lshlrev_b32_e32 v33, 16, v15
	v_and_b32_e32 v34, 0xffff, v17
	v_and_b32_e32 v32, 0xffff, v16
	global_store_b64 v[0:1], v[2:3], off
	s_cbranch_vccnz .LBB1_22
; %bb.14:                               ;   in Loop: Header=BB1_8 Depth=1
	s_wait_xcnt 0x0
	v_dual_mov_b32 v0, s3 :: v_dual_bitop2_b32 v65, v55, v58 bitop3:0x54
	ds_load_b128 v[60:63], v0 offset:32
	ds_load_b128 v[0:3], v0 offset:48
	s_wait_dscnt 0x1
	v_mad_u32 v60, v60, s19, v4
	v_mad_u32 v66, v61, s5, v7
	v_or_b32_e32 v64, v50, v56
	v_mad_u32 v62, v62, s19, v4
	s_wait_dscnt 0x0
	v_mad_u32 v0, v0, s19, v4
	s_delay_alu instid0(VALU_DEP_4) | instskip(NEXT) | instid1(VALU_DEP_1)
	v_dual_ashrrev_i32 v61, 31, v60 :: v_dual_ashrrev_i32 v67, 31, v66
	v_lshl_add_u64 v[60:61], v[60:61], 1, s[0:1]
	global_store_b64 v[60:61], v[64:65], off
	s_wait_xcnt 0x0
	v_lshl_add_u64 v[60:61], v[66:67], 1, s[0:1]
	v_or_b32_e32 v65, v57, v51
	v_or_b32_e32 v64, v52, v47
	global_store_b64 v[60:61], v[64:65], off
	s_wait_xcnt 0x0
	v_mad_u32 v64, v63, s5, v7
	v_dual_ashrrev_i32 v63, 31, v62 :: v_dual_bitop2_b32 v61, v48, v53 bitop3:0x54
	v_or_b32_e32 v60, v49, v54
	s_delay_alu instid0(VALU_DEP_2) | instskip(NEXT) | instid1(VALU_DEP_4)
	v_lshl_add_u64 v[62:63], v[62:63], 1, s[0:1]
	v_ashrrev_i32_e32 v65, 31, v64
	global_store_b64 v[62:63], v[60:61], off
	s_wait_xcnt 0x0
	v_or_b32_e32 v63, v46, v45
	v_or_b32_e32 v62, v41, v36
	v_lshl_add_u64 v[60:61], v[64:65], 1, s[0:1]
	global_store_b64 v[60:61], v[62:63], off
	s_wait_xcnt 0x0
	v_mad_u32 v62, v1, s5, v7
	v_dual_ashrrev_i32 v1, 31, v0 :: v_dual_bitop2_b32 v61, v37, v42 bitop3:0x54
	v_or_b32_e32 v60, v35, v40
	s_delay_alu instid0(VALU_DEP_2) | instskip(NEXT) | instid1(VALU_DEP_4)
	v_lshl_add_u64 v[0:1], v[0:1], 1, s[0:1]
	v_ashrrev_i32_e32 v63, 31, v62
	global_store_b64 v[0:1], v[60:61], off
	s_wait_xcnt 0x0
	v_or_b32_e32 v61, v43, v38
	v_or_b32_e32 v60, v44, v39
	v_lshl_add_u64 v[0:1], v[62:63], 1, s[0:1]
	global_store_b64 v[0:1], v[60:61], off
	s_wait_xcnt 0x0
	v_mad_u32 v0, v2, s5, v4
	v_or_b32_e32 v61, v33, v34
	v_or_b32_e32 v60, v31, v32
	s_delay_alu instid0(VALU_DEP_3) | instskip(NEXT) | instid1(VALU_DEP_1)
	v_ashrrev_i32_e32 v1, 31, v0
	v_lshl_add_u64 v[0:1], v[0:1], 1, s[0:1]
	global_store_b64 v[0:1], v[60:61], off
	s_cbranch_execnz .LBB1_16
.LBB1_15:                               ;   in Loop: Header=BB1_8 Depth=1
	s_wait_xcnt 0x0
	v_dual_add_nc_u32 v0, s44, v18 :: v_dual_add_nc_u32 v2, s43, v18
	v_or_b32_e32 v59, v55, v58
	v_dual_add_nc_u32 v60, s41, v18 :: v_dual_bitop2_b32 v58, v50, v56 bitop3:0x54
	s_delay_alu instid0(VALU_DEP_3) | instskip(NEXT) | instid1(VALU_DEP_2)
	v_dual_ashrrev_i32 v1, 31, v0 :: v_dual_ashrrev_i32 v3, 31, v2
	v_dual_ashrrev_i32 v61, 31, v60 :: v_dual_bitop2_b32 v51, v57, v51 bitop3:0x54
	v_add_nc_u32_e32 v56, s42, v18
	s_delay_alu instid0(VALU_DEP_3) | instskip(NEXT) | instid1(VALU_DEP_4)
	v_lshl_add_u64 v[0:1], v[0:1], 1, s[0:1]
	v_lshl_add_u64 v[2:3], v[2:3], 1, s[0:1]
	v_or_b32_e32 v50, v52, v47
	v_or_b32_e32 v53, v48, v53
	v_lshl_add_u64 v[60:61], v[60:61], 1, s[0:1]
	global_store_b64 v[0:1], v[58:59], off
	s_wait_xcnt 0x0
	v_add_nc_u32_e32 v0, s39, v18
	v_dual_ashrrev_i32 v57, 31, v56 :: v_dual_bitop2_b32 v52, v49, v54 bitop3:0x54
	s_add_co_i32 s51, s2, 15
	s_delay_alu instid0(VALU_DEP_2)
	v_dual_ashrrev_i32 v1, 31, v0 :: v_dual_bitop2_b32 v47, v46, v45 bitop3:0x54
	s_clause 0x1
	global_store_b64 v[2:3], v[50:51], off
	global_store_b64 v[60:61], v[52:53], off
	s_wait_xcnt 0x1
	v_dual_add_nc_u32 v2, s40, v18 :: v_dual_add_nc_u32 v50, s38, v18
	v_or_b32_e32 v46, v41, v36
	v_lshl_add_u64 v[48:49], v[56:57], 1, s[0:1]
	v_or_b32_e32 v37, v37, v42
	s_delay_alu instid0(VALU_DEP_4) | instskip(SKIP_2) | instid1(VALU_DEP_3)
	v_dual_ashrrev_i32 v3, 31, v2 :: v_dual_bitop2_b32 v36, v35, v40 bitop3:0x54
	v_dual_ashrrev_i32 v51, 31, v50 :: v_dual_bitop2_b32 v42, v44, v39 bitop3:0x54
	v_lshl_add_u64 v[0:1], v[0:1], 1, s[0:1]
	v_lshl_add_u64 v[40:41], v[2:3], 1, s[0:1]
	v_dual_mov_b32 v3, s51 :: v_dual_bitop2_b32 v43, v43, v38 bitop3:0x54
	s_delay_alu instid0(VALU_DEP_4)
	v_lshl_add_u64 v[38:39], v[50:51], 1, s[0:1]
	v_or_b32_e32 v33, v33, v34
	v_or_b32_e32 v32, v31, v32
	s_clause 0x3
	global_store_b64 v[48:49], v[46:47], off
	global_store_b64 v[0:1], v[36:37], off
	;; [unrolled: 1-line block ×4, first 2 shown]
.LBB1_16:                               ;   in Loop: Header=BB1_8 Depth=1
	s_wait_xcnt 0x1
	v_add_nc_u64_e32 v[12:13], s[12:13], v[12:13]
	s_wait_xcnt 0x0
	v_mad_u32 v0, v3, s5, v4
	v_dual_lshrrev_b32 v2, 16, v17 :: v_dual_lshrrev_b32 v16, 16, v16
	v_and_b32_e32 v3, 0xffff0000, v15
	v_and_b32_e32 v14, 0xffff0000, v14
	s_and_not1_b32 vcc_lo, exec_lo, s16
	global_load_b128 v[32:35], v[12:13], off
	v_or_b32_e32 v3, v3, v2
	v_or_b32_e32 v2, v14, v16
	v_ashrrev_i32_e32 v1, 31, v0
	s_delay_alu instid0(VALU_DEP_1)
	v_lshl_add_u64 v[0:1], v[0:1], 1, s[0:1]
	s_wait_loadcnt 0x0
	v_and_or_b32 v37, v35, s14, 0x64006400
	v_and_or_b32 v14, v32, s14, 0x64006400
	;; [unrolled: 1-line block ×3, first 2 shown]
	v_lshrrev_b32_e32 v16, 8, v32
	v_and_or_b32 v17, v33, s14, 0x64006400
	v_pk_add_f16 v37, v30, v37
	v_and_or_b32 v31, v33, s15, 0x64006400
	v_lshrrev_b32_e32 v32, 8, v33
	v_and_or_b32 v33, v34, s14, 0x64006400
	v_and_or_b32 v36, v34, s15, 0x64006400
	v_lshrrev_b32_e32 v34, 8, v34
	v_and_or_b32 v38, v35, s15, 0x64006400
	v_pk_mul_f16 v37, v23, v37
	v_lshrrev_b32_e32 v35, 8, v35
	v_and_or_b32 v39, v16, s14, 0x64006400
	v_and_or_b32 v16, v16, s15, 0x64006400
	;; [unrolled: 1-line block ×6, first 2 shown]
	v_lshlrev_b32_e32 v55, 16, v37
	v_and_or_b32 v42, v35, s14, 0x64006400
	v_and_or_b32 v35, v35, s15, 0x64006400
	v_pk_add_f16 v14, v27, v14
	v_pk_fma_f16 v15, 0x2c00, v15, v11 op_sel_hi:[0,1,1]
	v_pk_add_f16 v17, v29, v17
	v_pk_fma_f16 v31, 0x2c00, v31, v10 op_sel_hi:[0,1,1]
	v_pk_add_f16 v33, v28, v33
	v_pk_fma_f16 v36, 0x2c00, v36, v5 op_sel_hi:[0,1,1]
	v_pk_fma_f16 v38, 0x2c00, v38, v6 op_sel_hi:[0,1,1]
	v_pk_add_f16 v39, v27, v39
	v_pk_fma_f16 v16, 0x2c00, v16, v11 op_sel_hi:[0,1,1]
	v_pk_add_f16 v40, v29, v40
	;; [unrolled: 2-line block ×4, first 2 shown]
	v_pk_fma_f16 v35, 0x2c00, v35, v6 op_sel_hi:[0,1,1]
	v_pk_mul_f16 v43, v24, v14
	v_pk_mul_f16 v44, v26, v17
	;; [unrolled: 1-line block ×15, first 2 shown]
	v_dual_lshlrev_b32 v50, 16, v44 :: v_dual_lshrrev_b32 v51, 16, v33
	v_dual_lshrrev_b32 v47, 16, v43 :: v_dual_lshlrev_b32 v48, 16, v38
	v_and_b32_e32 v58, 0xffff, v33
	v_and_b32_e32 v56, 0xffff, v43
	;; [unrolled: 1-line block ×4, first 2 shown]
	v_dual_lshlrev_b32 v49, 16, v31 :: v_dual_lshrrev_b32 v45, 16, v36
	v_and_b32_e32 v53, 0xffff, v36
	v_and_b32_e32 v54, 0xffff, v46
	v_dual_lshrrev_b32 v36, 16, v46 :: v_dual_lshlrev_b32 v37, 16, v61
	v_and_b32_e32 v46, 0xffff0000, v38
	v_and_b32_e32 v41, 0xffff0000, v31
	v_dual_lshlrev_b32 v35, 16, v59 :: v_dual_lshrrev_b32 v38, 16, v60
	v_and_b32_e32 v42, 0xffff, v60
	v_and_b32_e32 v40, 0xffff, v39
	v_dual_lshrrev_b32 v39, 16, v39 :: v_dual_lshlrev_b32 v31, 16, v14
	v_and_b32_e32 v43, 0xffff0000, v61
	v_and_b32_e32 v44, 0xffff0000, v59
	v_lshlrev_b32_e32 v33, 16, v15
	v_and_b32_e32 v34, 0xffff, v17
	v_and_b32_e32 v32, 0xffff, v16
	global_store_b64 v[0:1], v[2:3], off
	s_cbranch_vccnz .LBB1_23
; %bb.17:                               ;   in Loop: Header=BB1_8 Depth=1
	s_wait_xcnt 0x0
	v_dual_mov_b32 v0, s3 :: v_dual_bitop2_b32 v65, v55, v58 bitop3:0x54
	ds_load_b128 v[60:63], v0 offset:64
	ds_load_b128 v[0:3], v0 offset:80
	s_wait_dscnt 0x1
	v_mad_u32 v60, v60, s19, v4
	v_mad_u32 v66, v61, s5, v7
	v_or_b32_e32 v64, v50, v56
	v_mad_u32 v62, v62, s19, v4
	s_wait_dscnt 0x0
	v_mad_u32 v0, v0, s19, v4
	s_delay_alu instid0(VALU_DEP_4) | instskip(NEXT) | instid1(VALU_DEP_1)
	v_dual_ashrrev_i32 v61, 31, v60 :: v_dual_ashrrev_i32 v67, 31, v66
	v_lshl_add_u64 v[60:61], v[60:61], 1, s[0:1]
	global_store_b64 v[60:61], v[64:65], off
	s_wait_xcnt 0x0
	v_lshl_add_u64 v[60:61], v[66:67], 1, s[0:1]
	v_or_b32_e32 v65, v57, v51
	v_or_b32_e32 v64, v52, v47
	global_store_b64 v[60:61], v[64:65], off
	s_wait_xcnt 0x0
	v_mad_u32 v64, v63, s5, v7
	v_dual_ashrrev_i32 v63, 31, v62 :: v_dual_bitop2_b32 v61, v48, v53 bitop3:0x54
	v_or_b32_e32 v60, v49, v54
	s_delay_alu instid0(VALU_DEP_2) | instskip(NEXT) | instid1(VALU_DEP_4)
	v_lshl_add_u64 v[62:63], v[62:63], 1, s[0:1]
	v_ashrrev_i32_e32 v65, 31, v64
	global_store_b64 v[62:63], v[60:61], off
	s_wait_xcnt 0x0
	v_or_b32_e32 v63, v46, v45
	v_or_b32_e32 v62, v41, v36
	v_lshl_add_u64 v[60:61], v[64:65], 1, s[0:1]
	global_store_b64 v[60:61], v[62:63], off
	s_wait_xcnt 0x0
	v_mad_u32 v62, v1, s5, v7
	v_dual_ashrrev_i32 v1, 31, v0 :: v_dual_bitop2_b32 v61, v37, v42 bitop3:0x54
	v_or_b32_e32 v60, v35, v40
	s_delay_alu instid0(VALU_DEP_2) | instskip(NEXT) | instid1(VALU_DEP_4)
	v_lshl_add_u64 v[0:1], v[0:1], 1, s[0:1]
	v_ashrrev_i32_e32 v63, 31, v62
	global_store_b64 v[0:1], v[60:61], off
	s_wait_xcnt 0x0
	v_or_b32_e32 v61, v43, v38
	v_or_b32_e32 v60, v44, v39
	v_lshl_add_u64 v[0:1], v[62:63], 1, s[0:1]
	global_store_b64 v[0:1], v[60:61], off
	s_wait_xcnt 0x0
	v_mad_u32 v0, v2, s5, v4
	v_or_b32_e32 v61, v33, v34
	v_or_b32_e32 v60, v31, v32
	s_delay_alu instid0(VALU_DEP_3) | instskip(NEXT) | instid1(VALU_DEP_1)
	v_ashrrev_i32_e32 v1, 31, v0
	v_lshl_add_u64 v[0:1], v[0:1], 1, s[0:1]
	global_store_b64 v[0:1], v[60:61], off
	s_cbranch_execnz .LBB1_19
.LBB1_18:                               ;   in Loop: Header=BB1_8 Depth=1
	s_wait_xcnt 0x0
	v_dual_add_nc_u32 v0, s37, v18 :: v_dual_add_nc_u32 v2, s36, v18
	v_or_b32_e32 v59, v55, v58
	v_dual_add_nc_u32 v60, s34, v18 :: v_dual_bitop2_b32 v58, v50, v56 bitop3:0x54
	s_delay_alu instid0(VALU_DEP_3) | instskip(NEXT) | instid1(VALU_DEP_2)
	v_dual_ashrrev_i32 v1, 31, v0 :: v_dual_ashrrev_i32 v3, 31, v2
	v_dual_ashrrev_i32 v61, 31, v60 :: v_dual_bitop2_b32 v51, v57, v51 bitop3:0x54
	v_add_nc_u32_e32 v56, s35, v18
	s_delay_alu instid0(VALU_DEP_3) | instskip(NEXT) | instid1(VALU_DEP_4)
	v_lshl_add_u64 v[0:1], v[0:1], 1, s[0:1]
	v_lshl_add_u64 v[2:3], v[2:3], 1, s[0:1]
	v_or_b32_e32 v50, v52, v47
	v_or_b32_e32 v53, v48, v53
	v_lshl_add_u64 v[60:61], v[60:61], 1, s[0:1]
	global_store_b64 v[0:1], v[58:59], off
	s_wait_xcnt 0x0
	v_add_nc_u32_e32 v0, s31, v18
	v_dual_ashrrev_i32 v57, 31, v56 :: v_dual_bitop2_b32 v52, v49, v54 bitop3:0x54
	s_add_co_i32 s51, s2, 23
	s_delay_alu instid0(VALU_DEP_2)
	v_dual_ashrrev_i32 v1, 31, v0 :: v_dual_bitop2_b32 v47, v46, v45 bitop3:0x54
	s_clause 0x1
	global_store_b64 v[2:3], v[50:51], off
	global_store_b64 v[60:61], v[52:53], off
	s_wait_xcnt 0x1
	v_dual_add_nc_u32 v2, s33, v18 :: v_dual_add_nc_u32 v50, s30, v18
	v_or_b32_e32 v46, v41, v36
	v_lshl_add_u64 v[48:49], v[56:57], 1, s[0:1]
	v_or_b32_e32 v37, v37, v42
	s_delay_alu instid0(VALU_DEP_4) | instskip(SKIP_2) | instid1(VALU_DEP_3)
	v_dual_ashrrev_i32 v3, 31, v2 :: v_dual_bitop2_b32 v36, v35, v40 bitop3:0x54
	v_dual_ashrrev_i32 v51, 31, v50 :: v_dual_bitop2_b32 v42, v44, v39 bitop3:0x54
	v_lshl_add_u64 v[0:1], v[0:1], 1, s[0:1]
	v_lshl_add_u64 v[40:41], v[2:3], 1, s[0:1]
	v_dual_mov_b32 v3, s51 :: v_dual_bitop2_b32 v43, v43, v38 bitop3:0x54
	s_delay_alu instid0(VALU_DEP_4)
	v_lshl_add_u64 v[38:39], v[50:51], 1, s[0:1]
	v_or_b32_e32 v33, v33, v34
	v_or_b32_e32 v32, v31, v32
	s_clause 0x3
	global_store_b64 v[48:49], v[46:47], off
	global_store_b64 v[0:1], v[36:37], off
	;; [unrolled: 1-line block ×4, first 2 shown]
.LBB1_19:                               ;   in Loop: Header=BB1_8 Depth=1
	s_wait_xcnt 0x0
	v_add_nc_u64_e32 v[0:1], s[12:13], v[12:13]
	v_dual_lshrrev_b32 v2, 16, v17 :: v_dual_lshrrev_b32 v12, 16, v16
	v_and_b32_e32 v13, 0xffff0000, v14
	s_and_not1_b32 vcc_lo, exec_lo, s16
	global_load_b128 v[32:35], v[0:1], off
	s_wait_xcnt 0x0
	v_mad_u32 v0, v3, s5, v4
	v_and_b32_e32 v3, 0xffff0000, v15
	s_delay_alu instid0(VALU_DEP_1) | instskip(SKIP_1) | instid1(VALU_DEP_4)
	v_or_b32_e32 v3, v3, v2
	v_or_b32_e32 v2, v13, v12
	v_ashrrev_i32_e32 v1, 31, v0
	s_delay_alu instid0(VALU_DEP_1)
	v_lshl_add_u64 v[0:1], v[0:1], 1, s[0:1]
	s_wait_loadcnt 0x0
	v_and_or_b32 v12, v32, s14, 0x64006400
	v_and_or_b32 v13, v32, s15, 0x64006400
	v_lshrrev_b32_e32 v14, 8, v32
	v_and_or_b32 v15, v33, s14, 0x64006400
	v_and_or_b32 v16, v33, s15, 0x64006400
	v_lshrrev_b32_e32 v17, 8, v33
	;; [unrolled: 3-line block ×3, first 2 shown]
	v_and_or_b32 v34, v35, s14, 0x64006400
	v_and_or_b32 v36, v35, s15, 0x64006400
	;; [unrolled: 1-line block ×5, first 2 shown]
	v_pk_add_f16 v34, v30, v34
	v_and_or_b32 v17, v17, s15, 0x64006400
	v_and_or_b32 v39, v33, s14, 0x64006400
	;; [unrolled: 1-line block ×3, first 2 shown]
	v_pk_add_f16 v12, v27, v12
	v_pk_mul_f16 v34, v23, v34
	v_lshrrev_b32_e32 v35, 8, v35
	v_pk_fma_f16 v13, 0x2c00, v13, v11 op_sel_hi:[0,1,1]
	v_pk_add_f16 v15, v29, v15
	v_pk_fma_f16 v16, 0x2c00, v16, v10 op_sel_hi:[0,1,1]
	v_lshlrev_b32_e32 v53, 16, v34
	v_and_or_b32 v40, v35, s14, 0x64006400
	v_and_or_b32 v35, v35, s15, 0x64006400
	v_pk_add_f16 v31, v28, v31
	v_pk_fma_f16 v32, 0x2c00, v32, v5 op_sel_hi:[0,1,1]
	v_pk_fma_f16 v36, 0x2c00, v36, v6 op_sel_hi:[0,1,1]
	v_pk_add_f16 v37, v27, v37
	v_pk_fma_f16 v14, 0x2c00, v14, v11 op_sel_hi:[0,1,1]
	v_pk_add_f16 v38, v29, v38
	;; [unrolled: 2-line block ×4, first 2 shown]
	v_pk_fma_f16 v35, 0x2c00, v35, v6 op_sel_hi:[0,1,1]
	v_pk_mul_f16 v41, v24, v12
	v_pk_mul_f16 v42, v26, v15
	;; [unrolled: 1-line block ×15, first 2 shown]
	v_dual_lshlrev_b32 v48, 16, v42 :: v_dual_lshrrev_b32 v49, 16, v31
	v_dual_lshrrev_b32 v45, 16, v41 :: v_dual_lshlrev_b32 v46, 16, v36
	v_and_b32_e32 v56, 0xffff, v31
	v_and_b32_e32 v54, 0xffff, v41
	;; [unrolled: 1-line block ×4, first 2 shown]
	v_dual_lshlrev_b32 v47, 16, v16 :: v_dual_lshlrev_b32 v35, 16, v59
	v_and_b32_e32 v51, 0xffff, v32
	v_and_b32_e32 v52, 0xffff, v44
	v_dual_lshrrev_b32 v43, 16, v32 :: v_dual_lshlrev_b32 v33, 16, v57
	v_lshrrev_b32_e32 v34, 16, v44
	v_and_b32_e32 v44, 0xffff0000, v36
	v_and_b32_e32 v39, 0xffff0000, v16
	v_and_b32_e32 v40, 0xffff, v58
	v_and_b32_e32 v38, 0xffff, v37
	v_dual_lshrrev_b32 v36, 16, v58 :: v_dual_lshrrev_b32 v37, 16, v37
	v_lshlrev_b32_e32 v16, 16, v12
	v_and_b32_e32 v41, 0xffff0000, v59
	v_and_b32_e32 v42, 0xffff0000, v57
	v_lshlrev_b32_e32 v31, 16, v13
	v_and_b32_e32 v32, 0xffff, v15
	v_and_b32_e32 v17, 0xffff, v14
	global_store_b64 v[0:1], v[2:3], off
	s_cbranch_vccnz .LBB1_24
; %bb.20:                               ;   in Loop: Header=BB1_8 Depth=1
	s_wait_xcnt 0x0
	v_dual_mov_b32 v0, s3 :: v_dual_bitop2_b32 v63, v53, v56 bitop3:0x54
	ds_load_b128 v[58:61], v0 offset:96
	ds_load_b128 v[0:3], v0 offset:112
	s_wait_dscnt 0x1
	v_mad_u32 v58, v58, s19, v4
	v_mad_u32 v64, v59, s5, v7
	v_or_b32_e32 v62, v48, v54
	v_mad_u32 v60, v60, s19, v4
	s_wait_dscnt 0x0
	v_mad_u32 v0, v0, s19, v4
	s_delay_alu instid0(VALU_DEP_4) | instskip(NEXT) | instid1(VALU_DEP_1)
	v_dual_ashrrev_i32 v59, 31, v58 :: v_dual_ashrrev_i32 v65, 31, v64
	v_lshl_add_u64 v[58:59], v[58:59], 1, s[0:1]
	global_store_b64 v[58:59], v[62:63], off
	s_wait_xcnt 0x0
	v_lshl_add_u64 v[58:59], v[64:65], 1, s[0:1]
	v_or_b32_e32 v63, v55, v49
	v_or_b32_e32 v62, v50, v45
	global_store_b64 v[58:59], v[62:63], off
	s_wait_xcnt 0x0
	v_mad_u32 v62, v61, s5, v7
	v_dual_ashrrev_i32 v61, 31, v60 :: v_dual_bitop2_b32 v59, v46, v51 bitop3:0x54
	v_or_b32_e32 v58, v47, v52
	s_delay_alu instid0(VALU_DEP_2) | instskip(NEXT) | instid1(VALU_DEP_4)
	v_lshl_add_u64 v[60:61], v[60:61], 1, s[0:1]
	v_ashrrev_i32_e32 v63, 31, v62
	global_store_b64 v[60:61], v[58:59], off
	s_wait_xcnt 0x0
	v_or_b32_e32 v61, v44, v43
	v_or_b32_e32 v60, v39, v34
	v_lshl_add_u64 v[58:59], v[62:63], 1, s[0:1]
	global_store_b64 v[58:59], v[60:61], off
	s_wait_xcnt 0x0
	v_mad_u32 v60, v1, s5, v7
	v_ashrrev_i32_e32 v1, 31, v0
	v_or_b32_e32 v59, v35, v40
	v_or_b32_e32 v58, v33, v38
	s_delay_alu instid0(VALU_DEP_3)
	v_lshl_add_u64 v[0:1], v[0:1], 1, s[0:1]
	v_ashrrev_i32_e32 v61, 31, v60
	global_store_b64 v[0:1], v[58:59], off
	s_wait_xcnt 0x0
	v_or_b32_e32 v59, v41, v36
	v_or_b32_e32 v58, v42, v37
	v_lshl_add_u64 v[0:1], v[60:61], 1, s[0:1]
	global_store_b64 v[0:1], v[58:59], off
	s_wait_xcnt 0x0
	v_mad_u32 v0, v2, s5, v4
	v_or_b32_e32 v59, v31, v32
	s_delay_alu instid0(VALU_DEP_2) | instskip(NEXT) | instid1(VALU_DEP_1)
	v_dual_ashrrev_i32 v1, 31, v0 :: v_dual_bitop2_b32 v58, v16, v17 bitop3:0x54
	v_lshl_add_u64 v[0:1], v[0:1], 1, s[0:1]
	global_store_b64 v[0:1], v[58:59], off
	s_cbranch_execnz .LBB1_7
	s_branch .LBB1_25
.LBB1_21:                               ;   in Loop: Header=BB1_8 Depth=1
                                        ; implicit-def: $vgpr3
	s_branch .LBB1_12
.LBB1_22:                               ;   in Loop: Header=BB1_8 Depth=1
                                        ; implicit-def: $vgpr3
	s_branch .LBB1_15
.LBB1_23:                               ;   in Loop: Header=BB1_8 Depth=1
                                        ; implicit-def: $vgpr3
	s_branch .LBB1_18
.LBB1_24:                               ;   in Loop: Header=BB1_8 Depth=1
                                        ; implicit-def: $vgpr3
.LBB1_25:                               ;   in Loop: Header=BB1_8 Depth=1
	s_wait_xcnt 0x0
	v_dual_add_nc_u32 v0, s29, v18 :: v_dual_add_nc_u32 v2, s28, v18
	v_dual_add_nc_u32 v58, s26, v18 :: v_dual_bitop2_b32 v57, v53, v56 bitop3:0x54
	s_delay_alu instid0(VALU_DEP_2) | instskip(NEXT) | instid1(VALU_DEP_3)
	v_dual_ashrrev_i32 v1, 31, v0 :: v_dual_bitop2_b32 v49, v55, v49 bitop3:0x54
	v_ashrrev_i32_e32 v3, 31, v2
	v_or_b32_e32 v56, v48, v54
	s_delay_alu instid0(VALU_DEP_4) | instskip(SKIP_3) | instid1(VALU_DEP_4)
	v_ashrrev_i32_e32 v59, 31, v58
	v_dual_add_nc_u32 v54, s27, v18 :: v_dual_bitop2_b32 v48, v50, v45 bitop3:0x54
	v_lshl_add_u64 v[0:1], v[0:1], 1, s[0:1]
	v_lshl_add_u64 v[2:3], v[2:3], 1, s[0:1]
	;; [unrolled: 1-line block ×3, first 2 shown]
	v_or_b32_e32 v51, v46, v51
	v_dual_ashrrev_i32 v55, 31, v54 :: v_dual_bitop2_b32 v50, v47, v52 bitop3:0x54
	global_store_b64 v[0:1], v[56:57], off
	s_wait_xcnt 0x0
	v_add_nc_u32_e32 v0, s24, v18
	s_clause 0x1
	global_store_b64 v[2:3], v[48:49], off
	global_store_b64 v[58:59], v[50:51], off
	s_wait_xcnt 0x1
	v_dual_add_nc_u32 v2, s25, v18 :: v_dual_add_nc_u32 v48, s23, v18
	v_or_b32_e32 v35, v35, v40
	v_dual_ashrrev_i32 v1, 31, v0 :: v_dual_bitop2_b32 v45, v44, v43 bitop3:0x54
	s_delay_alu instid0(VALU_DEP_3) | instskip(NEXT) | instid1(VALU_DEP_4)
	v_dual_ashrrev_i32 v3, 31, v2 :: v_dual_bitop2_b32 v41, v41, v36 bitop3:0x54
	v_dual_ashrrev_i32 v49, 31, v48 :: v_dual_bitop2_b32 v44, v39, v34 bitop3:0x54
	s_add_co_i32 s51, s2, 31
	v_lshl_add_u64 v[46:47], v[54:55], 1, s[0:1]
	v_or_b32_e32 v34, v33, v38
	v_lshl_add_u64 v[38:39], v[2:3], 1, s[0:1]
	v_mov_b32_e32 v3, s51
	v_lshl_add_u64 v[0:1], v[0:1], 1, s[0:1]
	v_or_b32_e32 v40, v42, v37
	v_lshl_add_u64 v[36:37], v[48:49], 1, s[0:1]
	v_or_b32_e32 v33, v31, v32
	v_or_b32_e32 v32, v16, v17
	s_clause 0x3
	global_store_b64 v[46:47], v[44:45], off
	global_store_b64 v[0:1], v[34:35], off
	;; [unrolled: 1-line block ×4, first 2 shown]
	s_branch .LBB1_7
.LBB1_26:
	s_sendmsg sendmsg(MSG_DEALLOC_VGPRS)
	s_endpgm
	.section	.rodata,"a",@progbits
	.p2align	6, 0x0
	.amdhsa_kernel _ZN4vllm4gptq31reconstruct_exllama_4bit_kernelEPKjPKiS2_PK6__halfiiibPS5_
		.amdhsa_group_segment_fixed_size 512
		.amdhsa_private_segment_fixed_size 0
		.amdhsa_kernarg_size 56
		.amdhsa_user_sgpr_count 2
		.amdhsa_user_sgpr_dispatch_ptr 0
		.amdhsa_user_sgpr_queue_ptr 0
		.amdhsa_user_sgpr_kernarg_segment_ptr 1
		.amdhsa_user_sgpr_dispatch_id 0
		.amdhsa_user_sgpr_kernarg_preload_length 0
		.amdhsa_user_sgpr_kernarg_preload_offset 0
		.amdhsa_user_sgpr_private_segment_size 0
		.amdhsa_wavefront_size32 1
		.amdhsa_uses_dynamic_stack 0
		.amdhsa_enable_private_segment 0
		.amdhsa_system_sgpr_workgroup_id_x 1
		.amdhsa_system_sgpr_workgroup_id_y 1
		.amdhsa_system_sgpr_workgroup_id_z 0
		.amdhsa_system_sgpr_workgroup_info 0
		.amdhsa_system_vgpr_workitem_id 0
		.amdhsa_next_free_vgpr 74
		.amdhsa_next_free_sgpr 54
		.amdhsa_named_barrier_count 0
		.amdhsa_reserve_vcc 1
		.amdhsa_float_round_mode_32 0
		.amdhsa_float_round_mode_16_64 0
		.amdhsa_float_denorm_mode_32 3
		.amdhsa_float_denorm_mode_16_64 3
		.amdhsa_fp16_overflow 0
		.amdhsa_memory_ordered 1
		.amdhsa_forward_progress 1
		.amdhsa_inst_pref_size 63
		.amdhsa_round_robin_scheduling 0
		.amdhsa_exception_fp_ieee_invalid_op 0
		.amdhsa_exception_fp_denorm_src 0
		.amdhsa_exception_fp_ieee_div_zero 0
		.amdhsa_exception_fp_ieee_overflow 0
		.amdhsa_exception_fp_ieee_underflow 0
		.amdhsa_exception_fp_ieee_inexact 0
		.amdhsa_exception_int_div_zero 0
	.end_amdhsa_kernel
	.text
.Lfunc_end1:
	.size	_ZN4vllm4gptq31reconstruct_exllama_4bit_kernelEPKjPKiS2_PK6__halfiiibPS5_, .Lfunc_end1-_ZN4vllm4gptq31reconstruct_exllama_4bit_kernelEPKjPKiS2_PK6__halfiiibPS5_
                                        ; -- End function
	.set _ZN4vllm4gptq31reconstruct_exllama_4bit_kernelEPKjPKiS2_PK6__halfiiibPS5_.num_vgpr, 74
	.set _ZN4vllm4gptq31reconstruct_exllama_4bit_kernelEPKjPKiS2_PK6__halfiiibPS5_.num_agpr, 0
	.set _ZN4vllm4gptq31reconstruct_exllama_4bit_kernelEPKjPKiS2_PK6__halfiiibPS5_.numbered_sgpr, 54
	.set _ZN4vllm4gptq31reconstruct_exllama_4bit_kernelEPKjPKiS2_PK6__halfiiibPS5_.num_named_barrier, 0
	.set _ZN4vllm4gptq31reconstruct_exllama_4bit_kernelEPKjPKiS2_PK6__halfiiibPS5_.private_seg_size, 0
	.set _ZN4vllm4gptq31reconstruct_exllama_4bit_kernelEPKjPKiS2_PK6__halfiiibPS5_.uses_vcc, 1
	.set _ZN4vllm4gptq31reconstruct_exllama_4bit_kernelEPKjPKiS2_PK6__halfiiibPS5_.uses_flat_scratch, 0
	.set _ZN4vllm4gptq31reconstruct_exllama_4bit_kernelEPKjPKiS2_PK6__halfiiibPS5_.has_dyn_sized_stack, 0
	.set _ZN4vllm4gptq31reconstruct_exllama_4bit_kernelEPKjPKiS2_PK6__halfiiibPS5_.has_recursion, 0
	.set _ZN4vllm4gptq31reconstruct_exllama_4bit_kernelEPKjPKiS2_PK6__halfiiibPS5_.has_indirect_call, 0
	.section	.AMDGPU.csdata,"",@progbits
; Kernel info:
; codeLenInByte = 7988
; TotalNumSgprs: 56
; NumVgprs: 74
; ScratchSize: 0
; MemoryBound: 0
; FloatMode: 240
; IeeeMode: 1
; LDSByteSize: 512 bytes/workgroup (compile time only)
; SGPRBlocks: 0
; VGPRBlocks: 4
; NumSGPRsForWavesPerEU: 56
; NumVGPRsForWavesPerEU: 74
; NamedBarCnt: 0
; Occupancy: 12
; WaveLimiterHint : 0
; COMPUTE_PGM_RSRC2:SCRATCH_EN: 0
; COMPUTE_PGM_RSRC2:USER_SGPR: 2
; COMPUTE_PGM_RSRC2:TRAP_HANDLER: 0
; COMPUTE_PGM_RSRC2:TGID_X_EN: 1
; COMPUTE_PGM_RSRC2:TGID_Y_EN: 1
; COMPUTE_PGM_RSRC2:TGID_Z_EN: 0
; COMPUTE_PGM_RSRC2:TIDIG_COMP_CNT: 0
	.text
	.protected	_ZN4vllm4gptq31reconstruct_exllama_3bit_kernelEPKjPKiS2_PK6__halfiiibPS5_ ; -- Begin function _ZN4vllm4gptq31reconstruct_exllama_3bit_kernelEPKjPKiS2_PK6__halfiiibPS5_
	.globl	_ZN4vllm4gptq31reconstruct_exllama_3bit_kernelEPKjPKiS2_PK6__halfiiibPS5_
	.p2align	8
	.type	_ZN4vllm4gptq31reconstruct_exllama_3bit_kernelEPKjPKiS2_PK6__halfiiibPS5_,@function
_ZN4vllm4gptq31reconstruct_exllama_3bit_kernelEPKjPKiS2_PK6__halfiiibPS5_: ; @_ZN4vllm4gptq31reconstruct_exllama_3bit_kernelEPKjPKiS2_PK6__halfiiibPS5_
; %bb.0:
	s_clause 0x1
	s_load_b64 s[2:3], s[0:1], 0x8
	s_load_b128 s[4:7], s[0:1], 0x20
	s_bfe_u32 s8, ttmp6, 0x40010
	s_bfe_u32 s9, ttmp6, 0x40004
	s_add_co_i32 s8, s8, 1
	s_delay_alu instid0(SALU_CYCLE_1) | instskip(SKIP_4) | instid1(SALU_CYCLE_1)
	s_mul_i32 s10, ttmp7, s8
	s_getreg_b32 s8, hwreg(HW_REG_IB_STS2, 6, 4)
	s_add_co_i32 s9, s9, s10
	s_cmp_eq_u32 s8, 0
	s_cselect_b32 s15, ttmp7, s9
	s_lshl_b32 s18, s15, 7
	s_wait_kmcnt 0x0
	s_cmp_lg_u64 s[2:3], 0
	s_cselect_b32 s19, -1, 0
	s_cmp_eq_u64 s[2:3], 0
	s_cbranch_scc1 .LBB2_4
; %bb.1:
	v_add_nc_u32_e32 v1, s18, v0
	s_mov_b32 s9, exec_lo
	s_delay_alu instid0(VALU_DEP_1)
	v_cmpx_gt_u32_e64 s4, v1
	s_cbranch_execz .LBB2_3
; %bb.2:
	global_load_b32 v1, v1, s[2:3] scale_offset
	v_lshlrev_b32_e32 v2, 2, v0
	s_wait_loadcnt 0x0
	ds_store_b32 v2, v1
.LBB2_3:
	s_or_b32 exec_lo, exec_lo, s9
.LBB2_4:
	s_bfe_u32 s2, ttmp6, 0x4000c
	s_and_b32 s3, ttmp6, 15
	s_add_co_i32 s2, s2, 1
	v_lshlrev_b32_e32 v14, 2, v0
	s_mul_i32 s2, ttmp9, s2
	s_delay_alu instid0(SALU_CYCLE_1) | instskip(SKIP_2) | instid1(SALU_CYCLE_1)
	s_add_co_i32 s3, s3, s2
	s_cmp_eq_u32 s8, 0
	s_cselect_b32 s2, ttmp9, s3
	s_lshl_b32 s56, s2, 9
	s_mov_b32 s2, exec_lo
	v_add_nc_u32_e32 v12, s56, v14
	s_delay_alu instid0(VALU_DEP_1)
	v_cmpx_gt_i32_e64 s5, v12
	s_cbranch_execz .LBB2_46
; %bb.5:
	s_abs_i32 s2, s6
	s_abs_i32 s9, s4
	s_cvt_f32_u32 s3, s2
	s_sub_co_i32 s8, 0, s2
	s_xor_b32 s6, s4, s6
	v_and_b32_e32 v2, 28, v14
	v_rcp_iflag_f32_e32 v0, s3
	s_ashr_i32 s6, s6, 31
                                        ; implicit-def: $vgpr4
	v_nop
	s_delay_alu instid0(TRANS32_DEP_1) | instskip(SKIP_1) | instid1(SALU_CYCLE_3)
	v_readfirstlane_b32 s3, v0
	s_mul_f32 s3, s3, 0x4f7ffffe
	s_cvt_u32_f32 s3, s3
	s_delay_alu instid0(SALU_CYCLE_3) | instskip(NEXT) | instid1(SALU_CYCLE_1)
	s_mul_i32 s8, s8, s3
	s_mul_hi_u32 s8, s3, s8
	s_delay_alu instid0(SALU_CYCLE_1) | instskip(NEXT) | instid1(SALU_CYCLE_1)
	s_add_co_i32 s3, s3, s8
	s_mul_hi_u32 s3, s9, s3
	s_delay_alu instid0(SALU_CYCLE_1) | instskip(NEXT) | instid1(SALU_CYCLE_1)
	s_mul_i32 s8, s3, s2
	s_sub_co_i32 s8, s9, s8
	s_add_co_i32 s9, s3, 1
	s_sub_co_i32 s10, s8, s2
	s_cmp_ge_u32 s8, s2
	s_cselect_b32 s3, s9, s3
	s_cselect_b32 s8, s10, s8
	s_add_co_i32 s9, s3, 1
	s_cmp_ge_u32 s8, s2
	s_cselect_b32 s2, s9, s3
	s_load_b64 s[8:9], s[0:1], 0x10
	s_xor_b32 s2, s2, s6
	s_delay_alu instid0(SALU_CYCLE_1) | instskip(NEXT) | instid1(SALU_CYCLE_1)
	s_sub_co_i32 s20, s2, s6
	s_cvt_f32_u32 s2, s20
	s_sub_co_i32 s3, 0, s20
	s_delay_alu instid0(SALU_CYCLE_2) | instskip(SKIP_1) | instid1(TRANS32_DEP_1)
	v_rcp_iflag_f32_e32 v0, s2
	v_nop
	v_readfirstlane_b32 s2, v0
                                        ; implicit-def: $vgpr0
	s_mul_f32 s2, s2, 0x4f7ffffe
	s_delay_alu instid0(SALU_CYCLE_3) | instskip(NEXT) | instid1(SALU_CYCLE_3)
	s_cvt_u32_f32 s2, s2
	s_mul_i32 s3, s3, s2
	s_delay_alu instid0(SALU_CYCLE_1) | instskip(NEXT) | instid1(SALU_CYCLE_1)
	s_mul_hi_u32 s3, s2, s3
	s_add_co_i32 s2, s2, s3
	s_delay_alu instid0(SALU_CYCLE_1) | instskip(NEXT) | instid1(SALU_CYCLE_1)
	s_mul_hi_u32 s2, s18, s2
	s_mul_i32 s3, s2, s20
	s_add_co_i32 s6, s2, 1
	s_sub_co_i32 s3, s18, s3
	s_delay_alu instid0(SALU_CYCLE_1)
	s_sub_co_i32 s10, s3, s20
	s_cmp_ge_u32 s3, s20
	s_cselect_b32 s6, s6, s2
	s_cselect_b32 s3, s10, s3
	s_add_co_i32 s10, s6, 1
	v_cmp_lt_u32_e64 s2, 4, v2
	s_cmp_ge_u32 s3, s20
	s_cselect_b32 s21, s10, s6
	s_and_saveexec_b32 s3, s2
	s_delay_alu instid0(SALU_CYCLE_1)
	s_xor_b32 s3, exec_lo, s3
	s_cbranch_execz .LBB2_19
; %bb.6:
	s_mov_b32 s6, exec_lo
                                        ; implicit-def: $vgpr4
                                        ; implicit-def: $vgpr0
	v_cmpx_ne_u32_e32 8, v2
	s_xor_b32 s6, exec_lo, s6
	s_cbranch_execz .LBB2_16
; %bb.7:
	s_mov_b32 s10, exec_lo
                                        ; implicit-def: $vgpr4
                                        ; implicit-def: $vgpr0
	v_cmpx_lt_u32_e32 16, v2
	s_xor_b32 s10, exec_lo, s10
	s_cbranch_execz .LBB2_13
; %bb.8:
	v_lshl_add_u32 v0, v12, 1, v12
	s_mul_i32 s11, s21, s5
                                        ; implicit-def: $vgpr4
	s_delay_alu instid0(SALU_CYCLE_1) | instskip(NEXT) | instid1(SALU_CYCLE_1)
	s_ashr_i32 s12, s11, 31
	s_lshr_b32 s12, s12, 27
	s_delay_alu instid0(VALU_DEP_1) | instskip(SKIP_1) | instid1(SALU_CYCLE_1)
	v_ashrrev_i32_e32 v1, 31, v0
	s_add_co_i32 s12, s11, s12
	s_ashr_i32 s12, s12, 5
	s_delay_alu instid0(VALU_DEP_1) | instskip(NEXT) | instid1(VALU_DEP_1)
	v_lshrrev_b32_e32 v1, 27, v1
	v_add_nc_u32_e32 v0, v0, v1
	s_delay_alu instid0(VALU_DEP_1) | instskip(NEXT) | instid1(VALU_DEP_1)
	v_ashrrev_i32_e32 v0, 5, v0
	v_mad_u32 v0, s12, 3, v0
	s_mov_b32 s12, exec_lo
	s_wait_kmcnt 0x0
	global_load_b32 v3, v0, s[8:9] scale_offset
	s_wait_xcnt 0x0
	v_cmpx_ne_u32_e32 20, v2
	s_xor_b32 s12, exec_lo, s12
	s_cbranch_execz .LBB2_10
; %bb.9:
	v_mad_u32_u24 v0, v2, 3, 0xffffffc0
	s_wait_loadcnt 0x0
	s_delay_alu instid0(VALU_DEP_1)
	v_lshrrev_b32_e32 v4, v0, v3
                                        ; implicit-def: $vgpr0
                                        ; implicit-def: $vgpr3
.LBB2_10:
	s_and_not1_saveexec_b32 s12, s12
	s_cbranch_execz .LBB2_12
; %bb.11:
	v_ashrrev_i32_e32 v1, 31, v0
	s_delay_alu instid0(VALU_DEP_1) | instskip(SKIP_3) | instid1(VALU_DEP_1)
	v_lshl_add_u64 v[0:1], v[0:1], 2, s[8:9]
	global_load_b32 v0, v[0:1], off offset:4
	s_wait_loadcnt 0x0
	v_alignbit_b32 v0, v0, v3, 28
	v_and_b32_e32 v4, 0xfff, v0
.LBB2_12:
	s_or_b32 exec_lo, exec_lo, s12
	v_mov_b32_e32 v0, s11
.LBB2_13:
	s_and_not1_saveexec_b32 s10, s10
	s_cbranch_execz .LBB2_15
; %bb.14:
	v_lshl_add_u32 v0, v12, 1, v12
	s_mul_i32 s11, s21, s5
	s_delay_alu instid0(SALU_CYCLE_1) | instskip(NEXT) | instid1(SALU_CYCLE_1)
	s_ashr_i32 s12, s11, 31
	s_lshr_b32 s12, s12, 27
	s_delay_alu instid0(VALU_DEP_1) | instskip(SKIP_1) | instid1(SALU_CYCLE_1)
	v_ashrrev_i32_e32 v1, 31, v0
	s_add_co_i32 s12, s11, s12
	s_ashr_i32 s12, s12, 5
	s_delay_alu instid0(VALU_DEP_1) | instskip(NEXT) | instid1(VALU_DEP_1)
	v_lshrrev_b32_e32 v1, 27, v1
	v_add_nc_u32_e32 v0, v0, v1
	v_mad_u32_u24 v1, v2, 3, 0xffffffe0
	s_delay_alu instid0(VALU_DEP_2) | instskip(NEXT) | instid1(VALU_DEP_1)
	v_ashrrev_i32_e32 v0, 5, v0
	v_mad_u32 v0, s12, 3, v0
	s_wait_kmcnt 0x0
	global_load_b32 v0, v0, s[8:9] scale_offset
	s_wait_loadcnt 0x0
	v_dual_lshrrev_b32 v4, v1, v0 :: v_dual_mov_b32 v0, s11
.LBB2_15:
	s_or_b32 exec_lo, exec_lo, s10
.LBB2_16:
	s_and_not1_saveexec_b32 s6, s6
	s_cbranch_execz .LBB2_18
; %bb.17:
	v_lshl_add_u32 v0, v12, 1, v12
	s_mul_i32 s10, s21, s5
	s_delay_alu instid0(SALU_CYCLE_1) | instskip(NEXT) | instid1(SALU_CYCLE_1)
	s_ashr_i32 s11, s10, 31
	s_lshr_b32 s11, s11, 27
	s_delay_alu instid0(VALU_DEP_1) | instskip(SKIP_1) | instid1(SALU_CYCLE_1)
	v_ashrrev_i32_e32 v1, 31, v0
	s_add_co_i32 s11, s10, s11
	s_ashr_i32 s11, s11, 5
	s_delay_alu instid0(VALU_DEP_1) | instskip(NEXT) | instid1(VALU_DEP_1)
	v_lshrrev_b32_e32 v1, 27, v1
	v_add_nc_u32_e32 v0, v0, v1
	s_delay_alu instid0(VALU_DEP_1) | instskip(NEXT) | instid1(VALU_DEP_1)
	v_ashrrev_i32_e32 v0, 5, v0
	v_mad_u32 v0, s11, 3, v0
	s_delay_alu instid0(VALU_DEP_1) | instskip(SKIP_1) | instid1(VALU_DEP_1)
	v_ashrrev_i32_e32 v1, 31, v0
	s_wait_kmcnt 0x0
	v_lshl_add_u64 v[0:1], v[0:1], 2, s[8:9]
	global_load_b64 v[0:1], v[0:1], off
	s_wait_loadcnt 0x0
	v_perm_b32 v0, v0, v1, 0x2010007
	s_delay_alu instid0(VALU_DEP_1)
	v_and_b32_e32 v4, 0xfff, v0
	v_mov_b32_e32 v0, s10
.LBB2_18:
	s_or_b32 exec_lo, exec_lo, s6
.LBB2_19:
	s_or_saveexec_b32 s3, s3
	s_wait_loadcnt 0x0
	v_lshl_add_u32 v3, v12, 1, v12
	v_mul_u32_u24_e32 v1, 3, v2
	s_delay_alu instid0(VALU_DEP_2)
	v_ashrrev_i32_e32 v5, 31, v3
	scratch_store_b32 off, v1, off offset:28 ; 4-byte Folded Spill
	s_wait_xcnt 0x0
	s_xor_b32 exec_lo, exec_lo, s3
	s_cbranch_execz .LBB2_21
; %bb.20:
	v_lshrrev_b32_e32 v0, 27, v5
	s_mul_i32 s6, s21, s5
	v_mul_u32_u24_e32 v1, 3, v2
	s_ashr_i32 s10, s6, 31
	s_delay_alu instid0(SALU_CYCLE_1) | instskip(SKIP_2) | instid1(SALU_CYCLE_1)
	s_lshr_b32 s10, s10, 27
	v_add_nc_u32_e32 v0, v3, v0
	s_add_co_i32 s10, s6, s10
	s_ashr_i32 s10, s10, 5
	s_delay_alu instid0(VALU_DEP_1) | instskip(NEXT) | instid1(VALU_DEP_1)
	v_ashrrev_i32_e32 v0, 5, v0
	v_mad_u32 v0, s10, 3, v0
	s_wait_kmcnt 0x0
	global_load_b32 v0, v0, s[8:9] scale_offset
	s_wait_loadcnt 0x0
	v_dual_lshrrev_b32 v4, v1, v0 :: v_dual_mov_b32 v0, s6
.LBB2_21:
	s_or_b32 exec_lo, exec_lo, s3
	s_add_co_i32 s3, s18, 0x80
	v_cvt_f64_i32_e32 v[8:9], s4
	v_cvt_f64_u32_e32 v[6:7], s3
	s_delay_alu instid0(VALU_DEP_1) | instskip(NEXT) | instid1(VALU_DEP_1)
	v_min_num_f64_e32 v[6:7], v[6:7], v[8:9]
	v_cvt_i32_f64_e32 v1, v[6:7]
	s_delay_alu instid0(VALU_DEP_1)
	v_cmp_ge_i32_e32 vcc_lo, s18, v1
	scratch_store_b32 off, v1, off offset:16 ; 4-byte Folded Spill
	s_wait_storecnt_dscnt 0x0
	s_barrier_signal -1
	s_barrier_wait -1
	s_cbranch_vccnz .LBB2_46
; %bb.22:
	s_clause 0x2
	s_load_b64 s[10:11], s[0:1], 0x18
	s_load_b64 s[12:13], s[0:1], 0x30
	;; [unrolled: 1-line block ×3, first 2 shown]
	v_bfe_u32 v6, v4, 9, 3
	v_dual_add_nc_u32 v0, v0, v12 :: v_dual_ashrrev_i32 v13, 31, v12
	s_lshr_b32 s6, s18, 5
	s_wait_xcnt 0x0
	v_cmp_ne_u32_e64 s0, 8, v2
	scratch_store_b32 off, v6, off offset:12 ; 4-byte Folded Spill
	s_wait_xcnt 0x0
	v_bfe_u32 v6, v4, 6, 3
	v_dual_ashrrev_i32 v1, 31, v0 :: v_dual_mov_b32 v15, v12
	v_cmp_lt_u32_e64 s1, 16, v2
	v_cmp_ne_u32_e64 s3, 20, v2
	scratch_store_b32 off, v6, off offset:8 ; 4-byte Folded Spill
	s_wait_xcnt 0x0
	v_bfe_u32 v6, v4, 3, 3
	v_and_b32_e32 v4, 7, v4
	s_mul_i32 s6, s6, s5
	s_add_co_i32 s4, s20, s18
	s_mul_i32 s24, s6, 3
	s_clause 0x1
	scratch_store_b32 off, v6, off offset:4
	scratch_store_b32 off, v4, off
	s_wait_xcnt 0x0
	v_lshrrev_b32_e32 v4, 27, v5
	s_wait_kmcnt 0x0
	v_lshl_add_u64 v[0:1], v[0:1], 1, s[10:11]
	v_mad_u32_u24 v5, v2, 3, 0xffffffc0
	v_mad_u32_u24 v2, v2, 3, 0xffffffe0
	s_ashr_i32 s25, s24, 31
	s_mul_i32 s26, s15, s5
	global_load_b64 v[0:1], v[0:1], off
	s_lshl_b64 s[58:59], s[24:25], 2
	scratch_store_b32 off, v2, off offset:32 ; 4-byte Folded Spill
	s_wait_xcnt 0x0
	v_add_nc_u32_e32 v2, v3, v4
	s_bitcmp1_b32 s7, 0
	s_add_nc_u64 s[16:17], s[16:17], s[58:59]
	s_cselect_b32 s6, -1, 0
	s_add_co_i32 s25, s18, 30
	v_ashrrev_i32_e32 v2, 5, v2
	s_xor_b32 s6, s6, -1
	s_add_co_i32 s27, s18, 28
	s_add_co_i32 s28, s18, 29
	;; [unrolled: 1-line block ×29, first 2 shown]
	v_lshl_add_u64 v[16:17], v[12:13], 2, s[16:17]
	s_mov_b32 s14, s5
	s_ashr_i32 s15, s5, 31
	s_lshl_b32 s26, s26, 7
	s_mul_i32 s60, s5, s25
	s_mul_i32 s27, s5, s27
	;; [unrolled: 1-line block ×30, first 2 shown]
	s_mov_b32 s22, s5
	s_mov_b32 s23, 0
	s_lshl_b32 s24, s5, 5
	s_add_co_i32 s25, s26, s56
	s_add_co_i32 s26, s60, s56
	;; [unrolled: 1-line block ×31, first 2 shown]
	s_mov_b32 s16, 0xe400e400
	s_mov_b32 s17, 0x70007
	;; [unrolled: 1-line block ×4, first 2 shown]
	s_wait_loadcnt 0x0
	v_lshrrev_b32_e32 v3, 16, v0
	scratch_store_b32 off, v2, off offset:24 ; 4-byte Folded Spill
	s_wait_xcnt 0x0
	v_cndmask_b32_e64 v2, 0, 1, s6
	scratch_store_b32 off, v5, off offset:36 ; 4-byte Folded Spill
	v_and_b32_e32 v0, 0xffff, v0
	v_mul_u32_u24_e32 v29, 0x10001, v3
	s_mul_u64 s[6:7], s[14:15], 12
	scratch_store_b32 off, v2, off offset:20 ; 4-byte Folded Spill
	s_wait_xcnt 0x0
	v_lshrrev_b32_e32 v2, 16, v1
	v_and_b32_e32 v1, 0xffff, v1
	v_mul_u32_u24_e32 v30, 0x10001, v0
	s_lshl_b64 s[14:15], s[14:15], 2
	s_delay_alu instid0(VALU_DEP_3) | instskip(NEXT) | instid1(VALU_DEP_3)
	v_mul_u32_u24_e32 v13, 0x10001, v2
	v_mul_u32_u24_e32 v28, 0x10001, v1
	s_branch .LBB2_24
.LBB2_23:                               ;   in Loop: Header=BB2_24 Depth=1
	s_wait_xcnt 0x0
	v_mad_u32 v0, v3, s5, v12
	v_dual_lshrrev_b32 v2, 16, v7 :: v_dual_lshrrev_b32 v6, 16, v6
	v_and_b32_e32 v3, 0xffff0000, v5
	v_and_b32_e32 v4, 0xffff0000, v4
	s_add_co_i32 s18, s18, 32
	v_add_nc_u64_e32 v[16:17], s[6:7], v[16:17]
	s_add_co_i32 s26, s26, s24
	s_add_co_i32 s27, s27, s24
	;; [unrolled: 1-line block ×4, first 2 shown]
	v_dual_ashrrev_i32 v1, 31, v0 :: v_dual_bitop2_b32 v3, v3, v2 bitop3:0x54
	v_or_b32_e32 v2, v4, v6
	scratch_load_b32 v4, off, off offset:16 ; 4-byte Folded Reload
	s_add_co_i32 s30, s30, s24
	v_lshl_add_u64 v[0:1], v[0:1], 1, s[12:13]
	s_add_co_i32 s31, s31, s24
	s_add_co_i32 s33, s33, s24
	;; [unrolled: 1-line block ×26, first 2 shown]
	s_addk_co_i32 s23, 0x80
	global_store_b64 v[0:1], v[2:3], off
	s_wait_loadcnt 0x0
	v_cmp_lt_i32_e32 vcc_lo, s18, v4
	s_cbranch_vccz .LBB2_46
.LBB2_24:                               ; =>This Inner Loop Header: Depth=1
	s_cmp_lg_u32 s18, s4
	s_cbranch_scc1 .LBB2_42
; %bb.25:                               ;   in Loop: Header=BB2_24 Depth=1
	scratch_load_b32 v0, off, off offset:24 ; 4-byte Folded Reload
	s_add_co_i32 s21, s21, 1
                                        ; implicit-def: $vgpr2
	s_delay_alu instid0(SALU_CYCLE_1) | instskip(NEXT) | instid1(SALU_CYCLE_1)
	s_mul_i32 s59, s21, s5
	s_ashr_i32 s60, s59, 31
	s_delay_alu instid0(SALU_CYCLE_1) | instskip(NEXT) | instid1(SALU_CYCLE_1)
	s_lshr_b32 s60, s60, 27
	s_add_co_i32 s60, s59, s60
	s_delay_alu instid0(SALU_CYCLE_1)
	s_ashr_i32 s60, s60, 5
	s_wait_loadcnt 0x0
	v_mad_u32 v0, s60, 3, v0
	global_load_b32 v3, v0, s[8:9] scale_offset
	s_wait_xcnt 0x0
	s_and_saveexec_b32 s60, s2
	s_delay_alu instid0(SALU_CYCLE_1)
	s_xor_b32 s60, exec_lo, s60
	s_cbranch_execz .LBB2_39
; %bb.26:                               ;   in Loop: Header=BB2_24 Depth=1
	v_ashrrev_i32_e32 v1, 31, v0
                                        ; implicit-def: $vgpr2
	s_delay_alu instid0(VALU_DEP_1) | instskip(SKIP_1) | instid1(SALU_CYCLE_1)
	v_lshl_add_u64 v[0:1], v[0:1], 2, s[8:9]
	s_and_saveexec_b32 s61, s0
	s_xor_b32 s61, exec_lo, s61
	s_cbranch_execz .LBB2_36
; %bb.27:                               ;   in Loop: Header=BB2_24 Depth=1
                                        ; implicit-def: $vgpr2
	s_and_saveexec_b32 s62, s1
	s_delay_alu instid0(SALU_CYCLE_1)
	s_xor_b32 s62, exec_lo, s62
	s_cbranch_execz .LBB2_33
; %bb.28:                               ;   in Loop: Header=BB2_24 Depth=1
                                        ; implicit-def: $vgpr2
	s_and_saveexec_b32 s63, s3
	s_delay_alu instid0(SALU_CYCLE_1)
	s_xor_b32 s63, exec_lo, s63
	s_cbranch_execz .LBB2_30
; %bb.29:                               ;   in Loop: Header=BB2_24 Depth=1
	scratch_load_b32 v0, off, off offset:36 ; 4-byte Folded Reload
	s_wait_loadcnt 0x0
	v_lshrrev_b32_e32 v2, v0, v3
                                        ; implicit-def: $vgpr0_vgpr1
                                        ; implicit-def: $vgpr3
.LBB2_30:                               ;   in Loop: Header=BB2_24 Depth=1
	s_wait_xcnt 0x0
	s_and_not1_saveexec_b32 s63, s63
	s_cbranch_execz .LBB2_32
; %bb.31:                               ;   in Loop: Header=BB2_24 Depth=1
	global_load_b32 v0, v[0:1], off offset:4
	s_wait_loadcnt 0x0
	v_alignbit_b32 v0, v0, v3, 28
	s_delay_alu instid0(VALU_DEP_1)
	v_and_b32_e32 v2, 0xfff, v0
.LBB2_32:                               ;   in Loop: Header=BB2_24 Depth=1
	s_or_b32 exec_lo, exec_lo, s63
                                        ; implicit-def: $vgpr3
.LBB2_33:                               ;   in Loop: Header=BB2_24 Depth=1
	s_and_not1_saveexec_b32 s62, s62
	s_cbranch_execz .LBB2_35
; %bb.34:                               ;   in Loop: Header=BB2_24 Depth=1
	scratch_load_b32 v0, off, off offset:32 ; 4-byte Folded Reload
	s_wait_loadcnt 0x0
	v_lshrrev_b32_e32 v2, v0, v3
.LBB2_35:                               ;   in Loop: Header=BB2_24 Depth=1
	s_wait_xcnt 0x0
	s_or_b32 exec_lo, exec_lo, s62
                                        ; implicit-def: $vgpr0_vgpr1
                                        ; implicit-def: $vgpr3
.LBB2_36:                               ;   in Loop: Header=BB2_24 Depth=1
	s_and_not1_saveexec_b32 s61, s61
	s_cbranch_execz .LBB2_38
; %bb.37:                               ;   in Loop: Header=BB2_24 Depth=1
	global_load_b32 v0, v[0:1], off offset:4
	s_wait_loadcnt 0x0
	v_perm_b32 v0, v3, v0, 0x2010007
	s_delay_alu instid0(VALU_DEP_1)
	v_and_b32_e32 v2, 0xfff, v0
.LBB2_38:                               ;   in Loop: Header=BB2_24 Depth=1
	s_or_b32 exec_lo, exec_lo, s61
                                        ; implicit-def: $vgpr3
.LBB2_39:                               ;   in Loop: Header=BB2_24 Depth=1
	s_and_not1_saveexec_b32 s60, s60
	s_cbranch_execz .LBB2_41
; %bb.40:                               ;   in Loop: Header=BB2_24 Depth=1
	scratch_load_b32 v0, off, off offset:28 ; 4-byte Folded Reload
	s_wait_loadcnt 0x0
	v_lshrrev_b32_e32 v2, v0, v3
.LBB2_41:                               ;   in Loop: Header=BB2_24 Depth=1
	s_wait_xcnt 0x0
	s_or_b32 exec_lo, exec_lo, s60
	s_wait_loadcnt 0x0
	s_delay_alu instid0(VALU_DEP_1) | instskip(SKIP_1) | instid1(VALU_DEP_1)
	v_dual_add_nc_u32 v0, s59, v12 :: v_dual_bitop2_b32 v3, 7, v2 bitop3:0x40
	s_add_co_i32 s4, s4, s20
	v_ashrrev_i32_e32 v1, 31, v0
	scratch_store_b32 off, v3, off          ; 4-byte Folded Spill
	s_wait_xcnt 0x0
	v_bfe_u32 v3, v2, 3, 3
	v_lshl_add_u64 v[0:1], v[0:1], 1, s[10:11]
	scratch_store_b32 off, v3, off offset:4 ; 4-byte Folded Spill
	s_wait_xcnt 0x0
	v_bfe_u32 v3, v2, 6, 3
	v_bfe_u32 v2, v2, 9, 3
	global_load_b64 v[0:1], v[0:1], off
	s_clause 0x1
	scratch_store_b32 off, v3, off offset:8
	scratch_store_b32 off, v2, off offset:12
	s_wait_loadcnt 0x0
	s_wait_xcnt 0x1
	v_and_b32_e32 v3, 0xffff, v0
	v_lshrrev_b32_e32 v0, 16, v0
	v_and_b32_e32 v4, 0xffff, v1
	v_lshrrev_b32_e32 v1, 16, v1
	s_delay_alu instid0(VALU_DEP_4) | instskip(NEXT) | instid1(VALU_DEP_4)
	v_mul_u32_u24_e32 v30, 0x10001, v3
	v_mul_u32_u24_e32 v29, 0x10001, v0
	s_delay_alu instid0(VALU_DEP_4) | instskip(NEXT) | instid1(VALU_DEP_4)
	v_mul_u32_u24_e32 v28, 0x10001, v4
	v_mul_u32_u24_e32 v13, 0x10001, v1
.LBB2_42:                               ;   in Loop: Header=BB2_24 Depth=1
	s_wait_xcnt 0x0
	v_add_nc_u64_e32 v[0:1], s[14:15], v[16:17]
	global_load_b128 v[8:11], v[16:17], off
	s_and_not1_b32 vcc_lo, exec_lo, s19
	global_load_b128 v[4:7], v[0:1], off
	s_wait_xcnt 0x0
	v_add_nc_u64_e32 v[0:1], s[14:15], v[0:1]
	global_load_b128 v[0:3], v[0:1], off
	s_clause 0x4
	scratch_load_b32 v18, off, off
	scratch_load_b32 v22, off, off offset:20
	scratch_load_b32 v19, off, off offset:4
	;; [unrolled: 1-line block ×4, first 2 shown]
	s_wait_loadcnt 0x7
	v_lshrrev_b32_e32 v27, 6, v10
	v_and_or_b32 v43, v11, s17, 0x64006400
	v_and_or_b32 v44, v11, s57, 0x64006400
	v_dual_lshrrev_b32 v45, 6, v11 :: v_dual_lshrrev_b32 v11, 15, v11
	s_wait_loadcnt 0x6
	v_and_or_b32 v54, v4, s17, 0x64006400
	v_and_or_b32 v55, v4, s57, 0x64006400
	v_dual_lshrrev_b32 v56, 6, v4 :: v_dual_lshrrev_b32 v4, 14, v4
	v_and_or_b32 v57, v5, s17, 0x64006400
	v_and_or_b32 v58, v5, s57, 0x64006400
	v_dual_lshrrev_b32 v59, 6, v5 :: v_dual_lshrrev_b32 v5, 14, v5
	s_wait_loadcnt 0x2
	v_dual_add_nc_u32 v18, v18, v22 :: v_dual_add_nc_u32 v19, v19, v22
	s_wait_loadcnt 0x0
	v_dual_add_nc_u32 v20, v20, v22 :: v_dual_add_nc_u32 v22, v21, v22
	v_and_or_b32 v60, v6, s17, 0x64006400
	s_delay_alu instid0(VALU_DEP_3) | instskip(SKIP_1) | instid1(VALU_DEP_4)
	v_cvt_f32_u32_e32 v23, v18
	v_cvt_f32_u32_e32 v24, v19
	;; [unrolled: 1-line block ×4, first 2 shown]
	v_mad_u32_u24 v31, 0x10001, v18, s16
	v_mad_u32_u24 v32, 0x10001, v19, s16
	;; [unrolled: 1-line block ×3, first 2 shown]
	v_cvt_f16_f32_e32 v18, v23
	v_mad_u32_u24 v34, 0x10001, v22, s16
	v_cvt_f16_f32_e32 v19, v24
	v_cvt_f16_f32_e32 v20, v25
	;; [unrolled: 1-line block ×3, first 2 shown]
	v_sub_f16_e32 v23, 0xd800, v18
	v_sub_f16_e32 v18, 0xcc00, v18
	;; [unrolled: 1-line block ×8, first 2 shown]
	v_and_b32_e32 v23, 0xffff, v23
	v_and_b32_e32 v18, 0xffff, v18
	;; [unrolled: 1-line block ×8, first 2 shown]
	v_mul_u32_u24_e32 v41, 0x10001, v23
	v_mul_u32_u24_e32 v42, 0x10001, v18
	v_mul_u32_u24_e32 v39, 0x10001, v24
	v_mul_u32_u24_e32 v40, 0x10001, v19
	v_mul_u32_u24_e32 v37, 0x10001, v25
	v_mul_u32_u24_e32 v38, 0x10001, v20
	v_mul_u32_u24_e32 v35, 0x10001, v26
	v_mul_u32_u24_e32 v36, 0x10001, v22
	v_and_or_b32 v18, v8, s17, 0x64006400
	v_and_or_b32 v19, v8, s57, 0x64006400
	v_dual_lshrrev_b32 v20, 6, v8 :: v_dual_lshrrev_b32 v8, 15, v8
	v_and_or_b32 v22, v9, s17, 0x64006400
	v_and_or_b32 v23, v9, s57, 0x64006400
	v_dual_lshrrev_b32 v24, 6, v9 :: v_dual_lshrrev_b32 v9, 15, v9
	v_and_or_b32 v25, v10, s17, 0x64006400
	v_and_or_b32 v26, v10, s57, 0x64006400
	v_and_or_b32 v61, v6, s57, 0x64006400
	v_dual_lshrrev_b32 v62, 6, v6 :: v_dual_lshrrev_b32 v6, 14, v6
	v_and_or_b32 v63, v7, s17, 0x64006400
	v_and_or_b32 v64, v7, s57, 0x64006400
	v_dual_lshrrev_b32 v65, 6, v7 :: v_dual_lshrrev_b32 v7, 14, v7
	v_lshrrev_b32_e32 v10, 15, v10
	v_and_or_b32 v46, v20, s57, 0x64006400
	v_pk_fma_f16 v19, 0x3000, v19, v41 op_sel_hi:[0,1,1]
	v_and_or_b32 v47, v20, s58, 0x64006400
	v_pk_fma_f16 v23, 0x3000, v23, v39 op_sel_hi:[0,1,1]
	v_and_or_b32 v48, v24, s57, 0x64006400
	v_and_or_b32 v49, v24, s58, 0x64006400
	v_pk_fma_f16 v26, 0x3000, v26, v37 op_sel_hi:[0,1,1]
	v_and_or_b32 v50, v27, s57, 0x64006400
	;; [unrolled: 3-line block ×3, first 2 shown]
	v_and_or_b32 v53, v45, s58, 0x64006400
	v_and_or_b32 v20, v20, s17, 0x64006400
	v_pk_add_f16 v18, v31, v18
	v_and_or_b32 v24, v24, s17, 0x64006400
	v_pk_add_f16 v22, v32, v22
	;; [unrolled: 2-line block ×4, first 2 shown]
	v_and_b32_e32 v4, 0x20002, v4
	v_and_b32_e32 v5, 0x20002, v5
	v_and_b32_e32 v6, 0x20002, v6
	v_and_b32_e32 v7, 0x20002, v7
	v_and_or_b32 v74, v0, s17, 0x64006400
	v_and_or_b32 v75, v0, s57, 0x64006400
	s_wait_xcnt 0x5
	v_dual_lshrrev_b32 v76, 6, v0 :: v_dual_lshrrev_b32 v0, 13, v0
	v_and_or_b32 v77, v1, s17, 0x64006400
	v_and_or_b32 v78, v1, s57, 0x64006400
	v_dual_lshrrev_b32 v79, 6, v1 :: v_dual_lshrrev_b32 v1, 13, v1
	v_and_or_b32 v80, v2, s17, 0x64006400
	v_and_or_b32 v81, v2, s57, 0x64006400
	;; [unrolled: 3-line block ×3, first 2 shown]
	v_dual_lshrrev_b32 v88, 6, v3 :: v_dual_lshrrev_b32 v3, 13, v3
	v_pk_fma_f16 v50, 0x3000, v50, v37 op_sel_hi:[0,1,1]
	v_pk_fma_f16 v51, 0x2400, v51, v38 op_sel_hi:[0,1,1]
	;; [unrolled: 1-line block ×4, first 2 shown]
	v_pk_add_f16 v20, v31, v20
	v_pk_add_f16 v24, v32, v24
	v_pk_add_f16 v27, v33, v27
	v_pk_add_f16 v45, v34, v45
	v_pk_mul_f16 v18, v30, v18
	v_pk_mul_f16 v22, v29, v22
	;; [unrolled: 1-line block ×8, first 2 shown]
	v_and_or_b32 v66, v56, s57, 0x64006400
	v_pk_fma_f16 v55, 0x3000, v55, v41 op_sel_hi:[0,1,1]
	v_and_or_b32 v67, v56, s58, 0x64006400
	v_and_or_b32 v68, v59, s57, 0x64006400
	v_and_or_b32 v69, v59, s58, 0x64006400
	v_pk_fma_f16 v61, 0x3000, v61, v37 op_sel_hi:[0,1,1]
	v_and_or_b32 v70, v62, s57, 0x64006400
	v_and_or_b32 v71, v62, s58, 0x64006400
	v_pk_fma_f16 v64, 0x3000, v64, v35 op_sel_hi:[0,1,1]
	v_and_or_b32 v72, v65, s57, 0x64006400
	v_and_or_b32 v73, v65, s58, 0x64006400
	;; [unrolled: 1-line block ×3, first 2 shown]
	v_pk_add_f16 v54, v31, v54
	v_and_or_b32 v59, v59, s17, 0x64006400
	v_pk_add_f16 v57, v32, v57
	v_and_or_b32 v62, v62, s17, 0x64006400
	v_pk_add_f16 v60, v33, v60
	v_and_or_b32 v65, v65, s17, 0x64006400
	v_pk_add_f16 v63, v34, v63
	v_and_or_b32 v4, 0x10001, v8, v4
	v_and_or_b32 v5, 0x10001, v9, v5
	v_and_or_b32 v6, 0x10001, v10, v6
	;; [unrolled: 1-line block ×3, first 2 shown]
	v_and_b32_e32 v0, 0x40004, v0
	v_and_b32_e32 v1, 0x40004, v1
	;; [unrolled: 1-line block ×4, first 2 shown]
	v_pk_fma_f16 v46, 0x3000, v46, v41 op_sel_hi:[0,1,1]
	v_pk_fma_f16 v47, 0x2400, v47, v42 op_sel_hi:[0,1,1]
	;; [unrolled: 1-line block ×5, first 2 shown]
	v_pk_mul_f16 v20, v30, v20
	v_pk_mul_f16 v24, v29, v24
	;; [unrolled: 1-line block ×8, first 2 shown]
	v_dual_lshrrev_b32 v84, 16, v25 :: v_dual_lshrrev_b32 v106, 16, v18
	v_and_b32_e32 v123, 0xffff, v25
	v_and_b32_e32 v116, 0xffff, v18
	v_dual_lshlrev_b32 v124, 16, v43 :: v_dual_lshlrev_b32 v120, 16, v22
	v_and_b32_e32 v118, 0xffff0000, v43
	v_and_b32_e32 v113, 0xffff0000, v22
	;; [unrolled: 1-line block ×3, first 2 shown]
	v_dual_lshrrev_b32 v82, 16, v26 :: v_dual_lshrrev_b32 v85, 16, v19
	v_and_b32_e32 v105, 0xffff, v19
	v_dual_lshlrev_b32 v110, 16, v44 :: v_dual_lshlrev_b32 v112, 16, v23
	v_and_b32_e32 v90, 0xffff0000, v44
	v_and_b32_e32 v92, 0xffff0000, v23
	v_pk_fma_f16 v8, 0x3000, v66, v41 op_sel_hi:[0,1,1]
	v_pk_fma_f16 v9, 0x2400, v67, v42 op_sel_hi:[0,1,1]
	;; [unrolled: 1-line block ×8, first 2 shown]
	v_pk_add_f16 v25, v31, v56
	v_pk_add_f16 v26, v32, v59
	;; [unrolled: 1-line block ×4, first 2 shown]
	v_pk_mul_f16 v54, v30, v54
	v_pk_mul_f16 v56, v29, v57
	;; [unrolled: 1-line block ×7, first 2 shown]
	v_and_or_b32 v62, v76, s57, 0x64006400
	v_and_or_b32 v64, v76, s58, 0x64006400
	;; [unrolled: 1-line block ×12, first 2 shown]
	v_or3_b32 v0, v4, v0, 0x64006400
	v_or3_b32 v1, v5, v1, 0x64006400
	;; [unrolled: 1-line block ×4, first 2 shown]
	v_pk_mul_f16 v46, v30, v46
	v_pk_mul_f16 v48, v29, v48
	;; [unrolled: 1-line block ×5, first 2 shown]
	v_pk_fma_f16 v63, 0x3000, v75, v41 op_sel_hi:[0,1,1]
	v_pk_fma_f16 v65, 0x3000, v78, v39 op_sel_hi:[0,1,1]
	;; [unrolled: 1-line block ×4, first 2 shown]
	v_pk_add_f16 v21, v31, v74
	v_pk_add_f16 v70, v32, v77
	;; [unrolled: 1-line block ×4, first 2 shown]
	v_and_b32_e32 v125, 0xffff, v27
	v_dual_lshrrev_b32 v107, 16, v27 :: v_dual_lshrrev_b32 v108, 16, v20
	v_and_b32_e32 v126, 0xffff, v20
	v_dual_lshlrev_b32 v127, 16, v45 :: v_dual_lshlrev_b32 v20, 16, v24
	v_and_b32_e32 v115, 0xffff0000, v24
	v_and_b32_e32 v117, 0xffff, v50
	v_dual_lshrrev_b32 v102, 16, v50 :: v_dual_lshlrev_b32 v121, 16, v52
	v_and_b32_e32 v109, 0xffff0000, v52
	v_and_b32_e32 v79, 0xffff, v51
	v_dual_lshrrev_b32 v77, 16, v51 :: v_dual_lshlrev_b32 v87, 16, v53
	v_and_b32_e32 v81, 0xffff0000, v53
	v_pk_mul_f16 v24, v30, v25
	v_pk_mul_f16 v25, v29, v26
	;; [unrolled: 1-line block ×12, first 2 shown]
	v_and_b32_e32 v91, 0xffff, v57
	v_dual_lshrrev_b32 v51, 16, v57 :: v_dual_lshrrev_b32 v52, 16, v54
	v_and_b32_e32 v94, 0xffff, v54
	v_dual_lshlrev_b32 v96, 16, v59 :: v_dual_lshlrev_b32 v97, 16, v56
	v_and_b32_e32 v75, 0xffff0000, v59
	v_and_b32_e32 v76, 0xffff0000, v56
	v_dual_lshrrev_b32 v57, 16, v60 :: v_dual_lshrrev_b32 v59, 16, v55
	v_and_b32_e32 v50, 0xffff, v55
	v_pk_fma_f16 v4, 0x3000, v62, v41 op_sel_hi:[0,1,1]
	v_pk_fma_f16 v53, 0x2400, v64, v42 op_sel_hi:[0,1,1]
	;; [unrolled: 1-line block ×8, first 2 shown]
	v_pk_add_f16 v35, v31, v103
	v_pk_add_f16 v36, v32, v68
	;; [unrolled: 1-line block ×8, first 2 shown]
	v_and_b32_e32 v114, 0xffff0000, v45
	v_and_b32_e32 v119, 0xffff, v46
	v_dual_lshrrev_b32 v104, 16, v46 :: v_dual_lshlrev_b32 v122, 16, v48
	v_and_b32_e32 v111, 0xffff0000, v48
	v_and_b32_e32 v80, 0xffff, v47
	v_dual_lshrrev_b32 v78, 16, v47 :: v_dual_lshlrev_b32 v89, 16, v49
	v_and_b32_e32 v83, 0xffff0000, v49
	v_and_b32_e32 v49, 0xffff, v60
	v_dual_lshlrev_b32 v73, 16, v61 :: v_dual_lshlrev_b32 v74, 16, v58
	v_and_b32_e32 v60, 0xffff0000, v61
	v_and_b32_e32 v58, 0xffff0000, v58
	v_pk_mul_f16 v45, v30, v21
	v_pk_mul_f16 v46, v29, v70
	;; [unrolled: 1-line block ×8, first 2 shown]
	v_and_b32_e32 v98, 0xffff, v26
	v_dual_lshrrev_b32 v86, 16, v26 :: v_dual_lshrrev_b32 v88, 16, v24
	v_and_b32_e32 v99, 0xffff, v24
	v_dual_lshlrev_b32 v100, 16, v27 :: v_dual_lshlrev_b32 v103, 16, v25
	v_and_b32_e32 v93, 0xffff0000, v27
	v_and_b32_e32 v95, 0xffff0000, v25
	;; [unrolled: 1-line block ×3, first 2 shown]
	v_dual_lshrrev_b32 v62, 16, v18 :: v_dual_lshrrev_b32 v21, 16, v8
	v_and_b32_e32 v65, 0xffff, v8
	v_dual_lshlrev_b32 v67, 16, v22 :: v_dual_lshrrev_b32 v26, 16, v19
	v_and_b32_e32 v66, 0xffff0000, v22
	v_dual_lshlrev_b32 v69, 16, v10 :: v_dual_lshrrev_b32 v18, 16, v9
	v_and_b32_e32 v72, 0xffff0000, v10
	v_and_b32_e32 v71, 0xffff, v19
	v_and_b32_e32 v70, 0xffff, v9
	v_lshlrev_b32_e32 v61, 16, v23
	v_and_b32_e32 v27, 0xffff0000, v23
	v_lshlrev_b32_e32 v63, 16, v11
	v_and_b32_e32 v19, 0xffff0000, v11
	v_pk_mul_f16 v37, v30, v35
	v_pk_mul_f16 v38, v29, v36
	v_pk_mul_f16 v42, v28, v41
	v_pk_mul_f16 v41, v13, v68
	v_pk_mul_f16 v33, v30, v4
	v_pk_mul_f16 v34, v29, v5
	v_pk_mul_f16 v36, v28, v6
	v_pk_mul_f16 v35, v13, v7
	v_pk_mul_f16 v10, v30, v53
	v_pk_mul_f16 v11, v29, v54
	v_pk_mul_f16 v32, v28, v55
	v_pk_mul_f16 v31, v13, v56
	v_pk_mul_f16 v6, v30, v0
	v_pk_mul_f16 v4, v29, v1
	v_pk_mul_f16 v7, v28, v2
	v_pk_mul_f16 v5, v13, v3
	s_cbranch_vccnz .LBB2_44
; %bb.43:                               ;   in Loop: Header=BB2_24 Depth=1
	v_dual_mov_b32 v0, s23 :: v_dual_bitop2_b32 v9, v124, v123 bitop3:0x54
	v_or_b32_e32 v8, v120, v116
	v_lshlrev_b32_e32 v1, 16, v47
	ds_load_b128 v[22:25], v0
	s_wait_dscnt 0x0
	v_mad_u32 v2, v22, s22, v12
	s_delay_alu instid0(VALU_DEP_1) | instskip(NEXT) | instid1(VALU_DEP_1)
	v_ashrrev_i32_e32 v3, 31, v2
	v_lshl_add_u64 v[2:3], v[2:3], 1, s[12:13]
	global_store_b64 v[2:3], v[8:9], off
	s_wait_xcnt 0x0
	v_mad_u32 v2, v23, s5, v15
	v_or_b32_e32 v9, v118, v84
	v_or_b32_e32 v8, v113, v106
	s_delay_alu instid0(VALU_DEP_3) | instskip(NEXT) | instid1(VALU_DEP_1)
	v_ashrrev_i32_e32 v3, 31, v2
	v_lshl_add_u64 v[2:3], v[2:3], 1, s[12:13]
	global_store_b64 v[2:3], v[8:9], off
	s_wait_xcnt 0x0
	v_mad_u32 v2, v24, s22, v12
	v_or_b32_e32 v9, v110, v101
	s_delay_alu instid0(VALU_DEP_2) | instskip(NEXT) | instid1(VALU_DEP_1)
	v_dual_ashrrev_i32 v3, 31, v2 :: v_dual_bitop2_b32 v8, v112, v105 bitop3:0x54
	v_lshl_add_u64 v[2:3], v[2:3], 1, s[12:13]
	global_store_b64 v[2:3], v[8:9], off
	s_wait_xcnt 0x0
	v_mad_u32 v2, v25, s5, v15
	ds_load_b128 v[22:25], v0 offset:16
	v_or_b32_e32 v9, v90, v82
	v_dual_ashrrev_i32 v3, 31, v2 :: v_dual_bitop2_b32 v8, v92, v85 bitop3:0x54
	s_delay_alu instid0(VALU_DEP_1)
	v_lshl_add_u64 v[2:3], v[2:3], 1, s[12:13]
	global_store_b64 v[2:3], v[8:9], off
	s_wait_dscnt 0x0
	s_wait_xcnt 0x0
	v_mad_u32 v2, v22, s22, v12
	v_or_b32_e32 v9, v127, v125
	v_or_b32_e32 v8, v20, v126
	s_delay_alu instid0(VALU_DEP_3) | instskip(NEXT) | instid1(VALU_DEP_1)
	v_ashrrev_i32_e32 v3, 31, v2
	v_lshl_add_u64 v[2:3], v[2:3], 1, s[12:13]
	global_store_b64 v[2:3], v[8:9], off
	s_wait_xcnt 0x0
	v_mad_u32 v2, v23, s5, v15
	v_or_b32_e32 v9, v114, v107
	s_delay_alu instid0(VALU_DEP_2) | instskip(NEXT) | instid1(VALU_DEP_1)
	v_dual_ashrrev_i32 v3, 31, v2 :: v_dual_bitop2_b32 v8, v115, v108 bitop3:0x54
	v_lshl_add_u64 v[2:3], v[2:3], 1, s[12:13]
	global_store_b64 v[2:3], v[8:9], off
	s_wait_xcnt 0x0
	v_mad_u32 v2, v24, s22, v12
	v_or_b32_e32 v9, v121, v117
	s_delay_alu instid0(VALU_DEP_2) | instskip(NEXT) | instid1(VALU_DEP_1)
	v_dual_ashrrev_i32 v3, 31, v2 :: v_dual_bitop2_b32 v8, v122, v119 bitop3:0x54
	v_lshl_add_u64 v[2:3], v[2:3], 1, s[12:13]
	global_store_b64 v[2:3], v[8:9], off
	s_wait_xcnt 0x0
	v_mad_u32 v2, v25, s5, v15
	ds_load_b128 v[22:25], v0 offset:32
	v_or_b32_e32 v9, v109, v102
	v_dual_ashrrev_i32 v3, 31, v2 :: v_dual_bitop2_b32 v8, v111, v104 bitop3:0x54
	s_delay_alu instid0(VALU_DEP_1)
	v_lshl_add_u64 v[2:3], v[2:3], 1, s[12:13]
	global_store_b64 v[2:3], v[8:9], off
	s_wait_dscnt 0x0
	s_wait_xcnt 0x0
	v_mad_u32 v2, v22, s22, v12
	v_or_b32_e32 v9, v87, v79
	s_delay_alu instid0(VALU_DEP_2) | instskip(NEXT) | instid1(VALU_DEP_1)
	v_dual_ashrrev_i32 v3, 31, v2 :: v_dual_bitop2_b32 v8, v89, v80 bitop3:0x54
	v_lshl_add_u64 v[2:3], v[2:3], 1, s[12:13]
	global_store_b64 v[2:3], v[8:9], off
	s_wait_xcnt 0x0
	v_mad_u32 v2, v23, s5, v15
	v_or_b32_e32 v9, v81, v77
	v_or_b32_e32 v8, v83, v78
	s_delay_alu instid0(VALU_DEP_3) | instskip(NEXT) | instid1(VALU_DEP_1)
	v_ashrrev_i32_e32 v3, 31, v2
	v_lshl_add_u64 v[2:3], v[2:3], 1, s[12:13]
	global_store_b64 v[2:3], v[8:9], off
	s_wait_xcnt 0x0
	v_mad_u32 v2, v24, s22, v12
	v_or_b32_e32 v9, v96, v91
	v_or_b32_e32 v8, v97, v94
	s_delay_alu instid0(VALU_DEP_3) | instskip(NEXT) | instid1(VALU_DEP_1)
	v_ashrrev_i32_e32 v3, 31, v2
	v_lshl_add_u64 v[2:3], v[2:3], 1, s[12:13]
	global_store_b64 v[2:3], v[8:9], off
	s_wait_xcnt 0x0
	v_mad_u32 v2, v25, s5, v15
	ds_load_b128 v[22:25], v0 offset:48
	v_or_b32_e32 v9, v75, v51
	v_dual_ashrrev_i32 v3, 31, v2 :: v_dual_bitop2_b32 v8, v76, v52 bitop3:0x54
	s_delay_alu instid0(VALU_DEP_1)
	v_lshl_add_u64 v[2:3], v[2:3], 1, s[12:13]
	global_store_b64 v[2:3], v[8:9], off
	s_wait_dscnt 0x0
	s_wait_xcnt 0x0
	v_mad_u32 v2, v22, s22, v12
	v_or_b32_e32 v9, v73, v49
	v_or_b32_e32 v8, v74, v50
	s_delay_alu instid0(VALU_DEP_3) | instskip(NEXT) | instid1(VALU_DEP_1)
	v_ashrrev_i32_e32 v3, 31, v2
	v_lshl_add_u64 v[2:3], v[2:3], 1, s[12:13]
	global_store_b64 v[2:3], v[8:9], off
	s_wait_xcnt 0x0
	v_mad_u32 v2, v23, s5, v15
	v_or_b32_e32 v9, v60, v57
	s_delay_alu instid0(VALU_DEP_2) | instskip(NEXT) | instid1(VALU_DEP_1)
	v_dual_ashrrev_i32 v3, 31, v2 :: v_dual_bitop2_b32 v8, v58, v59 bitop3:0x54
	v_lshl_add_u64 v[2:3], v[2:3], 1, s[12:13]
	global_store_b64 v[2:3], v[8:9], off
	s_wait_xcnt 0x0
	v_mad_u32 v2, v24, s22, v12
	v_or_b32_e32 v9, v100, v98
	s_delay_alu instid0(VALU_DEP_2) | instskip(NEXT) | instid1(VALU_DEP_1)
	v_dual_ashrrev_i32 v3, 31, v2 :: v_dual_bitop2_b32 v8, v103, v99 bitop3:0x54
	v_lshl_add_u64 v[2:3], v[2:3], 1, s[12:13]
	global_store_b64 v[2:3], v[8:9], off
	s_wait_xcnt 0x0
	v_mad_u32 v2, v25, s5, v15
	ds_load_b128 v[22:25], v0 offset:64
	v_or_b32_e32 v9, v93, v86
	v_dual_ashrrev_i32 v3, 31, v2 :: v_dual_bitop2_b32 v8, v95, v88 bitop3:0x54
	s_delay_alu instid0(VALU_DEP_1)
	v_lshl_add_u64 v[2:3], v[2:3], 1, s[12:13]
	global_store_b64 v[2:3], v[8:9], off
	s_wait_dscnt 0x0
	s_wait_xcnt 0x0
	v_mad_u32 v2, v22, s22, v12
	v_or_b32_e32 v9, v67, v64
	s_delay_alu instid0(VALU_DEP_2) | instskip(NEXT) | instid1(VALU_DEP_1)
	v_dual_ashrrev_i32 v3, 31, v2 :: v_dual_bitop2_b32 v8, v69, v65 bitop3:0x54
	v_lshl_add_u64 v[2:3], v[2:3], 1, s[12:13]
	global_store_b64 v[2:3], v[8:9], off
	s_wait_xcnt 0x0
	v_mad_u32 v2, v23, s5, v15
	v_or_b32_e32 v9, v66, v62
	s_delay_alu instid0(VALU_DEP_2) | instskip(NEXT) | instid1(VALU_DEP_1)
	v_dual_ashrrev_i32 v3, 31, v2 :: v_dual_bitop2_b32 v8, v72, v21 bitop3:0x54
	v_lshl_add_u64 v[2:3], v[2:3], 1, s[12:13]
	global_store_b64 v[2:3], v[8:9], off
	s_wait_xcnt 0x0
	v_mad_u32 v2, v24, s22, v12
	v_or_b32_e32 v9, v61, v71
	v_or_b32_e32 v8, v63, v70
	s_delay_alu instid0(VALU_DEP_3) | instskip(NEXT) | instid1(VALU_DEP_1)
	v_ashrrev_i32_e32 v3, 31, v2
	v_lshl_add_u64 v[2:3], v[2:3], 1, s[12:13]
	global_store_b64 v[2:3], v[8:9], off
	s_wait_xcnt 0x0
	v_mad_u32 v2, v25, s5, v15
	ds_load_b128 v[22:25], v0 offset:80
	v_or_b32_e32 v9, v27, v26
	v_or_b32_e32 v8, v19, v18
	v_ashrrev_i32_e32 v3, 31, v2
	s_delay_alu instid0(VALU_DEP_1)
	v_lshl_add_u64 v[2:3], v[2:3], 1, s[12:13]
	global_store_b64 v[2:3], v[8:9], off
	s_wait_xcnt 0x0
	v_lshlrev_b32_e32 v2, 16, v46
	v_and_b32_e32 v8, 0xffff, v45
	v_and_b32_e32 v3, 0xffff, v48
	s_delay_alu instid0(VALU_DEP_2) | instskip(SKIP_2) | instid1(VALU_DEP_3)
	v_or_b32_e32 v2, v2, v8
	s_wait_dscnt 0x0
	v_mad_u32 v8, v22, s22, v12
	v_dual_lshrrev_b32 v1, 16, v48 :: v_dual_bitop2_b32 v3, v1, v3 bitop3:0x54
	s_delay_alu instid0(VALU_DEP_2) | instskip(NEXT) | instid1(VALU_DEP_1)
	v_ashrrev_i32_e32 v9, 31, v8
	v_lshl_add_u64 v[8:9], v[8:9], 1, s[12:13]
	global_store_b64 v[8:9], v[2:3], off
	s_wait_xcnt 0x0
	v_mad_u32 v8, v23, s5, v15
	v_and_b32_e32 v2, 0xffff0000, v47
	s_delay_alu instid0(VALU_DEP_1) | instskip(SKIP_2) | instid1(VALU_DEP_1)
	v_or_b32_e32 v3, v2, v1
	v_lshrrev_b32_e32 v1, 16, v45
	v_and_b32_e32 v2, 0xffff0000, v46
	v_dual_ashrrev_i32 v9, 31, v8 :: v_dual_bitop2_b32 v2, v2, v1 bitop3:0x54
	v_lshlrev_b32_e32 v1, 16, v43
	s_delay_alu instid0(VALU_DEP_2) | instskip(SKIP_4) | instid1(VALU_DEP_1)
	v_lshl_add_u64 v[8:9], v[8:9], 1, s[12:13]
	global_store_b64 v[8:9], v[2:3], off
	s_wait_xcnt 0x0
	v_mad_u32 v8, v24, s22, v12
	v_and_b32_e32 v2, 0xffff, v44
	v_dual_lshlrev_b32 v1, 16, v40 :: v_dual_bitop2_b32 v3, v1, v2 bitop3:0x54
	v_and_b32_e32 v2, 0xffff, v39
	s_delay_alu instid0(VALU_DEP_1) | instskip(SKIP_1) | instid1(VALU_DEP_2)
	v_dual_ashrrev_i32 v9, 31, v8 :: v_dual_bitop2_b32 v2, v1, v2 bitop3:0x54
	v_lshrrev_b32_e32 v1, 16, v44
	v_lshl_add_u64 v[8:9], v[8:9], 1, s[12:13]
	global_store_b64 v[8:9], v[2:3], off
	s_wait_xcnt 0x0
	v_mad_u32 v2, v25, s5, v15
	v_and_b32_e32 v3, 0xffff0000, v43
	ds_load_b128 v[22:25], v0 offset:96
	v_dual_lshrrev_b32 v1, 16, v39 :: v_dual_bitop2_b32 v9, v3, v1 bitop3:0x54
	v_and_b32_e32 v3, 0xffff0000, v40
	s_delay_alu instid0(VALU_DEP_1) | instskip(SKIP_1) | instid1(VALU_DEP_2)
	v_dual_ashrrev_i32 v3, 31, v2 :: v_dual_bitop2_b32 v8, v3, v1 bitop3:0x54
	v_lshlrev_b32_e32 v1, 16, v41
	v_lshl_add_u64 v[2:3], v[2:3], 1, s[12:13]
	global_store_b64 v[2:3], v[8:9], off
	s_wait_xcnt 0x0
	v_lshlrev_b32_e32 v2, 16, v38
	v_and_b32_e32 v8, 0xffff, v37
	v_and_b32_e32 v3, 0xffff, v42
	s_delay_alu instid0(VALU_DEP_2) | instskip(SKIP_2) | instid1(VALU_DEP_3)
	v_or_b32_e32 v2, v2, v8
	s_wait_dscnt 0x0
	v_mad_u32 v8, v22, s22, v12
	v_dual_lshrrev_b32 v1, 16, v42 :: v_dual_bitop2_b32 v3, v1, v3 bitop3:0x54
	s_delay_alu instid0(VALU_DEP_2) | instskip(NEXT) | instid1(VALU_DEP_1)
	v_ashrrev_i32_e32 v9, 31, v8
	v_lshl_add_u64 v[8:9], v[8:9], 1, s[12:13]
	global_store_b64 v[8:9], v[2:3], off
	s_wait_xcnt 0x0
	v_mad_u32 v8, v23, s5, v15
	v_and_b32_e32 v2, 0xffff0000, v41
	s_delay_alu instid0(VALU_DEP_1) | instskip(SKIP_2) | instid1(VALU_DEP_1)
	v_or_b32_e32 v3, v2, v1
	v_lshrrev_b32_e32 v1, 16, v37
	v_and_b32_e32 v2, 0xffff0000, v38
	v_dual_ashrrev_i32 v9, 31, v8 :: v_dual_bitop2_b32 v2, v2, v1 bitop3:0x54
	v_lshlrev_b32_e32 v1, 16, v35
	s_delay_alu instid0(VALU_DEP_2) | instskip(SKIP_4) | instid1(VALU_DEP_1)
	v_lshl_add_u64 v[8:9], v[8:9], 1, s[12:13]
	global_store_b64 v[8:9], v[2:3], off
	s_wait_xcnt 0x0
	v_mad_u32 v8, v24, s22, v12
	v_and_b32_e32 v2, 0xffff, v36
	v_or_b32_e32 v3, v1, v2
	v_lshlrev_b32_e32 v1, 16, v34
	v_and_b32_e32 v2, 0xffff, v33
	s_delay_alu instid0(VALU_DEP_1) | instskip(SKIP_1) | instid1(VALU_DEP_2)
	v_dual_ashrrev_i32 v9, 31, v8 :: v_dual_bitop2_b32 v2, v1, v2 bitop3:0x54
	v_lshrrev_b32_e32 v1, 16, v36
	v_lshl_add_u64 v[8:9], v[8:9], 1, s[12:13]
	global_store_b64 v[8:9], v[2:3], off
	s_wait_xcnt 0x0
	v_mad_u32 v2, v25, s5, v15
	v_and_b32_e32 v3, 0xffff0000, v35
	s_delay_alu instid0(VALU_DEP_1) | instskip(SKIP_2) | instid1(VALU_DEP_1)
	v_or_b32_e32 v9, v3, v1
	v_lshrrev_b32_e32 v1, 16, v33
	v_and_b32_e32 v3, 0xffff0000, v34
	v_dual_ashrrev_i32 v3, 31, v2 :: v_dual_bitop2_b32 v8, v3, v1 bitop3:0x54
	v_lshlrev_b32_e32 v1, 16, v31
	s_delay_alu instid0(VALU_DEP_2)
	v_lshl_add_u64 v[2:3], v[2:3], 1, s[12:13]
	global_store_b64 v[2:3], v[8:9], off
	s_wait_xcnt 0x0
	v_lshlrev_b32_e32 v2, 16, v11
	v_and_b32_e32 v3, 0xffff, v32
	v_and_b32_e32 v8, 0xffff, v10
	s_delay_alu instid0(VALU_DEP_2) | instskip(NEXT) | instid1(VALU_DEP_2)
	v_or_b32_e32 v9, v1, v3
	v_or_b32_e32 v8, v2, v8
	ds_load_b128 v[0:3], v0 offset:112
	s_wait_dscnt 0x0
	v_mad_u32 v22, v0, s22, v12
	s_delay_alu instid0(VALU_DEP_1) | instskip(NEXT) | instid1(VALU_DEP_1)
	v_dual_lshrrev_b32 v0, 16, v32 :: v_dual_ashrrev_i32 v23, 31, v22
	v_lshl_add_u64 v[22:23], v[22:23], 1, s[12:13]
	global_store_b64 v[22:23], v[8:9], off
	s_wait_xcnt 0x0
	v_and_b32_e32 v8, 0xffff0000, v31
	s_delay_alu instid0(VALU_DEP_1) | instskip(SKIP_1) | instid1(VALU_DEP_1)
	v_dual_lshrrev_b32 v0, 16, v10 :: v_dual_bitop2_b32 v9, v8, v0 bitop3:0x54
	v_and_b32_e32 v8, 0xffff0000, v11
	v_or_b32_e32 v8, v8, v0
	v_mad_u32 v0, v1, s5, v15
	s_delay_alu instid0(VALU_DEP_1) | instskip(NEXT) | instid1(VALU_DEP_1)
	v_ashrrev_i32_e32 v1, 31, v0
	v_lshl_add_u64 v[0:1], v[0:1], 1, s[12:13]
	global_store_b64 v[0:1], v[8:9], off
	s_wait_xcnt 0x0
	v_lshlrev_b32_e32 v0, 16, v5
	v_and_b32_e32 v1, 0xffff, v7
	v_and_b32_e32 v8, 0xffff, v6
	s_delay_alu instid0(VALU_DEP_2) | instskip(NEXT) | instid1(VALU_DEP_1)
	v_dual_lshlrev_b32 v0, 16, v4 :: v_dual_bitop2_b32 v1, v0, v1 bitop3:0x54
	v_or_b32_e32 v0, v0, v8
	v_mad_u32 v8, v2, s5, v12
	s_delay_alu instid0(VALU_DEP_1) | instskip(NEXT) | instid1(VALU_DEP_1)
	v_ashrrev_i32_e32 v9, 31, v8
	v_lshl_add_u64 v[8:9], v[8:9], 1, s[12:13]
	global_store_b64 v[8:9], v[0:1], off
	s_cbranch_execnz .LBB2_23
	s_branch .LBB2_45
.LBB2_44:                               ;   in Loop: Header=BB2_24 Depth=1
                                        ; implicit-def: $vgpr3
.LBB2_45:                               ;   in Loop: Header=BB2_24 Depth=1
	s_wait_xcnt 0x0
	v_dual_add_nc_u32 v0, s25, v14 :: v_dual_add_nc_u32 v2, s56, v14
	v_dual_add_nc_u32 v22, s54, v14 :: v_dual_bitop2_b32 v9, v124, v123 bitop3:0x54
	v_or_b32_e32 v25, v118, v84
	s_delay_alu instid0(VALU_DEP_3) | instskip(SKIP_3) | instid1(VALU_DEP_4)
	v_dual_ashrrev_i32 v1, 31, v0 :: v_dual_ashrrev_i32 v3, 31, v2
	v_dual_mov_b32 v53, v18 :: v_dual_bitop2_b32 v24, v113, v106 bitop3:0x54
	v_dual_add_nc_u32 v18, s55, v14 :: v_dual_bitop2_b32 v8, v120, v116 bitop3:0x54
	v_ashrrev_i32_e32 v23, 31, v22
	v_lshl_add_u64 v[0:1], v[0:1], 1, s[12:13]
	s_delay_alu instid0(VALU_DEP_3) | instskip(SKIP_1) | instid1(VALU_DEP_4)
	v_dual_mov_b32 v54, v19 :: v_dual_ashrrev_i32 v19, 31, v18
	v_lshl_add_u64 v[2:3], v[2:3], 1, s[12:13]
	v_lshl_add_u64 v[22:23], v[22:23], 1, s[12:13]
	v_or_b32_e32 v113, v110, v101
	v_dual_mov_b32 v55, v26 :: v_dual_bitop2_b32 v112, v112, v105 bitop3:0x54
	v_add_nc_u32_e32 v26, s52, v14
	s_clause 0x2
	global_store_b64 v[0:1], v[8:9], off
	global_store_b64 v[2:3], v[24:25], off
	;; [unrolled: 1-line block ×3, first 2 shown]
	s_wait_xcnt 0x2
	v_lshl_add_u64 v[0:1], v[18:19], 1, s[12:13]
	s_wait_xcnt 0x1
	v_dual_add_nc_u32 v8, s53, v14 :: v_dual_bitop2_b32 v2, v92, v85 bitop3:0x54
	v_dual_mov_b32 v56, v27 :: v_dual_bitop2_b32 v3, v90, v82 bitop3:0x54
	s_wait_xcnt 0x0
	v_dual_ashrrev_i32 v27, 31, v26 :: v_dual_bitop2_b32 v23, v127, v125 bitop3:0x54
	s_delay_alu instid0(VALU_DEP_3)
	v_dual_add_nc_u32 v24, s50, v14 :: v_dual_ashrrev_i32 v9, 31, v8
	global_store_b64 v[0:1], v[2:3], off
	s_wait_xcnt 0x0
	v_add_nc_u32_e32 v0, s51, v14
	v_lshl_add_u64 v[18:19], v[26:27], 1, s[12:13]
	v_dual_ashrrev_i32 v25, 31, v24 :: v_dual_bitop2_b32 v22, v20, v126 bitop3:0x54
	v_lshl_add_u64 v[2:3], v[8:9], 1, s[12:13]
	s_delay_alu instid0(VALU_DEP_4)
	v_dual_ashrrev_i32 v1, 31, v0 :: v_dual_bitop2_b32 v9, v114, v107 bitop3:0x54
	global_store_b64 v[18:19], v[22:23], off
	v_or_b32_e32 v8, v115, v108
	s_wait_xcnt 0x0
	v_lshl_add_u64 v[18:19], v[24:25], 1, s[12:13]
	v_dual_add_nc_u32 v24, s48, v14 :: v_dual_bitop2_b32 v23, v121, v117 bitop3:0x54
	v_or_b32_e32 v22, v122, v119
	v_lshl_add_u64 v[0:1], v[0:1], 1, s[12:13]
	s_delay_alu instid0(VALU_DEP_3)
	v_dual_ashrrev_i32 v25, 31, v24 :: v_dual_bitop2_b32 v27, v109, v102 bitop3:0x54
	v_or_b32_e32 v26, v111, v104
	global_store_b64 v[2:3], v[8:9], off
	s_wait_xcnt 0x0
	v_add_nc_u32_e32 v2, s49, v14
	s_clause 0x1
	global_store_b64 v[18:19], v[22:23], off
	global_store_b64 v[0:1], v[26:27], off
	s_wait_xcnt 0x0
	v_add_nc_u32_e32 v0, s46, v14
	v_lshl_add_u64 v[8:9], v[24:25], 1, s[12:13]
	v_dual_add_nc_u32 v24, s47, v14 :: v_dual_bitop2_b32 v18, v89, v80 bitop3:0x54
	v_dual_ashrrev_i32 v3, 31, v2 :: v_dual_bitop2_b32 v19, v87, v79 bitop3:0x54
	s_delay_alu instid0(VALU_DEP_4) | instskip(NEXT) | instid1(VALU_DEP_3)
	v_dual_ashrrev_i32 v1, 31, v0 :: v_dual_bitop2_b32 v23, v81, v77 bitop3:0x54
	v_dual_ashrrev_i32 v25, 31, v24 :: v_dual_bitop2_b32 v22, v83, v78 bitop3:0x54
	v_dual_add_nc_u32 v78, s44, v14 :: v_dual_bitop2_b32 v27, v96, v91 bitop3:0x54
	s_delay_alu instid0(VALU_DEP_4) | instskip(NEXT) | instid1(VALU_DEP_4)
	v_lshl_add_u64 v[2:3], v[2:3], 1, s[12:13]
	v_lshl_add_u64 v[0:1], v[0:1], 1, s[12:13]
	v_or_b32_e32 v26, v97, v94
	s_clause 0x2
	global_store_b64 v[8:9], v[18:19], off
	global_store_b64 v[2:3], v[22:23], off
	global_store_b64 v[0:1], v[26:27], off
	s_wait_xcnt 0x1
	v_dual_ashrrev_i32 v79, 31, v78 :: v_dual_bitop2_b32 v3, v75, v51 bitop3:0x54
	s_wait_xcnt 0x0
	v_lshl_add_u64 v[0:1], v[24:25], 1, s[12:13]
	v_dual_add_nc_u32 v8, s45, v14 :: v_dual_bitop2_b32 v2, v76, v52 bitop3:0x54
	v_dual_add_nc_u32 v24, s42, v14 :: v_dual_bitop2_b32 v23, v73, v49 bitop3:0x54
	v_lshl_add_u64 v[18:19], v[78:79], 1, s[12:13]
	global_store_b64 v[0:1], v[2:3], off
	s_wait_xcnt 0x0
	v_dual_ashrrev_i32 v9, 31, v8 :: v_dual_add_nc_u32 v0, s43, v14
	v_dual_ashrrev_i32 v25, 31, v24 :: v_dual_bitop2_b32 v22, v74, v50 bitop3:0x54
	v_or_b32_e32 v27, v93, v86
	s_delay_alu instid0(VALU_DEP_3) | instskip(NEXT) | instid1(VALU_DEP_4)
	v_lshl_add_u64 v[2:3], v[8:9], 1, s[12:13]
	v_dual_ashrrev_i32 v1, 31, v0 :: v_dual_bitop2_b32 v9, v60, v57 bitop3:0x54
	v_or_b32_e32 v8, v58, v59
	global_store_b64 v[18:19], v[22:23], off
	s_wait_xcnt 0x0
	v_lshl_add_u64 v[18:19], v[24:25], 1, s[12:13]
	v_dual_add_nc_u32 v24, s40, v14 :: v_dual_bitop2_b32 v22, v103, v99 bitop3:0x54
	v_or_b32_e32 v23, v100, v98
	v_lshl_add_u64 v[0:1], v[0:1], 1, s[12:13]
	v_or_b32_e32 v26, v95, v88
	global_store_b64 v[2:3], v[8:9], off
	s_wait_xcnt 0x0
	v_dual_add_nc_u32 v2, s41, v14 :: v_dual_ashrrev_i32 v25, 31, v24
	s_clause 0x1
	global_store_b64 v[18:19], v[22:23], off
	global_store_b64 v[0:1], v[26:27], off
	s_wait_xcnt 0x0
	v_dual_add_nc_u32 v0, s38, v14 :: v_dual_bitop2_b32 v19, v67, v64 bitop3:0x54
	v_dual_ashrrev_i32 v3, 31, v2 :: v_dual_bitop2_b32 v18, v69, v65 bitop3:0x54
	v_lshl_add_u64 v[8:9], v[24:25], 1, s[12:13]
	v_dual_add_nc_u32 v24, s39, v14 :: v_dual_bitop2_b32 v22, v72, v21 bitop3:0x54
	s_delay_alu instid0(VALU_DEP_4) | instskip(NEXT) | instid1(VALU_DEP_4)
	v_ashrrev_i32_e32 v1, 31, v0
	v_lshl_add_u64 v[2:3], v[2:3], 1, s[12:13]
	s_delay_alu instid0(VALU_DEP_3)
	v_dual_ashrrev_i32 v25, 31, v24 :: v_dual_bitop2_b32 v23, v66, v62 bitop3:0x54
	v_or_b32_e32 v27, v61, v71
	global_store_b64 v[8:9], v[18:19], off
	s_wait_xcnt 0x0
	v_add_nc_u32_e32 v8, s36, v14
	v_lshl_add_u64 v[0:1], v[0:1], 1, s[12:13]
	v_dual_lshlrev_b32 v19, 16, v47 :: v_dual_bitop2_b32 v26, v63, v70 bitop3:0x54
	s_delay_alu instid0(VALU_DEP_3)
	v_dual_add_nc_u32 v18, s37, v14 :: v_dual_ashrrev_i32 v9, 31, v8
	s_clause 0x1
	global_store_b64 v[2:3], v[22:23], off
	global_store_b64 v[0:1], v[26:27], off
	s_wait_xcnt 0x0
	v_lshl_add_u64 v[0:1], v[24:25], 1, s[12:13]
	v_dual_lshlrev_b32 v20, 16, v46 :: v_dual_bitop2_b32 v3, v56, v55 bitop3:0x54
	v_and_b32_e32 v22, 0xffff, v48
	v_and_b32_e32 v24, 0xffff, v45
	;; [unrolled: 1-line block ×3, first 2 shown]
	v_or_b32_e32 v2, v54, v53
	v_and_b32_e32 v49, 0xffff, v39
	v_or_b32_e32 v23, v19, v22
	v_dual_add_nc_u32 v24, s34, v14 :: v_dual_bitop2_b32 v22, v20, v24 bitop3:0x54
	v_dual_lshrrev_b32 v20, 16, v48 :: v_dual_ashrrev_i32 v19, 31, v18
	v_lshrrev_b32_e32 v26, 16, v45
	v_and_b32_e32 v45, 0xffff0000, v46
	s_delay_alu instid0(VALU_DEP_4) | instskip(NEXT) | instid1(VALU_DEP_4)
	v_ashrrev_i32_e32 v25, 31, v24
	v_dual_lshlrev_b32 v20, 16, v43 :: v_dual_bitop2_b32 v27, v21, v20 bitop3:0x54
	v_and_b32_e32 v21, 0xffff, v44
	s_delay_alu instid0(VALU_DEP_4)
	v_dual_lshlrev_b32 v46, 16, v40 :: v_dual_bitop2_b32 v26, v45, v26 bitop3:0x54
	v_lshl_add_u64 v[8:9], v[8:9], 1, s[12:13]
	v_lshl_add_u64 v[18:19], v[18:19], 1, s[12:13]
	;; [unrolled: 1-line block ×3, first 2 shown]
	v_dual_add_nc_u32 v48, s35, v14 :: v_dual_bitop2_b32 v47, v20, v21 bitop3:0x54
	v_or_b32_e32 v46, v46, v49
	s_clause 0x2
	global_store_b64 v[0:1], v[2:3], off
	global_store_b64 v[8:9], v[22:23], off
	;; [unrolled: 1-line block ×3, first 2 shown]
	s_wait_xcnt 0x2
	v_dual_lshrrev_b32 v1, 16, v44 :: v_dual_add_nc_u32 v0, s31, v14
	s_wait_xcnt 0x1
	v_and_b32_e32 v8, 0xffff0000, v43
	v_ashrrev_i32_e32 v49, 31, v48
	global_store_b64 v[24:25], v[46:47], off
	s_wait_xcnt 0x1
	v_lshrrev_b32_e32 v19, 16, v39
	v_and_b32_e32 v20, 0xffff0000, v40
	v_dual_ashrrev_i32 v1, 31, v0 :: v_dual_bitop2_b32 v9, v8, v1 bitop3:0x54
	v_dual_lshlrev_b32 v21, 16, v41 :: v_dual_lshlrev_b32 v22, 16, v38
	s_delay_alu instid0(VALU_DEP_3)
	v_or_b32_e32 v8, v20, v19
	v_and_b32_e32 v23, 0xffff, v42
	v_add_nc_u32_e32 v18, s33, v14
	s_wait_xcnt 0x0
	v_and_b32_e32 v24, 0xffff, v37
	v_dual_lshrrev_b32 v20, 16, v42 :: v_dual_lshrrev_b32 v26, 16, v37
	s_delay_alu instid0(VALU_DEP_3) | instskip(NEXT) | instid1(VALU_DEP_3)
	v_dual_ashrrev_i32 v19, 31, v18 :: v_dual_bitop2_b32 v23, v21, v23 bitop3:0x54
	v_or_b32_e32 v22, v22, v24
	v_and_b32_e32 v21, 0xffff0000, v41
	v_add_nc_u32_e32 v24, s29, v14
	v_and_b32_e32 v37, 0xffff0000, v38
	v_and_b32_e32 v41, 0xffff, v33
	v_lshl_add_u64 v[2:3], v[48:49], 1, s[12:13]
	v_or_b32_e32 v27, v21, v20
	v_dual_ashrrev_i32 v25, 31, v24 :: v_dual_lshlrev_b32 v20, 16, v35
	v_and_b32_e32 v21, 0xffff, v36
	v_lshlrev_b32_e32 v38, 16, v34
	v_lshl_add_u64 v[0:1], v[0:1], 1, s[12:13]
	v_lshl_add_u64 v[18:19], v[18:19], 1, s[12:13]
	;; [unrolled: 1-line block ×3, first 2 shown]
	v_dual_add_nc_u32 v40, s30, v14 :: v_dual_bitop2_b32 v39, v20, v21 bitop3:0x54
	v_or_b32_e32 v38, v38, v41
	v_dual_lshlrev_b32 v20, 16, v31 :: v_dual_bitop2_b32 v26, v37, v26 bitop3:0x54
	s_delay_alu instid0(VALU_DEP_3)
	v_dual_lshlrev_b32 v21, 16, v11 :: v_dual_ashrrev_i32 v41, 31, v40
	s_clause 0x2
	global_store_b64 v[2:3], v[8:9], off
	global_store_b64 v[0:1], v[22:23], off
	;; [unrolled: 1-line block ×3, first 2 shown]
	s_wait_xcnt 0x1
	v_dual_lshrrev_b32 v1, 16, v36 :: v_dual_add_nc_u32 v0, s27, v14
	v_and_b32_e32 v2, 0xffff0000, v35
	global_store_b64 v[24:25], v[38:39], off
	v_lshrrev_b32_e32 v3, 16, v33
	s_wait_xcnt 0x1
	v_and_b32_e32 v18, 0xffff0000, v34
	v_and_b32_e32 v22, 0xffff, v32
	v_dual_add_nc_u32 v2, s28, v14 :: v_dual_bitop2_b32 v19, v2, v1 bitop3:0x54
	s_wait_xcnt 0x0
	v_and_b32_e32 v24, 0xffff, v10
	v_dual_ashrrev_i32 v1, 31, v0 :: v_dual_bitop2_b32 v18, v18, v3 bitop3:0x54
	v_dual_lshrrev_b32 v20, 16, v32 :: v_dual_bitop2_b32 v23, v20, v22 bitop3:0x54
	s_delay_alu instid0(VALU_DEP_3) | instskip(SKIP_3) | instid1(VALU_DEP_4)
	v_dual_ashrrev_i32 v3, 31, v2 :: v_dual_bitop2_b32 v22, v21, v24 bitop3:0x54
	v_add_nc_u32_e32 v24, s26, v14
	v_and_b32_e32 v21, 0xffff0000, v31
	v_and_b32_e32 v32, 0xffff, v6
	v_lshl_add_u64 v[26:27], v[2:3], 1, s[12:13]
	v_lshrrev_b32_e32 v2, 16, v10
	v_and_b32_e32 v3, 0xffff0000, v11
	v_or_b32_e32 v11, v21, v20
	v_dual_ashrrev_i32 v25, 31, v24 :: v_dual_lshlrev_b32 v20, 16, v5
	v_and_b32_e32 v21, 0xffff, v7
	s_delay_alu instid0(VALU_DEP_4) | instskip(SKIP_2) | instid1(VALU_DEP_3)
	v_dual_lshlrev_b32 v31, 16, v4 :: v_dual_bitop2_b32 v10, v3, v2 bitop3:0x54
	s_add_co_i32 s59, s18, 31
	v_lshl_add_u64 v[8:9], v[40:41], 1, s[12:13]
	v_dual_mov_b32 v3, s59 :: v_dual_bitop2_b32 v33, v20, v21 bitop3:0x54
	v_lshl_add_u64 v[0:1], v[0:1], 1, s[12:13]
	v_lshl_add_u64 v[24:25], v[24:25], 1, s[12:13]
	v_or_b32_e32 v32, v31, v32
	s_clause 0x3
	global_store_b64 v[8:9], v[18:19], off
	global_store_b64 v[0:1], v[22:23], off
	global_store_b64 v[26:27], v[10:11], off
	global_store_b64 v[24:25], v[32:33], off
	s_branch .LBB2_23
.LBB2_46:
	s_sendmsg sendmsg(MSG_DEALLOC_VGPRS)
	s_endpgm
	.section	.rodata,"a",@progbits
	.p2align	6, 0x0
	.amdhsa_kernel _ZN4vllm4gptq31reconstruct_exllama_3bit_kernelEPKjPKiS2_PK6__halfiiibPS5_
		.amdhsa_group_segment_fixed_size 512
		.amdhsa_private_segment_fixed_size 44
		.amdhsa_kernarg_size 56
		.amdhsa_user_sgpr_count 2
		.amdhsa_user_sgpr_dispatch_ptr 0
		.amdhsa_user_sgpr_queue_ptr 0
		.amdhsa_user_sgpr_kernarg_segment_ptr 1
		.amdhsa_user_sgpr_dispatch_id 0
		.amdhsa_user_sgpr_kernarg_preload_length 0
		.amdhsa_user_sgpr_kernarg_preload_offset 0
		.amdhsa_user_sgpr_private_segment_size 0
		.amdhsa_wavefront_size32 1
		.amdhsa_uses_dynamic_stack 0
		.amdhsa_enable_private_segment 1
		.amdhsa_system_sgpr_workgroup_id_x 1
		.amdhsa_system_sgpr_workgroup_id_y 1
		.amdhsa_system_sgpr_workgroup_id_z 0
		.amdhsa_system_sgpr_workgroup_info 0
		.amdhsa_system_vgpr_workitem_id 0
		.amdhsa_next_free_vgpr 128
		.amdhsa_next_free_sgpr 64
		.amdhsa_named_barrier_count 0
		.amdhsa_reserve_vcc 1
		.amdhsa_float_round_mode_32 0
		.amdhsa_float_round_mode_16_64 0
		.amdhsa_float_denorm_mode_32 3
		.amdhsa_float_denorm_mode_16_64 3
		.amdhsa_fp16_overflow 0
		.amdhsa_memory_ordered 1
		.amdhsa_forward_progress 1
		.amdhsa_inst_pref_size 77
		.amdhsa_round_robin_scheduling 0
		.amdhsa_exception_fp_ieee_invalid_op 0
		.amdhsa_exception_fp_denorm_src 0
		.amdhsa_exception_fp_ieee_div_zero 0
		.amdhsa_exception_fp_ieee_overflow 0
		.amdhsa_exception_fp_ieee_underflow 0
		.amdhsa_exception_fp_ieee_inexact 0
		.amdhsa_exception_int_div_zero 0
	.end_amdhsa_kernel
	.text
.Lfunc_end2:
	.size	_ZN4vllm4gptq31reconstruct_exllama_3bit_kernelEPKjPKiS2_PK6__halfiiibPS5_, .Lfunc_end2-_ZN4vllm4gptq31reconstruct_exllama_3bit_kernelEPKjPKiS2_PK6__halfiiibPS5_
                                        ; -- End function
	.set _ZN4vllm4gptq31reconstruct_exllama_3bit_kernelEPKjPKiS2_PK6__halfiiibPS5_.num_vgpr, 128
	.set _ZN4vllm4gptq31reconstruct_exllama_3bit_kernelEPKjPKiS2_PK6__halfiiibPS5_.num_agpr, 0
	.set _ZN4vllm4gptq31reconstruct_exllama_3bit_kernelEPKjPKiS2_PK6__halfiiibPS5_.numbered_sgpr, 64
	.set _ZN4vllm4gptq31reconstruct_exllama_3bit_kernelEPKjPKiS2_PK6__halfiiibPS5_.num_named_barrier, 0
	.set _ZN4vllm4gptq31reconstruct_exllama_3bit_kernelEPKjPKiS2_PK6__halfiiibPS5_.private_seg_size, 44
	.set _ZN4vllm4gptq31reconstruct_exllama_3bit_kernelEPKjPKiS2_PK6__halfiiibPS5_.uses_vcc, 1
	.set _ZN4vllm4gptq31reconstruct_exllama_3bit_kernelEPKjPKiS2_PK6__halfiiibPS5_.uses_flat_scratch, 1
	.set _ZN4vllm4gptq31reconstruct_exllama_3bit_kernelEPKjPKiS2_PK6__halfiiibPS5_.has_dyn_sized_stack, 0
	.set _ZN4vllm4gptq31reconstruct_exllama_3bit_kernelEPKjPKiS2_PK6__halfiiibPS5_.has_recursion, 0
	.set _ZN4vllm4gptq31reconstruct_exllama_3bit_kernelEPKjPKiS2_PK6__halfiiibPS5_.has_indirect_call, 0
	.section	.AMDGPU.csdata,"",@progbits
; Kernel info:
; codeLenInByte = 9844
; TotalNumSgprs: 66
; NumVgprs: 128
; ScratchSize: 44
; MemoryBound: 0
; FloatMode: 240
; IeeeMode: 1
; LDSByteSize: 512 bytes/workgroup (compile time only)
; SGPRBlocks: 0
; VGPRBlocks: 7
; NumSGPRsForWavesPerEU: 66
; NumVGPRsForWavesPerEU: 128
; NamedBarCnt: 0
; Occupancy: 8
; WaveLimiterHint : 0
; COMPUTE_PGM_RSRC2:SCRATCH_EN: 1
; COMPUTE_PGM_RSRC2:USER_SGPR: 2
; COMPUTE_PGM_RSRC2:TRAP_HANDLER: 0
; COMPUTE_PGM_RSRC2:TGID_X_EN: 1
; COMPUTE_PGM_RSRC2:TGID_Y_EN: 1
; COMPUTE_PGM_RSRC2:TGID_Z_EN: 0
; COMPUTE_PGM_RSRC2:TIDIG_COMP_CNT: 0
	.text
	.protected	_ZN4vllm4gptq31reconstruct_exllama_2bit_kernelEPKjPKiS2_PK6__halfiiibPS5_ ; -- Begin function _ZN4vllm4gptq31reconstruct_exllama_2bit_kernelEPKjPKiS2_PK6__halfiiibPS5_
	.globl	_ZN4vllm4gptq31reconstruct_exllama_2bit_kernelEPKjPKiS2_PK6__halfiiibPS5_
	.p2align	8
	.type	_ZN4vllm4gptq31reconstruct_exllama_2bit_kernelEPKjPKiS2_PK6__halfiiibPS5_,@function
_ZN4vllm4gptq31reconstruct_exllama_2bit_kernelEPKjPKiS2_PK6__halfiiibPS5_: ; @_ZN4vllm4gptq31reconstruct_exllama_2bit_kernelEPKjPKiS2_PK6__halfiiibPS5_
; %bb.0:
	s_clause 0x1
	s_load_b64 s[8:9], s[0:1], 0x8
	s_load_b128 s[4:7], s[0:1], 0x20
	s_bfe_u32 s2, ttmp6, 0x40010
	s_bfe_u32 s10, ttmp6, 0x40004
	s_add_co_i32 s2, s2, 1
	s_getreg_b32 s3, hwreg(HW_REG_IB_STS2, 6, 4)
	s_mul_i32 s2, ttmp7, s2
	s_delay_alu instid0(SALU_CYCLE_1) | instskip(SKIP_2) | instid1(SALU_CYCLE_1)
	s_add_co_i32 s10, s10, s2
	s_cmp_eq_u32 s3, 0
	s_cselect_b32 s17, ttmp7, s10
	s_lshl_b32 s2, s17, 7
	s_wait_kmcnt 0x0
	s_cmp_lg_u64 s[8:9], 0
	s_cselect_b32 s14, -1, 0
	s_cmp_eq_u64 s[8:9], 0
	s_cbranch_scc1 .LBB3_4
; %bb.1:
	v_add_nc_u32_e32 v1, s2, v0
	s_mov_b32 s10, exec_lo
	s_delay_alu instid0(VALU_DEP_1)
	v_cmpx_gt_u32_e64 s4, v1
	s_cbranch_execz .LBB3_3
; %bb.2:
	global_load_b32 v1, v1, s[8:9] scale_offset
	v_lshlrev_b32_e32 v2, 2, v0
	s_wait_loadcnt 0x0
	ds_store_b32 v2, v1
.LBB3_3:
	s_or_b32 exec_lo, exec_lo, s10
.LBB3_4:
	s_bfe_u32 s8, ttmp6, 0x4000c
	s_and_b32 s9, ttmp6, 15
	s_add_co_i32 s8, s8, 1
	v_lshlrev_b32_e32 v20, 2, v0
	s_mul_i32 s8, ttmp9, s8
	s_delay_alu instid0(SALU_CYCLE_1) | instskip(SKIP_2) | instid1(SALU_CYCLE_1)
	s_add_co_i32 s9, s9, s8
	s_cmp_eq_u32 s3, 0
	s_cselect_b32 s3, ttmp9, s9
	s_lshl_b32 s51, s3, 9
	s_mov_b32 s3, exec_lo
	v_add_nc_u32_e32 v12, s51, v20
	s_delay_alu instid0(VALU_DEP_1)
	v_cmpx_gt_i32_e64 s5, v12
	s_cbranch_execz .LBB3_18
; %bb.5:
	s_add_co_i32 s3, s2, 0x80
	v_cvt_f64_i32_e32 v[2:3], s4
	v_cvt_f64_u32_e32 v[4:5], s3
	s_abs_i32 s3, s6
	s_abs_i32 s10, s4
	s_cvt_f32_u32 s8, s3
	s_sub_co_i32 s9, 0, s3
	s_xor_b32 s4, s4, s6
	s_wait_dscnt 0x0
	v_rcp_iflag_f32_e32 v1, s8
	s_ashr_i32 s4, s4, 31
	s_barrier_signal -1
	s_barrier_wait -1
	v_nop
	s_delay_alu instid0(TRANS32_DEP_1) | instskip(SKIP_1) | instid1(SALU_CYCLE_3)
	v_readfirstlane_b32 s8, v1
	s_mul_f32 s8, s8, 0x4f7ffffe
	s_cvt_u32_f32 s8, s8
	s_delay_alu instid0(SALU_CYCLE_3) | instskip(NEXT) | instid1(SALU_CYCLE_1)
	s_mul_i32 s9, s9, s8
	s_mul_hi_u32 s9, s8, s9
	s_delay_alu instid0(SALU_CYCLE_1) | instskip(SKIP_2) | instid1(SALU_CYCLE_1)
	s_add_co_i32 s8, s8, s9
	v_min_num_f64_e32 v[2:3], v[4:5], v[2:3]
	s_mul_hi_u32 s8, s10, s8
	s_mul_i32 s6, s8, s3
	s_add_co_i32 s9, s8, 1
	s_sub_co_i32 s6, s10, s6
	s_delay_alu instid0(SALU_CYCLE_1)
	s_sub_co_i32 s10, s6, s3
	s_cmp_ge_u32 s6, s3
	s_cselect_b32 s8, s9, s8
	s_cselect_b32 s6, s10, s6
	s_add_co_i32 s9, s8, 1
	s_cmp_ge_u32 s6, s3
	s_cselect_b32 s3, s9, s8
	s_delay_alu instid0(SALU_CYCLE_1) | instskip(NEXT) | instid1(SALU_CYCLE_1)
	s_xor_b32 s3, s3, s4
	s_sub_co_i32 s4, s3, s4
	s_delay_alu instid0(SALU_CYCLE_1) | instskip(NEXT) | instid1(SALU_CYCLE_3)
	s_cvt_f32_u32 s3, s4
	v_rcp_iflag_f32_e32 v1, s3
	s_mov_b32 s3, 0
	v_nop
	s_delay_alu instid0(TRANS32_DEP_1) | instskip(NEXT) | instid1(VALU_DEP_3)
	v_readfirstlane_b32 s6, v1
	v_cvt_i32_f64_e32 v21, v[2:3]
	s_delay_alu instid0(VALU_DEP_1)
	v_cmp_ge_i32_e32 vcc_lo, s2, v21
	s_cbranch_vccnz .LBB3_18
; %bb.6:
	s_mul_f32 s6, s6, 0x4f7ffffe
	s_sub_co_i32 s8, 0, s4
	s_mov_b32 s9, s3
	v_ashrrev_i32_e32 v13, 31, v12
	s_cvt_u32_f32 s6, s6
	s_mul_i32 s21, s17, s5
	s_mov_b32 s16, s5
	s_mov_b32 s17, 0xe400e400
	s_mul_i32 s8, s8, s6
	s_mov_b32 s18, 0x30003
	s_mul_hi_u32 s8, s6, s8
	v_lshlrev_b32_e32 v0, 3, v0
	s_add_co_i32 s8, s6, s8
	v_mov_b32_e32 v15, v12
	s_mul_u64 s[12:13], s[2:3], s[8:9]
	s_load_b128 s[8:11], s[0:1], 0x10
	s_mul_i32 s6, s13, s4
	s_add_co_i32 s12, s13, 1
	s_sub_co_i32 s6, s2, s6
	v_and_b32_e32 v23, 24, v0
	s_sub_co_i32 s15, s6, s4
	s_cmp_ge_u32 s6, s4
	s_cselect_b32 s12, s12, s13
	s_cselect_b32 s6, s15, s6
	s_add_co_i32 s13, s12, 1
	s_cmp_ge_u32 s6, s4
	s_cselect_b32 s15, s13, s12
	s_delay_alu instid0(SALU_CYCLE_1) | instskip(NEXT) | instid1(SALU_CYCLE_1)
	s_mul_i32 s6, s15, s5
	v_dual_lshrrev_b32 v1, 28, v13 :: v_dual_add_nc_u32 v2, s6, v12
	s_ashr_i32 s12, s6, 31
	s_delay_alu instid0(SALU_CYCLE_1) | instskip(NEXT) | instid1(VALU_DEP_1)
	s_lshr_b32 s12, s12, 28
	v_add_nc_u32_e32 v1, v12, v1
	s_add_co_i32 s6, s6, s12
	v_ashrrev_i32_e32 v3, 31, v2
	s_ashr_i32 s6, s6, 4
	s_load_b64 s[12:13], s[0:1], 0x0
	v_ashrrev_i32_e32 v22, 4, v1
	s_wait_xcnt 0x0
	s_load_b64 s[0:1], s[0:1], 0x30
	s_wait_kmcnt 0x0
	v_lshl_add_u64 v[4:5], v[2:3], 1, s[10:11]
	s_bitcmp1_b32 s7, 0
	v_add_nc_u32_e32 v1, s6, v22
	global_load_b32 v6, v1, s[8:9] scale_offset
	global_load_b64 v[2:3], v[4:5], off
	s_cselect_b32 s22, -1, 0
	s_lshr_b32 s23, s2, 4
	s_add_co_i32 s24, s2, 30
	s_add_co_i32 s26, s2, 29
	;; [unrolled: 1-line block ×14, first 2 shown]
	s_xor_b32 s22, s22, -1
	s_mul_i32 s52, s5, s23
	v_cndmask_b32_e64 v24, 0, 1, s22
	s_mul_i32 s22, s5, s24
	s_mul_i32 s24, s5, s26
	;; [unrolled: 1-line block ×14, first 2 shown]
	s_ashr_i32 s53, s52, 31
	s_add_co_i32 s25, s2, 28
	s_lshl_b64 s[52:53], s[52:53], 2
	s_add_co_i32 s27, s2, 26
	s_add_nc_u64 s[52:53], s[12:13], s[52:53]
	s_add_co_i32 s29, s2, 24
	s_add_co_i32 s31, s2, 22
	;; [unrolled: 1-line block ×13, first 2 shown]
	v_lshl_add_u64 v[16:17], v[12:13], 2, s[52:53]
	s_mov_b32 s6, s5
	s_ashr_i32 s7, s5, 31
	s_lshl_b32 s21, s21, 7
	s_mul_i32 s23, s5, s25
	s_mul_i32 s25, s5, s27
	;; [unrolled: 1-line block ×15, first 2 shown]
	s_add_co_i32 s19, s4, s2
	s_lshl_b32 s20, s5, 5
	s_add_co_i32 s21, s21, s51
	s_lshl_b64 s[6:7], s[6:7], 2
	s_add_co_i32 s22, s22, s51
	s_add_co_i32 s23, s23, s51
	s_add_co_i32 s24, s24, s51
	s_add_co_i32 s25, s25, s51
	s_add_co_i32 s26, s26, s51
	s_add_co_i32 s27, s27, s51
	s_add_co_i32 s28, s28, s51
	s_add_co_i32 s29, s29, s51
	s_add_co_i32 s30, s30, s51
	s_add_co_i32 s31, s31, s51
	s_add_co_i32 s33, s33, s51
	s_add_co_i32 s34, s34, s51
	s_add_co_i32 s35, s35, s51
	s_add_co_i32 s36, s36, s51
	s_add_co_i32 s37, s37, s51
	s_add_co_i32 s38, s38, s51
	s_add_co_i32 s39, s39, s51
	s_add_co_i32 s40, s40, s51
	s_add_co_i32 s41, s41, s51
	s_add_co_i32 s42, s42, s51
	s_add_co_i32 s43, s43, s51
	s_add_co_i32 s44, s44, s51
	s_add_co_i32 s45, s45, s51
	s_add_co_i32 s46, s46, s51
	s_add_co_i32 s47, s47, s51
	s_add_co_i32 s48, s48, s51
	s_add_co_i32 s49, s49, s51
	s_add_co_i32 s50, s50, s51
	s_add_co_i32 s12, s54, s51
	s_mov_b32 s13, 0xc000c
	s_mov_b32 s51, 0x300030
	;; [unrolled: 1-line block ×3, first 2 shown]
	s_wait_loadcnt 0x0
	v_dual_lshrrev_b32 v0, v0, v6 :: v_dual_lshrrev_b32 v1, 16, v3
	v_and_b32_e32 v3, 0xffff, v3
	v_lshrrev_b32_e32 v4, 16, v2
	v_and_b32_e32 v2, 0xffff, v2
	v_bfe_u32 v25, v6, v23, 2
	v_bfe_u32 v26, v0, 2, 2
	;; [unrolled: 1-line block ×4, first 2 shown]
	v_mul_u32_u24_e32 v29, 0x10001, v1
	v_mul_u32_u24_e32 v30, 0x10001, v3
	;; [unrolled: 1-line block ×4, first 2 shown]
	s_branch .LBB3_8
.LBB3_7:                                ;   in Loop: Header=BB3_8 Depth=1
	s_wait_xcnt 0x0
	v_mad_u32 v0, v3, s5, v12
	v_dual_lshrrev_b32 v2, 16, v13 :: v_dual_lshrrev_b32 v4, 16, v14
	v_and_b32_e32 v3, 0xffff0000, v11
	v_and_b32_e32 v5, 0xffff0000, v10
	s_add_co_i32 s2, s2, 32
	v_add_nc_u64_e32 v[16:17], s[6:7], v[8:9]
	v_cmp_lt_i32_e32 vcc_lo, s2, v21
	s_addk_co_i32 s3, 0x80
	s_add_co_i32 s22, s22, s20
	s_add_co_i32 s23, s23, s20
	v_dual_ashrrev_i32 v1, 31, v0 :: v_dual_bitop2_b32 v3, v3, v2 bitop3:0x54
	v_or_b32_e32 v2, v5, v4
	s_add_co_i32 s24, s24, s20
	s_add_co_i32 s25, s25, s20
	s_delay_alu instid0(VALU_DEP_2)
	v_lshl_add_u64 v[0:1], v[0:1], 1, s[0:1]
	s_add_co_i32 s26, s26, s20
	s_add_co_i32 s27, s27, s20
	;; [unrolled: 1-line block ×26, first 2 shown]
	global_store_b64 v[0:1], v[2:3], off
	s_cbranch_vccz .LBB3_18
.LBB3_8:                                ; =>This Inner Loop Header: Depth=1
	s_cmp_lg_u32 s2, s19
	s_cbranch_scc1 .LBB3_10
; %bb.9:                                ;   in Loop: Header=BB3_8 Depth=1
	s_add_co_i32 s15, s15, 1
	s_add_co_i32 s19, s19, s4
	s_mul_i32 s53, s15, s5
	s_delay_alu instid0(SALU_CYCLE_1) | instskip(SKIP_3) | instid1(SALU_CYCLE_1)
	s_ashr_i32 s54, s53, 31
	s_wait_xcnt 0x0
	v_add_nc_u32_e32 v0, s53, v12
	s_lshr_b32 s54, s54, 28
	s_add_co_i32 s53, s53, s54
	s_delay_alu instid0(SALU_CYCLE_1)
	s_ashr_i32 s53, s53, 4
	s_delay_alu instid0(VALU_DEP_1) | instid1(SALU_CYCLE_1)
	v_dual_add_nc_u32 v4, s53, v22 :: v_dual_ashrrev_i32 v1, 31, v0
	s_delay_alu instid0(VALU_DEP_1)
	v_lshl_add_u64 v[0:1], v[0:1], 1, s[10:11]
	global_load_b32 v5, v4, s[8:9] scale_offset
	global_load_b64 v[2:3], v[0:1], off
	s_wait_loadcnt 0x1
	s_wait_xcnt 0x0
	v_lshrrev_b32_e32 v0, v23, v5
	s_wait_loadcnt 0x0
	v_and_b32_e32 v1, 0xffff, v2
	v_lshrrev_b32_e32 v2, 16, v2
	v_and_b32_e32 v4, 0xffff, v3
	v_lshrrev_b32_e32 v3, 16, v3
	v_bfe_u32 v25, v5, v23, 2
	v_bfe_u32 v26, v0, 2, 2
	v_bfe_u32 v27, v0, 4, 2
	v_bfe_u32 v28, v0, 6, 2
	v_mul_u32_u24_e32 v32, 0x10001, v1
	v_mul_u32_u24_e32 v31, 0x10001, v2
	;; [unrolled: 1-line block ×4, first 2 shown]
.LBB3_10:                               ;   in Loop: Header=BB3_8 Depth=1
	global_load_b128 v[0:3], v[16:17], off
	v_dual_add_nc_u32 v4, v25, v24 :: v_dual_add_nc_u32 v5, v26, v24
	v_dual_add_nc_u32 v6, v27, v24 :: v_dual_add_nc_u32 v7, v28, v24
	s_and_not1_b32 vcc_lo, exec_lo, s14
	s_delay_alu instid0(VALU_DEP_2)
	v_cvt_f32_i32_e32 v8, v4
	v_and_b32_e32 v4, 0x1bff, v4
	v_cvt_f32_i32_e32 v9, v5
	v_and_b32_e32 v5, 0x1bff, v5
	v_cvt_f32_i32_e32 v10, v6
	v_and_b32_e32 v6, 0x1bff, v6
	v_cvt_f32_i32_e32 v11, v7
	v_and_b32_e32 v7, 0x1bff, v7
	v_cvt_f16_f32_e32 v8, v8
	v_mad_u32_u24 v36, 0x10001, v4, s17
	v_cvt_f16_f32_e32 v4, v9
	v_mad_u32_u24 v35, 0x10001, v5, s17
	;; [unrolled: 2-line block ×4, first 2 shown]
	v_sub_f16_e32 v7, 0xdc00, v8
	v_sub_f16_e32 v9, 0xd400, v8
	;; [unrolled: 1-line block ×12, first 2 shown]
	v_and_b32_e32 v7, 0xffff, v7
	v_and_b32_e32 v9, 0xffff, v9
	;; [unrolled: 1-line block ×12, first 2 shown]
	v_mul_u32_u24_e32 v46, 0x10001, v7
	v_mul_u32_u24_e32 v47, 0x10001, v9
	;; [unrolled: 1-line block ×12, first 2 shown]
	s_wait_loadcnt 0x0
	v_and_or_b32 v4, v0, s18, 0x64006400
	v_and_or_b32 v5, v0, s13, 0x64006400
	v_and_or_b32 v6, v0, s51, 0x64006400
	v_and_or_b32 v7, v0, s52, 0x64006400
	v_lshrrev_b32_e32 v0, 8, v0
	v_and_or_b32 v8, v1, s18, 0x64006400
	v_and_or_b32 v9, v1, s13, 0x64006400
	v_and_or_b32 v10, v1, s51, 0x64006400
	v_and_or_b32 v11, v1, s52, 0x64006400
	v_lshrrev_b32_e32 v1, 8, v1
	;; [unrolled: 5-line block ×4, first 2 shown]
	v_and_or_b32 v53, v0, s18, 0x64006400
	v_and_or_b32 v54, v0, s13, 0x64006400
	;; [unrolled: 1-line block ×4, first 2 shown]
	v_pk_fma_f16 v6, 0x2c00, v6, v47 op_sel_hi:[0,1,1]
	v_and_or_b32 v56, v1, s18, 0x64006400
	v_and_or_b32 v57, v1, s13, 0x64006400
	;; [unrolled: 1-line block ×8, first 2 shown]
	v_pk_add_f16 v13, v34, v13
	v_pk_fma_f16 v14, 0x3400, v14, v40 op_sel_hi:[0,1,1]
	v_pk_fma_f16 v18, 0x2c00, v18, v41 op_sel_hi:[0,1,1]
	;; [unrolled: 1-line block ×3, first 2 shown]
	v_and_or_b32 v62, v3, s18, 0x64006400
	v_and_or_b32 v63, v3, s13, 0x64006400
	;; [unrolled: 1-line block ×4, first 2 shown]
	v_pk_add_f16 v4, v36, v4
	v_pk_fma_f16 v5, 0x3400, v5, v46 op_sel_hi:[0,1,1]
	v_pk_fma_f16 v7, 0x2400, v7, v48 op_sel_hi:[0,1,1]
	v_pk_add_f16 v8, v35, v8
	v_pk_fma_f16 v9, 0x3400, v9, v43 op_sel_hi:[0,1,1]
	v_pk_fma_f16 v10, 0x2c00, v10, v44 op_sel_hi:[0,1,1]
	v_pk_fma_f16 v11, 0x2400, v11, v45 op_sel_hi:[0,1,1]
	v_pk_add_f16 v49, v33, v49
	v_pk_fma_f16 v50, 0x3400, v50, v37 op_sel_hi:[0,1,1]
	;; [unrolled: 4-line block ×6, first 2 shown]
	v_pk_fma_f16 v64, 0x2c00, v64, v38 op_sel_hi:[0,1,1]
	v_pk_fma_f16 v3, 0x2400, v3, v39 op_sel_hi:[0,1,1]
	v_pk_mul_f16 v13, v30, v13
	v_pk_mul_f16 v14, v30, v14
	;; [unrolled: 1-line block ×28, first 2 shown]
	v_dual_lshrrev_b32 v98, 16, v13 :: v_dual_lshrrev_b32 v100, 16, v4
	v_and_b32_e32 v107, 0xffff, v13
	v_and_b32_e32 v97, 0xffff, v14
	v_dual_lshrrev_b32 v91, 16, v14 :: v_dual_lshrrev_b32 v92, 16, v5
	v_and_b32_e32 v89, 0xffff, v18
	v_dual_lshrrev_b32 v67, 16, v18 :: v_dual_lshlrev_b32 v93, 16, v51
	v_dual_lshrrev_b32 v68, 16, v6 :: v_dual_lshrrev_b32 v65, 16, v19
	v_and_b32_e32 v75, 0xffff, v19
	v_pk_mul_f16 v13, v29, v3
	v_pk_mul_f16 v14, v31, v1
	;; [unrolled: 1-line block ×4, first 2 shown]
	v_and_b32_e32 v104, 0xffff, v4
	v_dual_lshlrev_b32 v108, 16, v49 :: v_dual_lshlrev_b32 v106, 16, v8
	v_and_b32_e32 v105, 0xffff0000, v49
	v_and_b32_e32 v103, 0xffff0000, v8
	;; [unrolled: 1-line block ×3, first 2 shown]
	v_dual_lshlrev_b32 v101, 16, v50 :: v_dual_lshlrev_b32 v102, 16, v9
	v_and_b32_e32 v95, 0xffff0000, v50
	v_and_b32_e32 v96, 0xffff0000, v9
	;; [unrolled: 1-line block ×4, first 2 shown]
	v_dual_lshlrev_b32 v94, 16, v10 :: v_dual_lshrrev_b32 v66, 16, v7
	v_and_b32_e32 v73, 0xffff0000, v10
	v_and_b32_e32 v78, 0xffff, v7
	v_dual_lshlrev_b32 v82, 16, v52 :: v_dual_lshlrev_b32 v83, 16, v11
	v_and_b32_e32 v69, 0xffff0000, v52
	v_and_b32_e32 v70, 0xffff0000, v11
	;; [unrolled: 1-line block ×3, first 2 shown]
	v_dual_lshrrev_b32 v80, 16, v59 :: v_dual_lshrrev_b32 v71, 16, v53
	v_and_b32_e32 v85, 0xffff, v53
	v_dual_lshlrev_b32 v87, 16, v62 :: v_dual_lshlrev_b32 v88, 16, v56
	v_and_b32_e32 v86, 0xffff0000, v62
	v_and_b32_e32 v76, 0xffff0000, v56
	;; [unrolled: 1-line block ×3, first 2 shown]
	v_lshrrev_b32_e32 v63, 16, v60
	v_and_b32_e32 v77, 0xffff, v54
	v_dual_lshrrev_b32 v54, 16, v54 :: v_dual_lshlrev_b32 v79, 16, v81
	v_lshrrev_b32_e32 v53, 16, v58
	v_and_b32_e32 v64, 0xffff0000, v81
	v_lshlrev_b32_e32 v81, 16, v57
	v_and_b32_e32 v59, 0xffff0000, v57
	v_and_b32_e32 v56, 0xffff, v58
	;; [unrolled: 1-line block ×3, first 2 shown]
	v_dual_lshrrev_b32 v55, 16, v55 :: v_dual_lshlrev_b32 v61, 16, v110
	v_lshlrev_b32_e32 v62, 16, v109
	v_and_b32_e32 v58, 0xffff0000, v110
	v_and_b32_e32 v60, 0xffff0000, v109
	v_dual_lshlrev_b32 v51, 16, v13 :: v_dual_lshlrev_b32 v49, 16, v14
	v_and_b32_e32 v52, 0xffff, v19
	v_and_b32_e32 v50, 0xffff, v18
	s_cbranch_vccnz .LBB3_15
; %bb.11:                               ;   in Loop: Header=BB3_8 Depth=1
	v_dual_mov_b32 v0, s3 :: v_dual_bitop2_b32 v115, v108, v107 bitop3:0x54
	ds_load_b128 v[110:113], v0
	ds_load_b128 v[8:11], v0 offset:16
	ds_load_b128 v[4:7], v0 offset:32
	;; [unrolled: 1-line block ×3, first 2 shown]
	s_wait_dscnt 0x3
	v_mad_u32 v110, v110, s16, v12
	v_mad_u32 v116, v111, s5, v15
	v_or_b32_e32 v114, v106, v104
	v_mad_u32 v112, v112, s16, v12
	s_wait_dscnt 0x2
	v_mad_u32 v10, v10, s16, v12
	v_mad_u32 v8, v8, s16, v12
	s_wait_dscnt 0x1
	v_mad_u32 v4, v4, s16, v12
	;; [unrolled: 3-line block ×3, first 2 shown]
	v_dual_ashrrev_i32 v111, 31, v110 :: v_dual_ashrrev_i32 v117, 31, v116
	s_delay_alu instid0(VALU_DEP_1)
	v_lshl_add_u64 v[110:111], v[110:111], 1, s[0:1]
	global_store_b64 v[110:111], v[114:115], off
	s_wait_xcnt 0x0
	v_or_b32_e32 v115, v105, v98
	v_lshl_add_u64 v[110:111], v[116:117], 1, s[0:1]
	v_or_b32_e32 v114, v103, v100
	global_store_b64 v[110:111], v[114:115], off
	s_wait_xcnt 0x0
	v_mad_u32 v114, v113, s5, v15
	v_dual_ashrrev_i32 v113, 31, v112 :: v_dual_bitop2_b32 v111, v101, v97 bitop3:0x54
	v_or_b32_e32 v110, v102, v99
	s_delay_alu instid0(VALU_DEP_2) | instskip(NEXT) | instid1(VALU_DEP_4)
	v_lshl_add_u64 v[112:113], v[112:113], 1, s[0:1]
	v_ashrrev_i32_e32 v115, 31, v114
	global_store_b64 v[112:113], v[110:111], off
	s_wait_xcnt 0x0
	v_or_b32_e32 v113, v95, v91
	v_or_b32_e32 v112, v96, v92
	v_lshl_add_u64 v[110:111], v[114:115], 1, s[0:1]
	global_store_b64 v[110:111], v[112:113], off
	s_wait_xcnt 0x0
	v_mad_u32 v112, v9, s5, v15
	v_dual_ashrrev_i32 v9, 31, v8 :: v_dual_bitop2_b32 v111, v93, v89 bitop3:0x54
	v_or_b32_e32 v110, v94, v90
	s_delay_alu instid0(VALU_DEP_2) | instskip(NEXT) | instid1(VALU_DEP_4)
	v_lshl_add_u64 v[8:9], v[8:9], 1, s[0:1]
	v_ashrrev_i32_e32 v113, 31, v112
	global_store_b64 v[8:9], v[110:111], off
	s_wait_xcnt 0x0
	v_or_b32_e32 v111, v72, v67
	v_or_b32_e32 v110, v73, v68
	v_lshl_add_u64 v[8:9], v[112:113], 1, s[0:1]
	;; [unrolled: 13-line block ×3, first 2 shown]
	global_store_b64 v[8:9], v[10:11], off
	s_wait_xcnt 0x0
	v_mad_u32 v10, v5, s5, v15
	v_ashrrev_i32_e32 v5, 31, v4
	v_or_b32_e32 v9, v87, v84
	v_or_b32_e32 v8, v88, v85
	s_delay_alu instid0(VALU_DEP_3)
	v_lshl_add_u64 v[4:5], v[4:5], 1, s[0:1]
	v_ashrrev_i32_e32 v11, 31, v10
	global_store_b64 v[4:5], v[8:9], off
	s_wait_xcnt 0x0
	v_or_b32_e32 v9, v86, v80
	v_or_b32_e32 v8, v76, v71
	v_lshl_add_u64 v[4:5], v[10:11], 1, s[0:1]
	global_store_b64 v[4:5], v[8:9], off
	s_wait_xcnt 0x0
	v_mad_u32 v8, v7, s5, v15
	v_ashrrev_i32_e32 v7, 31, v6
	v_or_b32_e32 v5, v79, v74
	v_or_b32_e32 v4, v81, v77
	s_delay_alu instid0(VALU_DEP_3)
	v_lshl_add_u64 v[6:7], v[6:7], 1, s[0:1]
	v_ashrrev_i32_e32 v9, 31, v8
	global_store_b64 v[6:7], v[4:5], off
	s_wait_xcnt 0x0
	v_or_b32_e32 v7, v64, v63
	v_or_b32_e32 v6, v59, v54
	v_lshl_add_u64 v[4:5], v[8:9], 1, s[0:1]
	global_store_b64 v[4:5], v[6:7], off
	s_wait_xcnt 0x0
	v_mad_u32 v6, v1, s5, v15
	v_ashrrev_i32_e32 v1, 31, v0
	v_or_b32_e32 v5, v61, v56
	v_or_b32_e32 v4, v62, v57
	s_delay_alu instid0(VALU_DEP_3)
	v_lshl_add_u64 v[0:1], v[0:1], 1, s[0:1]
	v_ashrrev_i32_e32 v7, 31, v6
	global_store_b64 v[0:1], v[4:5], off
	s_wait_xcnt 0x0
	v_or_b32_e32 v5, v58, v53
	v_or_b32_e32 v4, v60, v55
	v_lshl_add_u64 v[0:1], v[6:7], 1, s[0:1]
	global_store_b64 v[0:1], v[4:5], off
	s_wait_xcnt 0x0
	v_mad_u32 v0, v2, s5, v12
	v_or_b32_e32 v5, v51, v52
	s_delay_alu instid0(VALU_DEP_2) | instskip(NEXT) | instid1(VALU_DEP_1)
	v_dual_ashrrev_i32 v1, 31, v0 :: v_dual_bitop2_b32 v4, v49, v50 bitop3:0x54
	v_lshl_add_u64 v[0:1], v[0:1], 1, s[0:1]
	global_store_b64 v[0:1], v[4:5], off
	s_cbranch_execnz .LBB3_13
.LBB3_12:                               ;   in Loop: Header=BB3_8 Depth=1
	s_wait_xcnt 0x0
	v_dual_add_nc_u32 v0, s21, v20 :: v_dual_add_nc_u32 v2, s12, v20
	v_dual_add_nc_u32 v6, s49, v20 :: v_dual_bitop2_b32 v5, v108, v107 bitop3:0x54
	v_dual_add_nc_u32 v10, s50, v20 :: v_dual_bitop2_b32 v9, v105, v98 bitop3:0x54
	s_delay_alu instid0(VALU_DEP_3) | instskip(NEXT) | instid1(VALU_DEP_3)
	v_dual_ashrrev_i32 v1, 31, v0 :: v_dual_ashrrev_i32 v3, 31, v2
	v_dual_ashrrev_i32 v7, 31, v6 :: v_dual_bitop2_b32 v4, v106, v104 bitop3:0x54
	s_delay_alu instid0(VALU_DEP_3) | instskip(NEXT) | instid1(VALU_DEP_3)
	v_dual_ashrrev_i32 v11, 31, v10 :: v_dual_bitop2_b32 v8, v103, v100 bitop3:0x54
	v_lshl_add_u64 v[0:1], v[0:1], 1, s[0:1]
	v_dual_add_nc_u32 v98, s47, v20 :: v_dual_bitop2_b32 v101, v101, v97 bitop3:0x54
	v_lshl_add_u64 v[2:3], v[2:3], 1, s[0:1]
	v_lshl_add_u64 v[6:7], v[6:7], 1, s[0:1]
	v_or_b32_e32 v100, v102, v99
	v_or_b32_e32 v66, v70, v66
	v_ashrrev_i32_e32 v99, 31, v98
	s_clause 0x2
	global_store_b64 v[0:1], v[4:5], off
	global_store_b64 v[2:3], v[8:9], off
	;; [unrolled: 1-line block ×3, first 2 shown]
	s_wait_xcnt 0x2
	v_lshl_add_u64 v[0:1], v[10:11], 1, s[0:1]
	s_wait_xcnt 0x1
	v_dual_add_nc_u32 v4, s48, v20 :: v_dual_bitop2_b32 v3, v95, v91 bitop3:0x54
	v_dual_add_nc_u32 v10, s45, v20 :: v_dual_bitop2_b32 v9, v93, v89 bitop3:0x54
	v_or_b32_e32 v2, v96, v92
	s_delay_alu instid0(VALU_DEP_3)
	v_dual_ashrrev_i32 v5, 31, v4 :: v_dual_bitop2_b32 v8, v94, v90 bitop3:0x54
	s_wait_xcnt 0x0
	v_lshl_add_u64 v[6:7], v[98:99], 1, s[0:1]
	v_ashrrev_i32_e32 v11, 31, v10
	global_store_b64 v[0:1], v[2:3], off
	s_wait_xcnt 0x0
	v_add_nc_u32_e32 v0, s46, v20
	v_lshl_add_u64 v[2:3], v[4:5], 1, s[0:1]
	v_or_b32_e32 v5, v72, v67
	global_store_b64 v[6:7], v[8:9], off
	s_wait_xcnt 0x0
	v_lshl_add_u64 v[6:7], v[10:11], 1, s[0:1]
	v_dual_ashrrev_i32 v1, 31, v0 :: v_dual_bitop2_b32 v9, v82, v75 bitop3:0x54
	v_dual_add_nc_u32 v10, s43, v20 :: v_dual_bitop2_b32 v8, v83, v78 bitop3:0x54
	v_or_b32_e32 v4, v73, v68
	s_delay_alu instid0(VALU_DEP_3)
	v_lshl_add_u64 v[0:1], v[0:1], 1, s[0:1]
	v_or_b32_e32 v67, v69, v65
	s_add_co_i32 s53, s2, 15
	v_ashrrev_i32_e32 v11, 31, v10
	global_store_b64 v[2:3], v[4:5], off
	s_wait_xcnt 0x0
	v_add_nc_u32_e32 v2, s44, v20
	s_clause 0x1
	global_store_b64 v[6:7], v[8:9], off
	global_store_b64 v[0:1], v[66:67], off
	s_wait_xcnt 0x0
	v_dual_add_nc_u32 v0, s41, v20 :: v_dual_bitop2_b32 v6, v88, v85 bitop3:0x54
	v_lshl_add_u64 v[4:5], v[10:11], 1, s[0:1]
	v_dual_ashrrev_i32 v3, 31, v2 :: v_dual_bitop2_b32 v7, v87, v84 bitop3:0x54
	s_delay_alu instid0(VALU_DEP_3) | instskip(SKIP_1) | instid1(VALU_DEP_3)
	v_ashrrev_i32_e32 v1, 31, v0
	v_dual_add_nc_u32 v10, s42, v20 :: v_dual_bitop2_b32 v8, v76, v71 bitop3:0x54
	v_lshl_add_u64 v[2:3], v[2:3], 1, s[0:1]
	v_or_b32_e32 v9, v86, v80
	s_delay_alu instid0(VALU_DEP_4)
	v_lshl_add_u64 v[0:1], v[0:1], 1, s[0:1]
	v_or_b32_e32 v67, v79, v74
	v_dual_ashrrev_i32 v11, 31, v10 :: v_dual_bitop2_b32 v66, v81, v77 bitop3:0x54
	global_store_b64 v[4:5], v[6:7], off
	s_wait_xcnt 0x0
	v_add_nc_u32_e32 v4, s39, v20
	s_clause 0x1
	global_store_b64 v[2:3], v[8:9], off
	global_store_b64 v[0:1], v[66:67], off
	s_wait_xcnt 0x1
	v_dual_add_nc_u32 v2, s40, v20 :: v_dual_add_nc_u32 v8, s38, v20
	v_dual_ashrrev_i32 v5, 31, v4 :: v_dual_bitop2_b32 v6, v59, v54 bitop3:0x54
	s_delay_alu instid0(VALU_DEP_2) | instskip(NEXT) | instid1(VALU_DEP_3)
	v_dual_ashrrev_i32 v3, 31, v2 :: v_dual_bitop2_b32 v7, v64, v63 bitop3:0x54
	v_ashrrev_i32_e32 v9, 31, v8
	s_wait_xcnt 0x0
	v_lshl_add_u64 v[0:1], v[10:11], 1, s[0:1]
	v_or_b32_e32 v11, v61, v56
	v_or_b32_e32 v10, v62, v57
	v_lshl_add_u64 v[56:57], v[2:3], 1, s[0:1]
	v_dual_mov_b32 v3, s53 :: v_dual_bitop2_b32 v59, v58, v53 bitop3:0x54
	v_lshl_add_u64 v[4:5], v[4:5], 1, s[0:1]
	v_or_b32_e32 v58, v60, v55
	v_lshl_add_u64 v[8:9], v[8:9], 1, s[0:1]
	v_or_b32_e32 v51, v51, v52
	v_or_b32_e32 v50, v49, v50
	s_clause 0x3
	global_store_b64 v[0:1], v[6:7], off
	global_store_b64 v[4:5], v[10:11], off
	;; [unrolled: 1-line block ×4, first 2 shown]
.LBB3_13:                               ;   in Loop: Header=BB3_8 Depth=1
	s_wait_xcnt 0x0
	v_add_nc_u64_e32 v[8:9], s[6:7], v[16:17]
	v_mad_u32 v2, v3, s5, v12
	v_dual_lshrrev_b32 v0, 16, v19 :: v_dual_lshrrev_b32 v10, 16, v18
	v_and_b32_e32 v1, 0xffff0000, v13
	v_and_b32_e32 v11, 0xffff0000, v14
	s_and_not1_b32 vcc_lo, exec_lo, s14
	global_load_b128 v[4:7], v[8:9], off
	v_or_b32_e32 v1, v1, v0
	v_or_b32_e32 v0, v11, v10
	v_ashrrev_i32_e32 v3, 31, v2
	s_delay_alu instid0(VALU_DEP_1)
	v_lshl_add_u64 v[2:3], v[2:3], 1, s[0:1]
	s_wait_loadcnt 0x0
	v_and_or_b32 v16, v5, s18, 0x64006400
	v_and_or_b32 v17, v5, s13, 0x64006400
	;; [unrolled: 1-line block ×4, first 2 shown]
	v_lshrrev_b32_e32 v5, 8, v5
	v_and_or_b32 v53, v7, s18, 0x64006400
	v_and_or_b32 v49, v6, s18, 0x64006400
	;; [unrolled: 1-line block ×5, first 2 shown]
	v_lshrrev_b32_e32 v6, 8, v6
	v_and_or_b32 v60, v5, s18, 0x64006400
	v_and_or_b32 v61, v5, s13, 0x64006400
	;; [unrolled: 1-line block ×4, first 2 shown]
	v_pk_add_f16 v53, v33, v53
	v_and_or_b32 v10, v4, s18, 0x64006400
	v_and_or_b32 v11, v4, s13, 0x64006400
	;; [unrolled: 1-line block ×4, first 2 shown]
	v_lshrrev_b32_e32 v4, 8, v4
	v_and_or_b32 v54, v7, s13, 0x64006400
	v_and_or_b32 v55, v7, s51, 0x64006400
	;; [unrolled: 1-line block ×3, first 2 shown]
	v_pk_fma_f16 v19, 0x2400, v19, v45 op_sel_hi:[0,1,1]
	v_pk_fma_f16 v5, 0x2400, v5, v45 op_sel_hi:[0,1,1]
	v_pk_mul_f16 v45, v29, v53
	v_lshrrev_b32_e32 v7, 8, v7
	v_and_or_b32 v57, v4, s18, 0x64006400
	v_and_or_b32 v58, v4, s13, 0x64006400
	;; [unrolled: 1-line block ×8, first 2 shown]
	v_lshlrev_b32_e32 v84, 16, v45
	v_and_or_b32 v66, v7, s18, 0x64006400
	v_and_or_b32 v67, v7, s13, 0x64006400
	;; [unrolled: 1-line block ×4, first 2 shown]
	v_pk_add_f16 v10, v36, v10
	v_pk_fma_f16 v11, 0x3400, v11, v46 op_sel_hi:[0,1,1]
	v_pk_fma_f16 v13, 0x2c00, v13, v47 op_sel_hi:[0,1,1]
	;; [unrolled: 1-line block ×3, first 2 shown]
	v_pk_add_f16 v16, v35, v16
	v_pk_fma_f16 v17, 0x3400, v17, v43 op_sel_hi:[0,1,1]
	v_pk_fma_f16 v18, 0x2c00, v18, v44 op_sel_hi:[0,1,1]
	v_pk_add_f16 v49, v34, v49
	v_pk_fma_f16 v50, 0x3400, v50, v40 op_sel_hi:[0,1,1]
	v_pk_fma_f16 v51, 0x2c00, v51, v41 op_sel_hi:[0,1,1]
	;; [unrolled: 1-line block ×6, first 2 shown]
	v_pk_add_f16 v36, v36, v57
	v_pk_fma_f16 v46, 0x3400, v58, v46 op_sel_hi:[0,1,1]
	v_pk_fma_f16 v47, 0x2c00, v59, v47 op_sel_hi:[0,1,1]
	;; [unrolled: 1-line block ×3, first 2 shown]
	v_pk_add_f16 v35, v35, v60
	v_pk_fma_f16 v43, 0x3400, v61, v43 op_sel_hi:[0,1,1]
	v_pk_fma_f16 v44, 0x2c00, v62, v44 op_sel_hi:[0,1,1]
	v_pk_add_f16 v34, v34, v63
	v_pk_fma_f16 v40, 0x3400, v64, v40 op_sel_hi:[0,1,1]
	v_pk_fma_f16 v41, 0x2c00, v65, v41 op_sel_hi:[0,1,1]
	;; [unrolled: 1-line block ×3, first 2 shown]
	v_pk_add_f16 v33, v33, v66
	v_pk_fma_f16 v37, 0x3400, v67, v37 op_sel_hi:[0,1,1]
	v_pk_fma_f16 v38, 0x2c00, v68, v38 op_sel_hi:[0,1,1]
	;; [unrolled: 1-line block ×3, first 2 shown]
	v_pk_mul_f16 v39, v32, v10
	v_pk_mul_f16 v16, v31, v16
	;; [unrolled: 1-line block ×31, first 2 shown]
	v_dual_lshlrev_b32 v78, 16, v16 :: v_dual_lshrrev_b32 v79, 16, v42
	v_dual_lshrrev_b32 v77, 16, v39 :: v_dual_lshlrev_b32 v80, 16, v50
	v_and_b32_e32 v88, 0xffff, v42
	v_and_b32_e32 v86, 0xffff, v39
	;; [unrolled: 1-line block ×4, first 2 shown]
	v_dual_lshlrev_b32 v81, 16, v17 :: v_dual_lshrrev_b32 v74, 16, v48
	v_and_b32_e32 v82, 0xffff, v49
	v_and_b32_e32 v83, 0xffff, v48
	v_dual_lshrrev_b32 v73, 16, v49 :: v_dual_lshlrev_b32 v69, 16, v54
	v_and_b32_e32 v75, 0xffff0000, v50
	v_and_b32_e32 v76, 0xffff0000, v17
	v_dual_lshlrev_b32 v70, 16, v18 :: v_dual_lshrrev_b32 v62, 16, v51
	v_and_b32_e32 v71, 0xffff, v51
	v_and_b32_e32 v72, 0xffff, v53
	v_dual_lshrrev_b32 v61, 16, v53 :: v_dual_lshlrev_b32 v63, 16, v56
	v_and_b32_e32 v66, 0xffff0000, v54
	v_and_b32_e32 v65, 0xffff0000, v18
	;; [unrolled: 6-line block ×6, first 2 shown]
	v_lshlrev_b32_e32 v16, 16, v10
	v_and_b32_e32 v19, 0xffff, v13
	v_and_b32_e32 v17, 0xffff, v14
	global_store_b64 v[2:3], v[0:1], off
	s_cbranch_vccnz .LBB3_16
; %bb.14:                               ;   in Loop: Header=BB3_8 Depth=1
	v_dual_mov_b32 v89, s3 :: v_dual_bitop2_b32 v95, v84, v88 bitop3:0x54
	v_or_b32_e32 v107, v63, v67
	v_or_b32_e32 v106, v64, v68
	s_wait_xcnt 0x0
	ds_load_b128 v[0:3], v89 offset:64
	ds_load_b128 v[90:93], v89 offset:80
	;; [unrolled: 1-line block ×3, first 2 shown]
	s_wait_dscnt 0x2
	v_mad_u32 v108, v0, s16, v12
	s_wait_dscnt 0x1
	v_mad_u32 v90, v90, s16, v12
	v_mad_u32 v110, v1, s5, v15
	;; [unrolled: 1-line block ×5, first 2 shown]
	ds_load_b128 v[0:3], v89 offset:112
	v_mad_u32 v92, v92, s16, v12
	v_mad_u32 v118, v93, s5, v15
	s_wait_dscnt 0x1
	v_mad_u32 v120, v5, s5, v15
	v_mad_u32 v4, v4, s16, v12
	v_dual_ashrrev_i32 v109, 31, v108 :: v_dual_bitop2_b32 v94, v78, v86 bitop3:0x54
	v_dual_ashrrev_i32 v91, 31, v90 :: v_dual_bitop2_b32 v101, v75, v73 bitop3:0x54
	;; [unrolled: 1-line block ×8, first 2 shown]
	v_lshl_add_u64 v[108:109], v[108:109], 1, s[0:1]
	v_lshl_add_u64 v[90:91], v[90:91], 1, s[0:1]
	v_mad_u32 v6, v6, s16, v12
	v_or_b32_e32 v102, v70, v72
	v_dual_ashrrev_i32 v5, 31, v4 :: v_dual_bitop2_b32 v105, v66, v62 bitop3:0x54
	v_dual_ashrrev_i32 v121, 31, v120 :: v_dual_bitop2_b32 v104, v65, v61 bitop3:0x54
	v_lshl_add_u64 v[110:111], v[110:111], 1, s[0:1]
	v_lshl_add_u64 v[116:117], v[116:117], 1, s[0:1]
	;; [unrolled: 1-line block ×5, first 2 shown]
	s_clause 0x6
	global_store_b64 v[108:109], v[94:95], off
	global_store_b64 v[110:111], v[96:97], off
	;; [unrolled: 1-line block ×7, first 2 shown]
	s_wait_xcnt 0x0
	v_mad_u32 v92, v7, s5, v15
	s_wait_dscnt 0x0
	v_mad_u32 v102, v2, s5, v12
	v_mad_u32 v0, v0, s16, v12
	;; [unrolled: 1-line block ×3, first 2 shown]
	v_lshl_add_u64 v[94:95], v[118:119], 1, s[0:1]
	v_or_b32_e32 v97, v59, v57
	v_or_b32_e32 v96, v60, v58
	v_ashrrev_i32_e32 v7, 31, v6
	v_or_b32_e32 v91, v51, v54
	v_or_b32_e32 v90, v52, v55
	v_lshl_add_u64 v[4:5], v[4:5], 1, s[0:1]
	v_dual_ashrrev_i32 v93, 31, v92 :: v_dual_ashrrev_i32 v103, 31, v102
	v_ashrrev_i32_e32 v1, 31, v0
	v_ashrrev_i32_e32 v101, 31, v100
	global_store_b64 v[94:95], v[96:97], off
	s_wait_xcnt 0x0
	v_lshl_add_u64 v[94:95], v[120:121], 1, s[0:1]
	v_or_b32_e32 v97, v56, v53
	v_or_b32_e32 v96, v48, v45
	;; [unrolled: 1-line block ×4, first 2 shown]
	v_lshl_add_u64 v[6:7], v[6:7], 1, s[0:1]
	s_clause 0x2
	global_store_b64 v[4:5], v[90:91], off
	global_store_b64 v[94:95], v[96:97], off
	;; [unrolled: 1-line block ×3, first 2 shown]
	s_wait_xcnt 0x2
	v_lshl_add_u64 v[4:5], v[92:93], 1, s[0:1]
	s_wait_xcnt 0x0
	v_or_b32_e32 v7, v44, v43
	v_or_b32_e32 v6, v39, v34
	v_lshl_add_u64 v[96:97], v[102:103], 1, s[0:1]
	v_or_b32_e32 v99, v18, v19
	v_or_b32_e32 v98, v16, v17
	;; [unrolled: 1-line block ×4, first 2 shown]
	v_lshl_add_u64 v[0:1], v[0:1], 1, s[0:1]
	v_lshl_add_u64 v[92:93], v[100:101], 1, s[0:1]
	v_or_b32_e32 v95, v41, v36
	v_or_b32_e32 v94, v42, v37
	s_clause 0x3
	global_store_b64 v[4:5], v[6:7], off
	global_store_b64 v[0:1], v[90:91], off
	;; [unrolled: 1-line block ×4, first 2 shown]
	s_cbranch_execnz .LBB3_7
	s_branch .LBB3_17
.LBB3_15:                               ;   in Loop: Header=BB3_8 Depth=1
                                        ; implicit-def: $vgpr3
	s_branch .LBB3_12
.LBB3_16:                               ;   in Loop: Header=BB3_8 Depth=1
                                        ; implicit-def: $vgpr3
.LBB3_17:                               ;   in Loop: Header=BB3_8 Depth=1
	s_wait_xcnt 0x0
	v_dual_add_nc_u32 v0, s37, v20 :: v_dual_add_nc_u32 v2, s36, v20
	v_dual_add_nc_u32 v6, s34, v20 :: v_dual_bitop2_b32 v4, v78, v86 bitop3:0x54
	v_or_b32_e32 v5, v84, v88
	s_delay_alu instid0(VALU_DEP_3) | instskip(NEXT) | instid1(VALU_DEP_4)
	v_dual_ashrrev_i32 v1, 31, v0 :: v_dual_bitop2_b32 v79, v87, v79 bitop3:0x54
	v_dual_ashrrev_i32 v3, 31, v2 :: v_dual_add_nc_u32 v84, s35, v20
	v_or_b32_e32 v87, v80, v82
	v_dual_ashrrev_i32 v7, 31, v6 :: v_dual_bitop2_b32 v78, v85, v77 bitop3:0x54
	s_delay_alu instid0(VALU_DEP_4) | instskip(NEXT) | instid1(VALU_DEP_4)
	v_lshl_add_u64 v[0:1], v[0:1], 1, s[0:1]
	v_lshl_add_u64 v[2:3], v[2:3], 1, s[0:1]
	v_dual_add_nc_u32 v80, s31, v20 :: v_dual_bitop2_b32 v86, v81, v83 bitop3:0x54
	v_ashrrev_i32_e32 v85, 31, v84
	v_lshl_add_u64 v[6:7], v[6:7], 1, s[0:1]
	s_clause 0x2
	global_store_b64 v[0:1], v[4:5], off
	global_store_b64 v[2:3], v[78:79], off
	;; [unrolled: 1-line block ×3, first 2 shown]
	s_wait_xcnt 0x2
	v_dual_add_nc_u32 v4, s33, v20 :: v_dual_bitop2_b32 v71, v69, v71 bitop3:0x54
	s_wait_xcnt 0x1
	v_dual_ashrrev_i32 v81, 31, v80 :: v_dual_bitop2_b32 v2, v76, v74 bitop3:0x54
	v_or_b32_e32 v3, v75, v73
	v_lshl_add_u64 v[0:1], v[84:85], 1, s[0:1]
	v_or_b32_e32 v70, v70, v72
	v_add_nc_u32_e32 v72, s29, v20
	v_ashrrev_i32_e32 v5, 31, v4
	s_wait_xcnt 0x0
	v_lshl_add_u64 v[6:7], v[80:81], 1, s[0:1]
	global_store_b64 v[0:1], v[2:3], off
	s_wait_xcnt 0x0
	v_add_nc_u32_e32 v0, s30, v20
	v_ashrrev_i32_e32 v73, 31, v72
	v_lshl_add_u64 v[2:3], v[4:5], 1, s[0:1]
	v_or_b32_e32 v5, v66, v62
	s_delay_alu instid0(VALU_DEP_4)
	v_dual_ashrrev_i32 v1, 31, v0 :: v_dual_bitop2_b32 v4, v65, v61 bitop3:0x54
	global_store_b64 v[6:7], v[70:71], off
	s_wait_xcnt 0x0
	v_lshl_add_u64 v[6:7], v[72:73], 1, s[0:1]
	v_or_b32_e32 v63, v63, v67
	v_or_b32_e32 v59, v59, v57
	global_store_b64 v[2:3], v[4:5], off
	s_wait_xcnt 0x0
	v_add_nc_u32_e32 v2, s28, v20
	v_or_b32_e32 v62, v64, v68
	v_add_nc_u32_e32 v64, s27, v20
	v_lshl_add_u64 v[0:1], v[0:1], 1, s[0:1]
	v_or_b32_e32 v58, v60, v58
	v_dual_ashrrev_i32 v3, 31, v2 :: v_dual_bitop2_b32 v53, v56, v53 bitop3:0x54
	s_delay_alu instid0(VALU_DEP_4)
	v_ashrrev_i32_e32 v65, 31, v64
	s_clause 0x1
	global_store_b64 v[6:7], v[62:63], off
	global_store_b64 v[0:1], v[58:59], off
	s_wait_xcnt 0x0
	v_dual_add_nc_u32 v0, s25, v20 :: v_dual_bitop2_b32 v7, v51, v54 bitop3:0x54
	v_or_b32_e32 v6, v52, v55
	v_lshl_add_u64 v[4:5], v[64:65], 1, s[0:1]
	v_lshl_add_u64 v[2:3], v[2:3], 1, s[0:1]
	s_delay_alu instid0(VALU_DEP_4) | instskip(SKIP_3) | instid1(VALU_DEP_4)
	v_ashrrev_i32_e32 v1, 31, v0
	v_dual_add_nc_u32 v54, s26, v20 :: v_dual_bitop2_b32 v52, v48, v45 bitop3:0x54
	v_or_b32_e32 v49, v46, v49
	v_or_b32_e32 v48, v47, v50
	v_lshl_add_u64 v[0:1], v[0:1], 1, s[0:1]
	global_store_b64 v[4:5], v[6:7], off
	s_wait_xcnt 0x0
	v_dual_add_nc_u32 v4, s23, v20 :: v_dual_ashrrev_i32 v55, 31, v54
	s_clause 0x1
	global_store_b64 v[2:3], v[52:53], off
	global_store_b64 v[0:1], v[48:49], off
	s_wait_xcnt 0x1
	v_dual_add_nc_u32 v2, s24, v20 :: v_dual_bitop2_b32 v7, v44, v43 bitop3:0x54
	v_ashrrev_i32_e32 v5, 31, v4
	v_dual_add_nc_u32 v44, s22, v20 :: v_dual_bitop2_b32 v6, v39, v34 bitop3:0x54
	s_delay_alu instid0(VALU_DEP_3) | instskip(SKIP_1) | instid1(VALU_DEP_2)
	v_dual_ashrrev_i32 v3, 31, v2 :: v_dual_bitop2_b32 v35, v35, v40 bitop3:0x54
	s_add_co_i32 s53, s2, 31
	v_dual_ashrrev_i32 v45, 31, v44 :: v_dual_bitop2_b32 v34, v33, v38 bitop3:0x54
	s_wait_xcnt 0x0
	v_lshl_add_u64 v[0:1], v[54:55], 1, s[0:1]
	v_lshl_add_u64 v[38:39], v[2:3], 1, s[0:1]
	v_dual_mov_b32 v3, s53 :: v_dual_bitop2_b32 v41, v41, v36 bitop3:0x54
	v_lshl_add_u64 v[4:5], v[4:5], 1, s[0:1]
	v_or_b32_e32 v40, v42, v37
	v_lshl_add_u64 v[36:37], v[44:45], 1, s[0:1]
	v_or_b32_e32 v19, v18, v19
	v_or_b32_e32 v18, v16, v17
	s_clause 0x3
	global_store_b64 v[0:1], v[6:7], off
	global_store_b64 v[4:5], v[34:35], off
	;; [unrolled: 1-line block ×4, first 2 shown]
	s_branch .LBB3_7
.LBB3_18:
	s_sendmsg sendmsg(MSG_DEALLOC_VGPRS)
	s_endpgm
	.section	.rodata,"a",@progbits
	.p2align	6, 0x0
	.amdhsa_kernel _ZN4vllm4gptq31reconstruct_exllama_2bit_kernelEPKjPKiS2_PK6__halfiiibPS5_
		.amdhsa_group_segment_fixed_size 512
		.amdhsa_private_segment_fixed_size 0
		.amdhsa_kernarg_size 56
		.amdhsa_user_sgpr_count 2
		.amdhsa_user_sgpr_dispatch_ptr 0
		.amdhsa_user_sgpr_queue_ptr 0
		.amdhsa_user_sgpr_kernarg_segment_ptr 1
		.amdhsa_user_sgpr_dispatch_id 0
		.amdhsa_user_sgpr_kernarg_preload_length 0
		.amdhsa_user_sgpr_kernarg_preload_offset 0
		.amdhsa_user_sgpr_private_segment_size 0
		.amdhsa_wavefront_size32 1
		.amdhsa_uses_dynamic_stack 0
		.amdhsa_enable_private_segment 0
		.amdhsa_system_sgpr_workgroup_id_x 1
		.amdhsa_system_sgpr_workgroup_id_y 1
		.amdhsa_system_sgpr_workgroup_id_z 0
		.amdhsa_system_sgpr_workgroup_info 0
		.amdhsa_system_vgpr_workitem_id 0
		.amdhsa_next_free_vgpr 122
		.amdhsa_next_free_sgpr 56
		.amdhsa_named_barrier_count 0
		.amdhsa_reserve_vcc 1
		.amdhsa_float_round_mode_32 0
		.amdhsa_float_round_mode_16_64 0
		.amdhsa_float_denorm_mode_32 3
		.amdhsa_float_denorm_mode_16_64 3
		.amdhsa_fp16_overflow 0
		.amdhsa_memory_ordered 1
		.amdhsa_forward_progress 1
		.amdhsa_inst_pref_size 63
		.amdhsa_round_robin_scheduling 0
		.amdhsa_exception_fp_ieee_invalid_op 0
		.amdhsa_exception_fp_denorm_src 0
		.amdhsa_exception_fp_ieee_div_zero 0
		.amdhsa_exception_fp_ieee_overflow 0
		.amdhsa_exception_fp_ieee_underflow 0
		.amdhsa_exception_fp_ieee_inexact 0
		.amdhsa_exception_int_div_zero 0
	.end_amdhsa_kernel
	.text
.Lfunc_end3:
	.size	_ZN4vllm4gptq31reconstruct_exllama_2bit_kernelEPKjPKiS2_PK6__halfiiibPS5_, .Lfunc_end3-_ZN4vllm4gptq31reconstruct_exllama_2bit_kernelEPKjPKiS2_PK6__halfiiibPS5_
                                        ; -- End function
	.set _ZN4vllm4gptq31reconstruct_exllama_2bit_kernelEPKjPKiS2_PK6__halfiiibPS5_.num_vgpr, 122
	.set _ZN4vllm4gptq31reconstruct_exllama_2bit_kernelEPKjPKiS2_PK6__halfiiibPS5_.num_agpr, 0
	.set _ZN4vllm4gptq31reconstruct_exllama_2bit_kernelEPKjPKiS2_PK6__halfiiibPS5_.numbered_sgpr, 56
	.set _ZN4vllm4gptq31reconstruct_exllama_2bit_kernelEPKjPKiS2_PK6__halfiiibPS5_.num_named_barrier, 0
	.set _ZN4vllm4gptq31reconstruct_exllama_2bit_kernelEPKjPKiS2_PK6__halfiiibPS5_.private_seg_size, 0
	.set _ZN4vllm4gptq31reconstruct_exllama_2bit_kernelEPKjPKiS2_PK6__halfiiibPS5_.uses_vcc, 1
	.set _ZN4vllm4gptq31reconstruct_exllama_2bit_kernelEPKjPKiS2_PK6__halfiiibPS5_.uses_flat_scratch, 0
	.set _ZN4vllm4gptq31reconstruct_exllama_2bit_kernelEPKjPKiS2_PK6__halfiiibPS5_.has_dyn_sized_stack, 0
	.set _ZN4vllm4gptq31reconstruct_exllama_2bit_kernelEPKjPKiS2_PK6__halfiiibPS5_.has_recursion, 0
	.set _ZN4vllm4gptq31reconstruct_exllama_2bit_kernelEPKjPKiS2_PK6__halfiiibPS5_.has_indirect_call, 0
	.section	.AMDGPU.csdata,"",@progbits
; Kernel info:
; codeLenInByte = 7980
; TotalNumSgprs: 58
; NumVgprs: 122
; ScratchSize: 0
; MemoryBound: 0
; FloatMode: 240
; IeeeMode: 1
; LDSByteSize: 512 bytes/workgroup (compile time only)
; SGPRBlocks: 0
; VGPRBlocks: 7
; NumSGPRsForWavesPerEU: 58
; NumVGPRsForWavesPerEU: 122
; NamedBarCnt: 0
; Occupancy: 8
; WaveLimiterHint : 0
; COMPUTE_PGM_RSRC2:SCRATCH_EN: 0
; COMPUTE_PGM_RSRC2:USER_SGPR: 2
; COMPUTE_PGM_RSRC2:TRAP_HANDLER: 0
; COMPUTE_PGM_RSRC2:TGID_X_EN: 1
; COMPUTE_PGM_RSRC2:TGID_Y_EN: 1
; COMPUTE_PGM_RSRC2:TGID_Z_EN: 0
; COMPUTE_PGM_RSRC2:TIDIG_COMP_CNT: 0
	.text
	.protected	_ZN4vllm4gptq32gemm_half_q_half_alt_4bit_kernelEPK7__half2PKjP6__halfPKS6_S5_PKiiiib ; -- Begin function _ZN4vllm4gptq32gemm_half_q_half_alt_4bit_kernelEPK7__half2PKjP6__halfPKS6_S5_PKiiiib
	.globl	_ZN4vllm4gptq32gemm_half_q_half_alt_4bit_kernelEPK7__half2PKjP6__halfPKS6_S5_PKiiiib
	.p2align	8
	.type	_ZN4vllm4gptq32gemm_half_q_half_alt_4bit_kernelEPK7__half2PKjP6__halfPKS6_S5_PKiiiib,@function
_ZN4vllm4gptq32gemm_half_q_half_alt_4bit_kernelEPK7__half2PKjP6__halfPKS6_S5_PKiiiib: ; @_ZN4vllm4gptq32gemm_half_q_half_alt_4bit_kernelEPK7__half2PKjP6__halfPKS6_S5_PKiiiib
; %bb.0:
	s_load_b128 s[12:15], s[2:3], 0x30
	s_bfe_u32 s4, ttmp6, 0x40014
	s_lshr_b32 s5, ttmp7, 16
	s_add_co_i32 s4, s4, 1
	s_bfe_u32 s7, ttmp6, 0x40010
	s_mul_i32 s4, s5, s4
	s_bfe_u32 s6, ttmp6, 0x40008
	s_and_b32 s8, ttmp7, 0xffff
	s_add_co_i32 s7, s7, 1
	s_add_co_i32 s6, s6, s4
	s_mul_i32 s4, s8, s7
	s_bfe_u32 s7, ttmp6, 0x40004
	s_getreg_b32 s19, hwreg(HW_REG_IB_STS2, 6, 4)
	s_add_co_i32 s7, s7, s4
	s_cmp_eq_u32 s19, 0
	s_mov_b32 s23, 0
	s_cselect_b32 s25, s5, s6
	s_cselect_b32 s26, s8, s7
	s_lshl_b32 s18, s25, 4
	s_lshl_b32 s20, s26, 3
	s_wait_kmcnt 0x0
	s_sub_co_i32 s4, s13, s18
	s_delay_alu instid0(SALU_CYCLE_1) | instskip(SKIP_4) | instid1(VALU_DEP_2)
	v_cvt_f64_u32_e32 v[2:3], s4
	s_sub_co_i32 s4, s12, s20
	s_mov_b32 s12, exec_lo
	v_cvt_f64_u32_e32 v[4:5], s4
	s_load_b256 s[4:11], s[2:3], 0x8
	v_min_num_f64_e32 v[2:3], 0x40300000, v[2:3]
	s_delay_alu instid0(VALU_DEP_2) | instskip(NEXT) | instid1(VALU_DEP_2)
	v_min_num_f64_e32 v[4:5], 0x40200000, v[4:5]
	v_mul_f64_e32 v[2:3], 4.0, v[2:3]
	s_delay_alu instid0(VALU_DEP_2) | instskip(NEXT) | instid1(VALU_DEP_2)
	v_cvt_i32_f64_e32 v1, v[4:5]
	v_cvt_i32_f64_e32 v2, v[2:3]
	v_and_b32_e32 v3, 0x3ff, v0
	s_delay_alu instid0(VALU_DEP_3) | instskip(NEXT) | instid1(VALU_DEP_3)
	v_readfirstlane_b32 s21, v1
	v_readfirstlane_b32 s22, v2
	s_delay_alu instid0(VALU_DEP_3)
	v_cmpx_lt_u32_e64 v3, v2
	s_cbranch_execz .LBB4_11
; %bb.1:
	s_cmp_lt_i32 s21, 1
	s_cbranch_scc1 .LBB4_11
; %bb.2:
	s_load_b64 s[16:17], s[2:3], 0x0
	s_lshl_b32 s24, s13, 2
	s_lshl_b32 s25, s25, 6
	s_cmp_lt_u32 s21, 26
	s_cselect_b32 s28, -1, 0
	s_delay_alu instid0(SALU_CYCLE_1)
	s_and_b32 vcc_lo, exec_lo, s28
	s_cbranch_vccnz .LBB4_7
; %bb.3:
	v_add_nc_u32_e32 v2, s25, v3
	s_add_co_i32 s27, s21, -1
	s_sub_co_i32 s28, 0, s24
	s_mul_i32 s26, s26, s13
	s_cmp_gt_i32 s24, -1
	v_lshl_add_u32 v1, s26, 5, v2
	s_cselect_b32 s26, -1, 0
	s_delay_alu instid0(SALU_CYCLE_1)
	v_cndmask_b32_e64 v4, 0, -1, s26
	s_and_b32 s26, s26, exec_lo
	s_cselect_b32 s26, s24, s28
	s_mov_b32 s28, -1
	s_mul_i32 s29, s26, s27
	v_xor_b32_e32 v1, v1, v4
	s_mul_hi_u32 s26, s26, s27
	s_mov_b32 s27, 0
	s_cmp_eq_u32 s26, 0
	s_delay_alu instid0(VALU_DEP_1) | instskip(SKIP_2) | instid1(SALU_CYCLE_1)
	v_cmp_le_u32_e32 vcc_lo, s29, v1
	v_mov_b32_e32 v1, 0
	s_cselect_b32 s26, -1, 0
	s_and_b32 s29, vcc_lo, s26
	s_delay_alu instid0(SALU_CYCLE_1)
	s_and_saveexec_b32 s26, s29
	s_cbranch_execz .LBB4_8
; %bb.4:
	v_dual_mov_b32 v1, v2 :: v_dual_mov_b32 v5, 0
	v_lshl_or_b32 v6, v3, 2, 0x2000
	s_and_b32 s28, s21, 0x7ffffffe
	s_mov_b32 s29, s20
	s_mov_b32 s30, s24
	;; [unrolled: 1-line block ×4, first 2 shown]
.LBB4_5:                                ; =>This Inner Loop Header: Depth=1
	s_add_co_i32 s34, s27, s20
	s_add_co_i32 s35, s31, s29
	v_mad_u32 v4, s24, s34, v2
	s_wait_xcnt 0x0
	v_mad_u32 v8, s30, s35, v1
	v_mov_b32_e32 v9, v5
	s_add_co_i32 s33, s33, -2
	s_add_co_i32 s27, s27, 2
	s_add_co_i32 s31, s31, 2
	s_cmp_lg_u32 s33, 0
	s_wait_kmcnt 0x0
	s_delay_alu instid0(VALU_DEP_3) | instskip(NEXT) | instid1(VALU_DEP_3)
	v_lshl_add_u64 v[10:11], v[4:5], 2, s[16:17]
	v_lshl_add_u64 v[8:9], v[8:9], 2, s[16:17]
	s_clause 0x1
	global_load_b32 v4, v[10:11], off
	global_load_b32 v7, v[8:9], off
	s_wait_loadcnt 0x0
	ds_store_2addr_stride64_b32 v6, v4, v7 offset1:1
	v_add_nc_u32_e32 v6, 0x200, v6
	s_cbranch_scc1 .LBB4_5
; %bb.6:
	s_cmp_lg_u32 s28, s21
	v_mov_b32_e32 v1, s28
	s_cselect_b32 s27, -1, 0
	s_delay_alu instid0(SALU_CYCLE_1) | instskip(SKIP_2) | instid1(SALU_CYCLE_1)
	s_or_not1_b32 s28, s27, exec_lo
	s_wait_xcnt 0x0
	s_or_b32 exec_lo, exec_lo, s26
	s_and_b32 exec_lo, exec_lo, s28
	s_cbranch_execnz .LBB4_9
	s_branch .LBB4_11
.LBB4_7:
	v_mov_b32_e32 v1, 0
	s_and_b32 exec_lo, exec_lo, s28
	s_cbranch_execnz .LBB4_9
	s_branch .LBB4_11
.LBB4_8:
	s_or_b32 exec_lo, exec_lo, s26
	s_delay_alu instid0(SALU_CYCLE_1)
	s_and_b32 exec_lo, exec_lo, s28
	s_cbranch_execz .LBB4_11
.LBB4_9:
	s_delay_alu instid0(VALU_DEP_1) | instskip(SKIP_1) | instid1(VALU_DEP_2)
	v_dual_add_nc_u32 v2, s20, v1 :: v_dual_lshlrev_b32 v4, 8, v1
	v_dual_sub_nc_u32 v1, s21, v1 :: v_dual_lshlrev_b32 v5, 2, v3
	v_mul_lo_u32 v2, s13, v2
	s_mov_b32 s13, 0
	s_delay_alu instid0(VALU_DEP_2) | instskip(NEXT) | instid1(VALU_DEP_2)
	v_add3_u32 v4, v4, v5, 0x2000
	v_lshlrev_b32_e32 v2, 2, v2
	s_delay_alu instid0(VALU_DEP_1)
	v_add3_u32 v2, v3, v2, s25
.LBB4_10:                               ; =>This Inner Loop Header: Depth=1
	s_wait_kmcnt 0x0
	global_load_b32 v5, v2, s[16:17] scale_offset
	s_wait_xcnt 0x0
	v_dual_add_nc_u32 v1, -1, v1 :: v_dual_add_nc_u32 v2, s24, v2
	s_delay_alu instid0(VALU_DEP_1)
	v_cmp_eq_u32_e32 vcc_lo, 0, v1
	s_or_b32 s13, vcc_lo, s13
	s_wait_loadcnt 0x0
	ds_store_b32 v4, v5
	v_add_nc_u32_e32 v4, 0x100, v4
	s_and_not1_b32 exec_lo, exec_lo, s13
	s_cbranch_execnz .LBB4_10
.LBB4_11:
	s_or_b32 exec_lo, exec_lo, s12
	v_bfe_u32 v1, v3, 3, 4
	v_dual_lshrrev_b32 v2, 7, v3 :: v_dual_lshrrev_b32 v4, 3, v3
	s_load_b64 s[12:13], s[2:3], 0x28
	v_and_b32_e32 v5, 7, v3
	s_delay_alu instid0(VALU_DEP_3) | instskip(NEXT) | instid1(VALU_DEP_3)
	v_cvt_f32_ubyte0_e32 v1, v1
	v_dual_sub_nc_u32 v9, 16, v2 :: v_dual_lshlrev_b32 v10, 5, v4
	s_delay_alu instid0(VALU_DEP_3) | instskip(NEXT) | instid1(VALU_DEP_3)
	v_lshlrev_b32_e32 v8, 2, v5
	v_cvt_f16_f32_e32 v1, v1
	s_delay_alu instid0(VALU_DEP_3) | instskip(NEXT) | instid1(VALU_DEP_3)
	v_dual_add_nc_u32 v5, 16, v4 :: v_dual_bitop2_b32 v11, 30, v9 bitop3:0x40
	v_or_b32_e32 v12, v10, v8
	s_delay_alu instid0(VALU_DEP_3) | instskip(NEXT) | instid1(VALU_DEP_3)
	v_and_b32_e32 v2, 0xffff, v1
	v_mov_b32_e32 v13, v11
	s_delay_alu instid0(VALU_DEP_4) | instskip(NEXT) | instid1(VALU_DEP_3)
	v_mov_b64_e32 v[6:7], v[4:5]
	v_mov_b32_e32 v1, v2
.LBB4_12:                               ; =>This Inner Loop Header: Depth=1
	s_delay_alu instid0(VALU_DEP_2) | instskip(SKIP_1) | instid1(VALU_DEP_2)
	v_dual_lshrrev_b32 v5, 4, v7 :: v_dual_lshrrev_b32 v14, 4, v6
	v_dual_add_nc_u32 v6, 32, v6 :: v_dual_add_nc_u32 v7, 32, v7
	v_cvt_f32_u32_e32 v5, v5
	s_delay_alu instid0(VALU_DEP_3) | instskip(NEXT) | instid1(VALU_DEP_2)
	v_cvt_f32_u32_e32 v14, v14
	v_cvt_f16_f32_e32 v5, v5
	s_delay_alu instid0(VALU_DEP_2) | instskip(NEXT) | instid1(VALU_DEP_1)
	v_cvt_f16_f32_e32 v14, v14
	v_dual_lshlrev_b32 v5, 16, v5 :: v_dual_lshlrev_b32 v14, 16, v14
	v_add_nc_u32_e32 v13, -2, v13
	s_delay_alu instid0(VALU_DEP_2) | instskip(NEXT) | instid1(VALU_DEP_3)
	v_or_b32_e32 v5, v5, v1
	v_or_b32_e32 v14, v14, v2
	s_delay_alu instid0(VALU_DEP_3) | instskip(SKIP_3) | instid1(SALU_CYCLE_1)
	v_cmp_eq_u32_e32 vcc_lo, 0, v13
	ds_store_2addr_stride64_b32 v12, v14, v5 offset1:2
	v_add_nc_u32_e32 v12, 0x400, v12
	s_or_b32 s23, vcc_lo, s23
	s_and_not1_b32 exec_lo, exec_lo, s23
	s_cbranch_execnz .LBB4_12
; %bb.13:
	s_or_b32 exec_lo, exec_lo, s23
	s_wait_xcnt 0x0
	s_mov_b32 s2, exec_lo
	v_cmpx_ne_u32_e64 v9, v11
	s_cbranch_execz .LBB4_16
; %bb.14:
	v_lshl_add_u32 v4, v11, 4, v4
	v_lshlrev_b32_e32 v1, 9, v9
	s_mov_b32 s3, 0
	s_delay_alu instid0(VALU_DEP_1) | instskip(NEXT) | instid1(VALU_DEP_3)
	v_and_b32_e32 v5, 0x3c00, v1
	v_dual_add_nc_u32 v1, -16, v4 :: v_dual_lshrrev_b32 v4, 4, v4
	s_delay_alu instid0(VALU_DEP_2)
	v_add3_u32 v5, v5, v10, v8
.LBB4_15:                               ; =>This Inner Loop Header: Depth=1
	s_delay_alu instid0(VALU_DEP_2) | instskip(NEXT) | instid1(VALU_DEP_3)
	v_cvt_f32_u32_e32 v6, v4
	v_dual_add_nc_u32 v1, 16, v1 :: v_dual_add_nc_u32 v4, 1, v4
	s_delay_alu instid0(VALU_DEP_2) | instskip(NEXT) | instid1(VALU_DEP_2)
	v_cvt_f16_f32_e32 v6, v6
	v_cmp_lt_u32_e32 vcc_lo, 0xef, v1
	s_delay_alu instid0(VALU_DEP_2) | instskip(SKIP_1) | instid1(VALU_DEP_1)
	v_lshlrev_b32_e32 v6, 16, v6
	s_or_b32 s3, vcc_lo, s3
	v_or_b32_e32 v6, v6, v2
	ds_store_b32 v5, v6
	v_add_nc_u32_e32 v5, 0x200, v5
	s_and_not1_b32 exec_lo, exec_lo, s3
	s_cbranch_execnz .LBB4_15
.LBB4_16:
	s_or_b32 exec_lo, exec_lo, s2
	s_load_b64 s[2:3], s[0:1], 0x4
	v_bfe_u32 v1, v0, 10, 10
	s_wait_xcnt 0x0
	s_bfe_u32 s1, ttmp6, 0x4000c
	v_bfe_u32 v0, v0, 20, 10
	s_add_co_i32 s1, s1, 1
	s_wait_kmcnt 0x0
	s_mov_b32 s17, 0
	s_mul_i32 s1, ttmp9, s1
	s_wait_dscnt 0x0
	s_barrier_signal -1
	s_barrier_wait -1
	v_mul_u32_u24_e32 v1, s3, v1
	s_lshr_b32 s0, s2, 16
	s_delay_alu instid0(SALU_CYCLE_1)
	s_mul_i32 s0, s0, s3
	s_delay_alu instid0(VALU_DEP_1) | instid1(SALU_CYCLE_1)
	v_mad_u32 v1, s0, v3, v1
	s_and_b32 s0, ttmp6, 15
	s_delay_alu instid0(SALU_CYCLE_1) | instskip(SKIP_3) | instid1(VALU_DEP_1)
	s_add_co_i32 s0, s0, s1
	s_cmp_eq_u32 s19, 0
	s_cselect_b32 s0, ttmp9, s0
	s_cmp_lt_i32 s22, 1
	v_add_lshl_u32 v1, v1, v0, 4
	v_mov_b32_e32 v4, 0
	v_lshl_add_u32 v0, s0, 7, v3
	s_delay_alu instid0(VALU_DEP_3) | instskip(NEXT) | instid1(VALU_DEP_3)
	v_add_nc_u32_e32 v9, 0x2800, v1
	v_dual_mov_b32 v5, v4 :: v_dual_mov_b32 v6, v4
	v_mov_b32_e32 v7, v4
	ds_store_b128 v1, v[4:7] offset:10240
	s_cbranch_scc1 .LBB4_22
; %bb.17:
	v_dual_lshlrev_b32 v1, 2, v3 :: v_dual_lshrrev_b32 v4, 3, v0
	s_ashr_i32 s0, s14, 31
	v_mad_u32 v5, s14, s18, v0
	s_lshr_b32 s0, s0, 29
	s_delay_alu instid0(VALU_DEP_2)
	v_dual_mov_b32 v3, v0 :: v_dual_bitop2_b32 v2, 28, v1 bitop3:0x40
	s_add_co_i32 s0, s14, s0
	s_lshl_b32 s16, s18, 3
	s_ashr_i32 s23, s0, 3
	s_and_b32 s0, s15, 1
	v_mov_b32_e32 v1, v2
	s_add_co_i32 s15, s0, -1
	s_cmp_gt_i32 s21, 0
	s_mov_b32 s24, s15
	s_cselect_b32 s25, -1, 0
	s_mov_b32 s26, s14
	s_movk_i32 s27, 0x2000
	s_mov_b32 s28, s17
	s_branch .LBB4_19
.LBB4_18:                               ;   in Loop: Header=BB4_19 Depth=1
	v_add_nc_u32_e32 v5, s14, v5
	s_add_co_i32 s28, s28, 4
	s_add_co_i32 s27, s27, 16
	s_cmp_ge_i32 s28, s22
	s_cbranch_scc1 .LBB4_22
.LBB4_19:                               ; =>This Loop Header: Depth=1
                                        ;     Child Loop BB4_21 Depth 2
	s_and_not1_b32 vcc_lo, exec_lo, s25
	s_cbranch_vccnz .LBB4_18
; %bb.20:                               ;   in Loop: Header=BB4_19 Depth=1
	s_lshl_b32 s30, s28, 1
	s_delay_alu instid0(SALU_CYCLE_1) | instskip(NEXT) | instid1(SALU_CYCLE_1)
	s_ashr_i32 s31, s30, 31
	s_add_nc_u64 s[0:1], s[30:31], s[16:17]
	s_add_co_i32 s30, s30, s16
	s_lshl_b64 s[0:1], s[0:1], 2
	s_ashr_i32 s31, s30, 31
	s_add_nc_u64 s[34:35], s[12:13], s[0:1]
	s_lshl_b64 s[30:31], s[30:31], 2
	s_clause 0x1
	s_load_b64 s[18:19], s[34:35], 0x18
	s_load_b128 s[0:3], s[34:35], 0x8
	s_add_nc_u64 s[30:31], s[12:13], s[30:31]
	global_load_b32 v6, v5, s[4:5] scale_offset
	s_load_b64 s[34:35], s[30:31], 0x0
	s_wait_kmcnt 0x0
	v_mad_u32 v10, s18, s14, v0
	v_mad_u32 v7, s19, s26, v3
	v_mad_u32 v11, s18, s23, v4
	v_mad_u32 v12, s19, s23, v4
	v_mad_u32 v14, s2, s14, v0
	v_mad_u32 v13, s3, s26, v3
	v_mad_u32 v16, s3, s23, v4
	v_mad_u32 v15, s2, s23, v4
	v_mad_u32 v18, s0, s14, v0
	v_mad_u32 v17, s1, s26, v3
	v_mad_u32 v20, s1, s23, v4
	s_clause 0x1
	global_load_u16 v23, v10, s[8:9] scale_offset
	global_load_u16 v24, v7, s[8:9] scale_offset
	s_clause 0x1
	global_load_b32 v25, v11, s[10:11] scale_offset
	global_load_b32 v26, v12, s[10:11] scale_offset
	v_mad_u32 v19, s0, s23, v4
	v_mad_u32 v22, s34, s14, v0
	;; [unrolled: 1-line block ×3, first 2 shown]
	s_wait_xcnt 0x3
	v_mad_u32 v10, s35, s23, v4
	s_wait_xcnt 0x2
	v_mad_u32 v7, s34, s23, v4
	s_clause 0x1
	global_load_u16 v11, v14, s[8:9] scale_offset
	global_load_u16 v12, v13, s[8:9] scale_offset
	s_clause 0x1
	global_load_b32 v27, v16, s[10:11] scale_offset
	global_load_b32 v28, v15, s[10:11] scale_offset
	s_clause 0x1
	global_load_u16 v29, v18, s[8:9] scale_offset
	global_load_u16 v30, v17, s[8:9] scale_offset
	s_clause 0x1
	global_load_b32 v31, v20, s[10:11] scale_offset
	global_load_b32 v32, v19, s[10:11] scale_offset
	;; [unrolled: 6-line block ×3, first 2 shown]
	s_mov_b32 s0, s27
	s_mov_b32 s1, s21
	s_wait_loadcnt 0x10
	s_wait_xcnt 0x0
	v_and_b32_e32 v7, 0xff, v6
	v_dual_lshrrev_b32 v10, 3, v6 :: v_dual_lshrrev_b32 v13, 11, v6
	v_lshrrev_b32_e32 v6, 19, v6
	s_delay_alu instid0(VALU_DEP_3) | instskip(NEXT) | instid1(VALU_DEP_3)
	v_lshl_or_b32 v7, v7, 5, v8
	v_and_or_b32 v10, 0x1fe0, v10, v8
	s_delay_alu instid0(VALU_DEP_4)
	v_and_or_b32 v13, 0x1fe0, v13, v8
	s_wait_loadcnt 0xa
	v_perm_b32 v19, v12, v11, 0x5040100
	v_and_b32_e32 v18, 0xffff, v23
	s_wait_loadcnt 0x8
	v_dual_lshrrev_b32 v20, v1, v27 :: v_dual_lshrrev_b32 v21, v2, v28
	v_dual_lshrrev_b32 v15, v1, v26 :: v_dual_lshlrev_b32 v17, 16, v24
	v_lshrrev_b32_e32 v16, v2, v25
	v_and_or_b32 v6, 0x1fe0, v6, v8
	ds_load_b32 v7, v7
	ds_load_b32 v10, v10
	;; [unrolled: 1-line block ×4, first 2 shown]
	v_perm_b32 v6, v24, v23, 0x5040100
	s_wait_loadcnt 0x5
	v_dual_lshlrev_b32 v12, 16, v12 :: v_dual_lshrrev_b32 v23, v1, v31
	v_and_b32_e32 v11, 0xffff, v11
	v_perm_b32 v22, v30, v29, 0x5040100
	s_wait_loadcnt 0x4
	v_dual_lshrrev_b32 v24, v2, v32 :: v_dual_lshlrev_b32 v25, 16, v30
	v_and_b32_e32 v26, 0xffff, v29
	s_wait_loadcnt 0x0
	v_dual_lshrrev_b32 v28, v1, v35 :: v_dual_lshrrev_b32 v29, v2, v36
	v_dual_lshlrev_b32 v30, 16, v34 :: v_dual_bitop2_b32 v15, 15, v15 bitop3:0x40
	v_and_b32_e32 v16, 15, v16
	v_perm_b32 v27, v34, v33, 0x5040100
	v_and_b32_e32 v31, 0xffff, v33
	s_delay_alu instid0(VALU_DEP_4) | instskip(NEXT) | instid1(VALU_DEP_4)
	v_dual_sub_nc_u32 v15, s24, v15 :: v_dual_bitop2_b32 v25, v25, v26 bitop3:0x54
	v_dual_sub_nc_u32 v16, s15, v16 :: v_dual_bitop2_b32 v17, v17, v18 bitop3:0x54
	v_and_b32_e32 v18, 15, v20
	v_and_b32_e32 v20, 15, v21
	v_and_b32_e32 v21, 15, v24
	v_or_b32_e32 v11, v12, v11
	v_and_b32_e32 v24, 15, v29
	v_and_b32_e32 v12, 15, v23
	;; [unrolled: 1-line block ×3, first 2 shown]
	v_dual_sub_nc_u32 v20, s15, v20 :: v_dual_sub_nc_u32 v18, s24, v18
	s_delay_alu instid0(VALU_DEP_4) | instskip(NEXT) | instid1(VALU_DEP_3)
	v_sub_nc_u32_e32 v24, s15, v24
	v_dual_sub_nc_u32 v12, s24, v12 :: v_dual_sub_nc_u32 v23, s24, v23
	v_sub_nc_u32_e32 v21, s15, v21
	v_cvt_f32_i32_e32 v15, v15
	v_cvt_f32_i32_e32 v16, v16
	;; [unrolled: 1-line block ×8, first 2 shown]
	v_cvt_f16_f32_e32 v15, v15
	v_cvt_f16_f32_e32 v18, v18
	;; [unrolled: 1-line block ×8, first 2 shown]
	s_delay_alu instid0(VALU_DEP_4) | instskip(NEXT) | instid1(VALU_DEP_4)
	v_pack_b32_f16 v23, v24, v23
	v_pack_b32_f16 v12, v21, v12
	s_delay_alu instid0(VALU_DEP_4) | instskip(NEXT) | instid1(VALU_DEP_4)
	v_pack_b32_f16 v18, v20, v18
	v_pack_b32_f16 v15, v16, v15
	v_or_b32_e32 v16, v30, v31
	v_pk_mul_f16 v20, v27, v23
	v_pk_mul_f16 v12, v22, v12
	;; [unrolled: 1-line block ×4, first 2 shown]
	s_wait_dscnt 0x3
	v_pk_fma_f16 v6, v7, v16, v20
	s_wait_dscnt 0x2
	v_pk_fma_f16 v7, v10, v25, v12
	;; [unrolled: 2-line block ×4, first 2 shown]
	v_mov_b32_e32 v12, v9
.LBB4_21:                               ;   Parent Loop BB4_19 Depth=1
                                        ; =>  This Inner Loop Header: Depth=2
	v_mov_b32_e32 v13, s0
	s_add_co_i32 s1, s1, -1
	s_addk_co_i32 s0, 0x100
	s_cmp_eq_u32 s1, 0
	ds_load_b128 v[14:17], v13
	s_wait_dscnt 0x0
	v_pk_fma_f16 v13, v6, v14, 0
	ds_load_u16 v14, v12
	v_pk_fma_f16 v13, v7, v15, v13
	s_delay_alu instid0(VALU_DEP_1) | instskip(NEXT) | instid1(VALU_DEP_1)
	v_pk_fma_f16 v13, v10, v16, v13
	v_pk_fma_f16 v13, v11, v17, v13
	s_delay_alu instid0(VALU_DEP_1) | instskip(SKIP_1) | instid1(VALU_DEP_2)
	v_lshrrev_b32_e32 v15, 16, v13
	v_cvt_u16_f16_e32 v13, v13
	v_cvt_u16_f16_e32 v15, v15
	s_delay_alu instid0(VALU_DEP_1) | instskip(SKIP_1) | instid1(VALU_DEP_1)
	v_add_f16_e32 v13, v13, v15
	s_wait_dscnt 0x0
	v_add_f16_e32 v13, v14, v13
	ds_store_b16 v12, v13
	v_add_nc_u32_e32 v12, 2, v12
	s_cbranch_scc0 .LBB4_21
	s_branch .LBB4_18
.LBB4_22:
	s_cmp_lt_i32 s21, 1
	s_cbranch_scc1 .LBB4_31
; %bb.23:
	v_mov_b32_e32 v3, 0
	s_mov_b32 s2, 0
	s_branch .LBB4_25
.LBB4_24:                               ;   in Loop: Header=BB4_25 Depth=1
	s_or_b32 exec_lo, exec_lo, s3
	s_add_co_i32 s2, s2, 1
	s_delay_alu instid0(SALU_CYCLE_1)
	s_cmp_eq_u32 s2, s21
	s_cbranch_scc1 .LBB4_31
.LBB4_25:                               ; =>This Loop Header: Depth=1
                                        ;     Child Loop BB4_27 Depth 2
	s_add_co_i32 s0, s2, s20
	v_lshl_add_u32 v1, s2, 1, v9
	v_mad_u32 v2, s0, s14, v0
	s_mov_b32 s3, 0
	ds_load_u16 v1, v1
	v_lshl_add_u64 v[4:5], v[2:3], 1, s[6:7]
	s_delay_alu instid0(VALU_DEP_1) | instskip(NEXT) | instid1(VALU_DEP_1)
	v_and_b32_e32 v2, 2, v4
	v_sub_nc_u64_e32 v[6:7], 0, v[2:3]
	v_cmp_ne_u32_e64 s0, 0, v2
	v_cmp_eq_u64_e32 vcc_lo, 0, v[2:3]
	s_delay_alu instid0(VALU_DEP_3)
	v_add_nc_u64_e32 v[4:5], v[4:5], v[6:7]
	global_load_b32 v7, v[4:5], off
	s_branch .LBB4_27
.LBB4_26:                               ;   in Loop: Header=BB4_27 Depth=2
	s_or_b32 exec_lo, exec_lo, s1
	global_atomic_cmpswap_b32 v2, v[4:5], v[6:7], off th:TH_ATOMIC_RETURN scope:SCOPE_DEV
	s_wait_loadcnt 0x0
	v_cmp_eq_u32_e64 s1, v7, v2
	v_mov_b32_e32 v7, v2
	s_or_b32 s3, s1, s3
	s_delay_alu instid0(SALU_CYCLE_1)
	s_and_not1_b32 exec_lo, exec_lo, s3
	s_cbranch_execz .LBB4_24
.LBB4_27:                               ;   Parent Loop BB4_25 Depth=1
                                        ; =>  This Inner Loop Header: Depth=2
	s_wait_loadcnt 0x0
	v_lshrrev_b32_e32 v2, 16, v7
	s_delay_alu instid0(VALU_DEP_1) | instskip(SKIP_1) | instid1(VALU_DEP_1)
	v_cndmask_b32_e32 v2, v2, v7, vcc_lo
	s_wait_dscnt 0x0
	v_add_f16_e32 v2, v1, v2
	s_delay_alu instid0(VALU_DEP_1) | instskip(SKIP_1) | instid1(SALU_CYCLE_1)
	v_and_b32_e32 v2, 0xffff, v2
	s_and_saveexec_b32 s1, s0
	s_xor_b32 s1, exec_lo, s1
; %bb.28:                               ;   in Loop: Header=BB4_27 Depth=2
	v_and_b32_e32 v6, 0xffff, v7
	s_delay_alu instid0(VALU_DEP_1)
	v_lshl_or_b32 v6, v2, 16, v6
                                        ; implicit-def: $vgpr2
; %bb.29:                               ;   in Loop: Header=BB4_27 Depth=2
	s_and_not1_saveexec_b32 s1, s1
	s_cbranch_execz .LBB4_26
; %bb.30:                               ;   in Loop: Header=BB4_27 Depth=2
	v_and_or_b32 v6, 0xffff0000, v7, v2
	s_branch .LBB4_26
.LBB4_31:
	s_endpgm
	.section	.rodata,"a",@progbits
	.p2align	6, 0x0
	.amdhsa_kernel _ZN4vllm4gptq32gemm_half_q_half_alt_4bit_kernelEPK7__half2PKjP6__halfPKS6_S5_PKiiiib
		.amdhsa_group_segment_fixed_size 26624
		.amdhsa_private_segment_fixed_size 0
		.amdhsa_kernarg_size 64
		.amdhsa_user_sgpr_count 4
		.amdhsa_user_sgpr_dispatch_ptr 1
		.amdhsa_user_sgpr_queue_ptr 0
		.amdhsa_user_sgpr_kernarg_segment_ptr 1
		.amdhsa_user_sgpr_dispatch_id 0
		.amdhsa_user_sgpr_kernarg_preload_length 0
		.amdhsa_user_sgpr_kernarg_preload_offset 0
		.amdhsa_user_sgpr_private_segment_size 0
		.amdhsa_wavefront_size32 1
		.amdhsa_uses_dynamic_stack 0
		.amdhsa_enable_private_segment 0
		.amdhsa_system_sgpr_workgroup_id_x 1
		.amdhsa_system_sgpr_workgroup_id_y 1
		.amdhsa_system_sgpr_workgroup_id_z 1
		.amdhsa_system_sgpr_workgroup_info 0
		.amdhsa_system_vgpr_workitem_id 2
		.amdhsa_next_free_vgpr 37
		.amdhsa_next_free_sgpr 36
		.amdhsa_named_barrier_count 0
		.amdhsa_reserve_vcc 1
		.amdhsa_float_round_mode_32 0
		.amdhsa_float_round_mode_16_64 0
		.amdhsa_float_denorm_mode_32 3
		.amdhsa_float_denorm_mode_16_64 3
		.amdhsa_fp16_overflow 0
		.amdhsa_memory_ordered 1
		.amdhsa_forward_progress 1
		.amdhsa_inst_pref_size 23
		.amdhsa_round_robin_scheduling 0
		.amdhsa_exception_fp_ieee_invalid_op 0
		.amdhsa_exception_fp_denorm_src 0
		.amdhsa_exception_fp_ieee_div_zero 0
		.amdhsa_exception_fp_ieee_overflow 0
		.amdhsa_exception_fp_ieee_underflow 0
		.amdhsa_exception_fp_ieee_inexact 0
		.amdhsa_exception_int_div_zero 0
	.end_amdhsa_kernel
	.text
.Lfunc_end4:
	.size	_ZN4vllm4gptq32gemm_half_q_half_alt_4bit_kernelEPK7__half2PKjP6__halfPKS6_S5_PKiiiib, .Lfunc_end4-_ZN4vllm4gptq32gemm_half_q_half_alt_4bit_kernelEPK7__half2PKjP6__halfPKS6_S5_PKiiiib
                                        ; -- End function
	.set _ZN4vllm4gptq32gemm_half_q_half_alt_4bit_kernelEPK7__half2PKjP6__halfPKS6_S5_PKiiiib.num_vgpr, 37
	.set _ZN4vllm4gptq32gemm_half_q_half_alt_4bit_kernelEPK7__half2PKjP6__halfPKS6_S5_PKiiiib.num_agpr, 0
	.set _ZN4vllm4gptq32gemm_half_q_half_alt_4bit_kernelEPK7__half2PKjP6__halfPKS6_S5_PKiiiib.numbered_sgpr, 36
	.set _ZN4vllm4gptq32gemm_half_q_half_alt_4bit_kernelEPK7__half2PKjP6__halfPKS6_S5_PKiiiib.num_named_barrier, 0
	.set _ZN4vllm4gptq32gemm_half_q_half_alt_4bit_kernelEPK7__half2PKjP6__halfPKS6_S5_PKiiiib.private_seg_size, 0
	.set _ZN4vllm4gptq32gemm_half_q_half_alt_4bit_kernelEPK7__half2PKjP6__halfPKS6_S5_PKiiiib.uses_vcc, 1
	.set _ZN4vllm4gptq32gemm_half_q_half_alt_4bit_kernelEPK7__half2PKjP6__halfPKS6_S5_PKiiiib.uses_flat_scratch, 0
	.set _ZN4vllm4gptq32gemm_half_q_half_alt_4bit_kernelEPK7__half2PKjP6__halfPKS6_S5_PKiiiib.has_dyn_sized_stack, 0
	.set _ZN4vllm4gptq32gemm_half_q_half_alt_4bit_kernelEPK7__half2PKjP6__halfPKS6_S5_PKiiiib.has_recursion, 0
	.set _ZN4vllm4gptq32gemm_half_q_half_alt_4bit_kernelEPK7__half2PKjP6__halfPKS6_S5_PKiiiib.has_indirect_call, 0
	.section	.AMDGPU.csdata,"",@progbits
; Kernel info:
; codeLenInByte = 2860
; TotalNumSgprs: 38
; NumVgprs: 37
; ScratchSize: 0
; MemoryBound: 0
; FloatMode: 240
; IeeeMode: 1
; LDSByteSize: 26624 bytes/workgroup (compile time only)
; SGPRBlocks: 0
; VGPRBlocks: 2
; NumSGPRsForWavesPerEU: 38
; NumVGPRsForWavesPerEU: 37
; NamedBarCnt: 0
; Occupancy: 16
; WaveLimiterHint : 1
; COMPUTE_PGM_RSRC2:SCRATCH_EN: 0
; COMPUTE_PGM_RSRC2:USER_SGPR: 4
; COMPUTE_PGM_RSRC2:TRAP_HANDLER: 0
; COMPUTE_PGM_RSRC2:TGID_X_EN: 1
; COMPUTE_PGM_RSRC2:TGID_Y_EN: 1
; COMPUTE_PGM_RSRC2:TGID_Z_EN: 1
; COMPUTE_PGM_RSRC2:TIDIG_COMP_CNT: 2
	.text
	.protected	_ZN4vllm4gptq32gemm_half_q_half_alt_8bit_kernelEPK7__half2PKjP6__halfPKS6_S5_PKiiiib ; -- Begin function _ZN4vllm4gptq32gemm_half_q_half_alt_8bit_kernelEPK7__half2PKjP6__halfPKS6_S5_PKiiiib
	.globl	_ZN4vllm4gptq32gemm_half_q_half_alt_8bit_kernelEPK7__half2PKjP6__halfPKS6_S5_PKiiiib
	.p2align	8
	.type	_ZN4vllm4gptq32gemm_half_q_half_alt_8bit_kernelEPK7__half2PKjP6__halfPKS6_S5_PKiiiib,@function
_ZN4vllm4gptq32gemm_half_q_half_alt_8bit_kernelEPK7__half2PKjP6__halfPKS6_S5_PKiiiib: ; @_ZN4vllm4gptq32gemm_half_q_half_alt_8bit_kernelEPK7__half2PKjP6__halfPKS6_S5_PKiiiib
; %bb.0:
	s_load_b128 s[4:7], s[2:3], 0x30
	s_bfe_u32 s8, ttmp6, 0x40014
	s_bfe_u32 s11, ttmp6, 0x40010
	s_lshr_b32 s9, ttmp7, 16
	s_add_co_i32 s8, s8, 1
	s_and_b32 s13, ttmp7, 0xffff
	s_add_co_i32 s11, s11, 1
	s_mul_i32 s8, s9, s8
	s_bfe_u32 s10, ttmp6, 0x40008
	s_mul_i32 s11, s13, s11
	s_bfe_u32 s12, ttmp6, 0x40004
	s_add_co_i32 s8, s10, s8
	s_getreg_b32 s10, hwreg(HW_REG_IB_STS2, 6, 4)
	s_add_co_i32 s11, s12, s11
	s_cmp_eq_u32 s10, 0
	s_cselect_b32 s12, s9, s8
	s_cselect_b32 s17, s13, s11
	s_lshl_b32 s13, s12, 5
	s_lshl_b32 s14, s17, 3
	s_wait_kmcnt 0x0
	s_sub_co_i32 s8, s5, s13
	s_sub_co_i32 s4, s4, s14
	v_cvt_f64_u32_e32 v[2:3], s8
	v_cvt_f64_u32_e32 v[4:5], s4
	s_mov_b32 s4, exec_lo
	s_delay_alu instid0(VALU_DEP_2) | instskip(NEXT) | instid1(VALU_DEP_2)
	v_min_num_f64_e32 v[2:3], 0x40400000, v[2:3]
	v_min_num_f64_e32 v[4:5], 0x40200000, v[4:5]
	s_delay_alu instid0(VALU_DEP_2) | instskip(NEXT) | instid1(VALU_DEP_2)
	v_add_f64_e32 v[2:3], v[2:3], v[2:3]
	v_cvt_i32_f64_e32 v1, v[4:5]
	s_delay_alu instid0(VALU_DEP_2) | instskip(SKIP_1) | instid1(VALU_DEP_3)
	v_cvt_i32_f64_e32 v2, v[2:3]
	v_and_b32_e32 v3, 0x3ff, v0
	v_readfirstlane_b32 s15, v1
	s_delay_alu instid0(VALU_DEP_3) | instskip(NEXT) | instid1(VALU_DEP_3)
	v_readfirstlane_b32 s16, v2
	v_cmpx_lt_u32_e64 v3, v2
	s_cbranch_execz .LBB5_11
; %bb.1:
	s_cmp_lt_i32 s15, 1
	s_cbranch_scc1 .LBB5_11
; %bb.2:
	s_load_b64 s[8:9], s[2:3], 0x0
	s_lshl_b32 s11, s5, 1
	s_lshl_b32 s12, s12, 6
	s_cmp_lt_u32 s15, 26
	s_cselect_b32 s19, -1, 0
	s_delay_alu instid0(SALU_CYCLE_1)
	s_and_b32 vcc_lo, exec_lo, s19
	s_cbranch_vccnz .LBB5_7
; %bb.3:
	v_add_nc_u32_e32 v2, s12, v3
	s_add_co_i32 s18, s15, -1
	s_sub_co_i32 s19, 0, s11
	s_mul_i32 s17, s17, s5
	s_cmp_gt_i32 s11, -1
	v_lshl_add_u32 v1, s17, 4, v2
	s_cselect_b32 s17, -1, 0
	s_delay_alu instid0(SALU_CYCLE_1)
	v_cndmask_b32_e64 v4, 0, -1, s17
	s_and_b32 s17, s17, exec_lo
	s_cselect_b32 s17, s11, s19
	s_mov_b32 s19, -1
	s_mul_i32 s20, s17, s18
	v_xor_b32_e32 v1, v1, v4
	s_mul_hi_u32 s17, s17, s18
	s_mov_b32 s18, 0
	s_cmp_eq_u32 s17, 0
	s_delay_alu instid0(VALU_DEP_1) | instskip(SKIP_2) | instid1(SALU_CYCLE_1)
	v_cmp_le_u32_e32 vcc_lo, s20, v1
	v_mov_b32_e32 v1, 0
	s_cselect_b32 s17, -1, 0
	s_and_b32 s20, vcc_lo, s17
	s_delay_alu instid0(SALU_CYCLE_1)
	s_and_saveexec_b32 s17, s20
	s_cbranch_execz .LBB5_8
; %bb.4:
	v_dual_mov_b32 v1, v2 :: v_dual_lshlrev_b32 v6, 2, v3
	v_mov_b32_e32 v5, 0
	s_and_b32 s19, s15, 0x7ffffffe
	s_mov_b32 s20, s14
	s_mov_b32 s21, s11
	;; [unrolled: 1-line block ×4, first 2 shown]
.LBB5_5:                                ; =>This Inner Loop Header: Depth=1
	s_add_co_i32 s24, s18, s14
	s_add_co_i32 s25, s22, s20
	v_mad_u32 v4, s11, s24, v2
	s_wait_xcnt 0x0
	v_mad_u32 v8, s21, s25, v1
	v_mov_b32_e32 v9, v5
	s_add_co_i32 s23, s23, -2
	s_add_co_i32 s18, s18, 2
	s_add_co_i32 s22, s22, 2
	s_cmp_lg_u32 s23, 0
	s_wait_kmcnt 0x0
	s_delay_alu instid0(VALU_DEP_3) | instskip(NEXT) | instid1(VALU_DEP_3)
	v_lshl_add_u64 v[10:11], v[4:5], 2, s[8:9]
	v_lshl_add_u64 v[8:9], v[8:9], 2, s[8:9]
	s_clause 0x1
	global_load_b32 v4, v[10:11], off
	global_load_b32 v7, v[8:9], off
	s_wait_loadcnt 0x0
	ds_store_2addr_stride64_b32 v6, v4, v7 offset1:1
	v_add_nc_u32_e32 v6, 0x200, v6
	s_cbranch_scc1 .LBB5_5
; %bb.6:
	s_cmp_lg_u32 s19, s15
	v_mov_b32_e32 v1, s19
	s_cselect_b32 s18, -1, 0
	s_delay_alu instid0(SALU_CYCLE_1) | instskip(SKIP_2) | instid1(SALU_CYCLE_1)
	s_or_not1_b32 s19, s18, exec_lo
	s_wait_xcnt 0x0
	s_or_b32 exec_lo, exec_lo, s17
	s_and_b32 exec_lo, exec_lo, s19
	s_cbranch_execnz .LBB5_9
	s_branch .LBB5_11
.LBB5_7:
	v_mov_b32_e32 v1, 0
	s_and_b32 exec_lo, exec_lo, s19
	s_cbranch_execnz .LBB5_9
	s_branch .LBB5_11
.LBB5_8:
	s_or_b32 exec_lo, exec_lo, s17
	s_delay_alu instid0(SALU_CYCLE_1)
	s_and_b32 exec_lo, exec_lo, s19
	s_cbranch_execz .LBB5_11
.LBB5_9:
	s_delay_alu instid0(VALU_DEP_1) | instskip(NEXT) | instid1(VALU_DEP_1)
	v_dual_add_nc_u32 v2, s14, v1 :: v_dual_lshlrev_b32 v5, 2, v3
	v_mul_lo_u32 v2, s5, v2
	s_mov_b32 s5, 0
	s_delay_alu instid0(VALU_DEP_1) | instskip(NEXT) | instid1(VALU_DEP_3)
	v_dual_lshlrev_b32 v4, 1, v2 :: v_dual_sub_nc_u32 v2, s15, v1
	v_lshl_add_u32 v1, v1, 8, v5
	s_delay_alu instid0(VALU_DEP_2)
	v_add3_u32 v4, v3, v4, s12
.LBB5_10:                               ; =>This Inner Loop Header: Depth=1
	s_wait_kmcnt 0x0
	global_load_b32 v5, v4, s[8:9] scale_offset
	s_wait_xcnt 0x0
	v_dual_add_nc_u32 v2, -1, v2 :: v_dual_add_nc_u32 v4, s11, v4
	s_delay_alu instid0(VALU_DEP_1)
	v_cmp_eq_u32_e32 vcc_lo, 0, v2
	s_or_b32 s5, vcc_lo, s5
	s_wait_loadcnt 0x0
	ds_store_b32 v1, v5
	v_add_nc_u32_e32 v1, 0x100, v1
	s_and_not1_b32 exec_lo, exec_lo, s5
	s_cbranch_execnz .LBB5_10
.LBB5_11:
	s_or_b32 exec_lo, exec_lo, s4
	s_load_b64 s[4:5], s[0:1], 0x4
	v_bfe_u32 v1, v0, 10, 10
	v_bfe_u32 v0, v0, 20, 10
	s_wait_xcnt 0x0
	s_and_b32 s1, ttmp6, 15
	v_mov_b32_e32 v4, 0
	s_wait_dscnt 0x0
	s_barrier_signal -1
	s_barrier_wait -1
	s_delay_alu instid0(VALU_DEP_1) | instskip(SKIP_3) | instid1(SALU_CYCLE_1)
	v_dual_mov_b32 v5, v4 :: v_dual_mov_b32 v6, v4
	s_wait_kmcnt 0x0
	v_mul_u32_u24_e32 v1, s5, v1
	s_lshr_b32 s0, s4, 16
	s_mul_i32 s0, s0, s5
	s_delay_alu instid0(VALU_DEP_1) | instid1(SALU_CYCLE_1)
	v_mad_u32 v1, s0, v3, v1
	s_bfe_u32 s0, ttmp6, 0x4000c
	s_delay_alu instid0(SALU_CYCLE_1) | instskip(NEXT) | instid1(SALU_CYCLE_1)
	s_add_co_i32 s0, s0, 1
	s_mul_i32 s0, ttmp9, s0
	s_delay_alu instid0(SALU_CYCLE_1) | instskip(SKIP_2) | instid1(VALU_DEP_1)
	s_add_co_i32 s1, s1, s0
	s_cmp_eq_u32 s10, 0
	s_cselect_b32 s0, ttmp9, s1
	v_add_lshl_u32 v1, v1, v0, 4
	v_mov_b32_e32 v7, v4
	v_lshl_add_u32 v0, s0, 7, v3
	s_cmp_lt_i32 s16, 1
	s_delay_alu instid0(VALU_DEP_3)
	v_add_nc_u32_e32 v8, 0x800, v1
	ds_store_b128 v1, v[4:7] offset:2048
	s_cbranch_scc1 .LBB5_17
; %bb.12:
	s_clause 0x2
	s_load_b64 s[0:1], s[2:3], 0x8
	s_load_b128 s[8:11], s[2:3], 0x18
	s_load_b64 s[4:5], s[2:3], 0x28
	v_dual_lshrrev_b32 v4, 2, v0 :: v_dual_lshlrev_b32 v1, 3, v3
	s_ashr_i32 s17, s6, 31
	v_mad_u32 v5, s6, s13, v0
	s_lshr_b32 s17, s17, 30
	s_and_b32 s18, s7, 1
	v_dual_mov_b32 v3, v0 :: v_dual_bitop2_b32 v2, 24, v1 bitop3:0x40
	s_add_co_i32 s17, s6, s17
	s_lshl_b32 s12, s13, 2
	s_ashr_i32 s7, s17, 2
	s_add_co_i32 s17, s18, -1
	v_mov_b32_e32 v1, v2
	s_mov_b32 s13, 0
	s_cmp_gt_i32 s15, 0
	s_mov_b32 s18, s17
	s_cselect_b32 s19, -1, 0
	s_mov_b32 s20, s6
	s_mov_b32 s21, s13
	;; [unrolled: 1-line block ×3, first 2 shown]
	s_branch .LBB5_14
.LBB5_13:                               ;   in Loop: Header=BB5_14 Depth=1
	v_add_nc_u32_e32 v5, s6, v5
	s_add_co_i32 s22, s22, 2
	s_add_co_i32 s21, s21, 8
	s_cmp_ge_i32 s22, s16
	s_cbranch_scc1 .LBB5_17
.LBB5_14:                               ; =>This Loop Header: Depth=1
                                        ;     Child Loop BB5_16 Depth 2
	s_and_not1_b32 vcc_lo, exec_lo, s19
	s_cbranch_vccnz .LBB5_13
; %bb.15:                               ;   in Loop: Header=BB5_14 Depth=1
	s_lshl_b32 s24, s22, 1
	s_mov_b32 s23, s21
	s_ashr_i32 s25, s24, 31
	s_add_co_i32 s26, s24, s12
	s_add_nc_u64 s[24:25], s[24:25], s[12:13]
	s_ashr_i32 s27, s26, 31
	s_lshl_b64 s[24:25], s[24:25], 2
	s_lshl_b64 s[26:27], s[26:27], 2
	s_wait_kmcnt 0x0
	s_add_nc_u64 s[24:25], s[4:5], s[24:25]
	s_add_nc_u64 s[26:27], s[4:5], s[26:27]
	s_clause 0x1
	s_load_b64 s[28:29], s[24:25], 0x8
	s_load_b64 s[30:31], s[26:27], 0x0
	global_load_b32 v11, v5, s[0:1] scale_offset
	s_mov_b32 s24, s15
	s_wait_kmcnt 0x0
	v_mad_u32 v6, s29, s7, v4
	v_mad_u32 v7, s31, s7, v4
	;; [unrolled: 1-line block ×6, first 2 shown]
	s_clause 0x3
	global_load_b32 v14, v6, s[10:11] scale_offset
	global_load_b32 v15, v7, s[10:11] scale_offset
	;; [unrolled: 1-line block ×4, first 2 shown]
	s_clause 0x1
	global_load_u16 v18, v12, s[8:9] scale_offset
	global_load_u16 v19, v13, s[8:9] scale_offset
	s_wait_xcnt 0x5
	v_mad_u32 v6, s30, s6, v0
	s_wait_xcnt 0x4
	v_mad_u32 v7, s31, s20, v3
	s_clause 0x1
	global_load_u16 v9, v6, s[8:9] scale_offset
	global_load_u16 v10, v7, s[8:9] scale_offset
	s_wait_loadcnt 0x8
	s_wait_xcnt 0x1
	v_cvt_f32_ubyte0_e32 v6, v11
	s_wait_xcnt 0x0
	v_cvt_f32_ubyte1_e32 v7, v11
	v_cvt_f32_ubyte2_e32 v12, v11
	v_cvt_f32_ubyte3_e32 v11, v11
	s_delay_alu instid0(VALU_DEP_3) | instskip(NEXT) | instid1(VALU_DEP_2)
	v_cvt_pk_f16_f32 v6, v6, v7
	v_cvt_pk_f16_f32 v11, v12, v11
	s_wait_loadcnt 0x6
	v_dual_lshrrev_b32 v13, v1, v14 :: v_dual_lshrrev_b32 v14, v1, v15
	s_wait_loadcnt 0x4
	v_dual_lshrrev_b32 v15, v2, v16 :: v_dual_lshrrev_b32 v16, v2, v17
	s_delay_alu instid0(VALU_DEP_2) | instskip(NEXT) | instid1(VALU_DEP_3)
	v_and_b32_e32 v7, 0xff, v13
	v_and_b32_e32 v13, 0xff, v14
	s_delay_alu instid0(VALU_DEP_3) | instskip(NEXT) | instid1(VALU_DEP_4)
	v_and_b32_e32 v14, 0xff, v15
	v_and_b32_e32 v15, 0xff, v16
	s_wait_loadcnt 0x2
	v_perm_b32 v16, v19, v18, 0x5040100
	v_dual_sub_nc_u32 v7, s18, v7 :: v_dual_sub_nc_u32 v13, s18, v13
	s_delay_alu instid0(VALU_DEP_3) | instskip(SKIP_1) | instid1(VALU_DEP_3)
	v_dual_sub_nc_u32 v14, s17, v14 :: v_dual_sub_nc_u32 v15, s17, v15
	v_lshlrev_b32_e32 v17, 16, v19
	v_cvt_f32_i32_e32 v7, v7
	s_delay_alu instid0(VALU_DEP_4) | instskip(NEXT) | instid1(VALU_DEP_4)
	v_cvt_f32_i32_e32 v13, v13
	v_cvt_f32_i32_e32 v14, v14
	;; [unrolled: 1-line block ×3, first 2 shown]
	v_and_b32_e32 v18, 0xffff, v18
	v_cvt_f16_f32_e32 v7, v7
	v_cvt_f16_f32_e32 v13, v13
	;; [unrolled: 1-line block ×4, first 2 shown]
	s_wait_loadcnt 0x0
	v_perm_b32 v19, v10, v9, 0x5040100
	v_lshlrev_b32_e32 v10, 16, v10
	v_and_b32_e32 v9, 0xffff, v9
	v_pack_b32_f16 v13, v14, v13
	v_pack_b32_f16 v7, v15, v7
	v_or_b32_e32 v12, v17, v18
	s_delay_alu instid0(VALU_DEP_4) | instskip(NEXT) | instid1(VALU_DEP_4)
	v_or_b32_e32 v9, v10, v9
	v_pk_mul_f16 v10, v19, v13
	s_delay_alu instid0(VALU_DEP_4) | instskip(NEXT) | instid1(VALU_DEP_2)
	v_pk_mul_f16 v7, v16, v7
	v_pk_fma_f16 v6, v6, v9, v10
	v_mov_b32_e32 v9, v8
	s_delay_alu instid0(VALU_DEP_3)
	v_pk_fma_f16 v7, v11, v12, v7
.LBB5_16:                               ;   Parent Loop BB5_14 Depth=1
                                        ; =>  This Inner Loop Header: Depth=2
	v_mov_b32_e32 v10, s23
	ds_load_u16 v12, v9
	s_add_co_i32 s24, s24, -1
	s_addk_co_i32 s23, 0x100
	s_cmp_eq_u32 s24, 0
	ds_load_b64 v[10:11], v10
	s_wait_dscnt 0x0
	v_pk_fma_f16 v10, v6, v10, 0
	s_delay_alu instid0(VALU_DEP_1) | instskip(NEXT) | instid1(VALU_DEP_1)
	v_pk_fma_f16 v10, v7, v11, v10
	v_lshrrev_b32_e32 v11, 16, v10
	v_cvt_u16_f16_e32 v10, v10
	s_delay_alu instid0(VALU_DEP_2) | instskip(NEXT) | instid1(VALU_DEP_1)
	v_cvt_u16_f16_e32 v11, v11
	v_add_f16_e32 v10, v10, v11
	s_delay_alu instid0(VALU_DEP_1)
	v_add_f16_e32 v10, v12, v10
	ds_store_b16 v9, v10
	v_add_nc_u32_e32 v9, 2, v9
	s_cbranch_scc0 .LBB5_16
	s_branch .LBB5_13
.LBB5_17:
	s_cmp_lt_i32 s15, 1
	s_cbranch_scc1 .LBB5_26
; %bb.18:
	s_wait_xcnt 0x0
	s_load_b64 s[2:3], s[2:3], 0x10
	v_mov_b32_e32 v3, 0
	s_wait_kmcnt 0x0
	s_mov_b32 s4, 0
	s_branch .LBB5_20
.LBB5_19:                               ;   in Loop: Header=BB5_20 Depth=1
	s_or_b32 exec_lo, exec_lo, s5
	s_add_co_i32 s4, s4, 1
	s_delay_alu instid0(SALU_CYCLE_1)
	s_cmp_eq_u32 s4, s15
	s_cbranch_scc1 .LBB5_26
.LBB5_20:                               ; =>This Loop Header: Depth=1
                                        ;     Child Loop BB5_22 Depth 2
	s_add_co_i32 s0, s4, s14
	v_lshl_add_u32 v1, s4, 1, v8
	v_mad_u32 v2, s0, s6, v0
	s_mov_b32 s5, 0
	ds_load_u16 v1, v1
	v_lshl_add_u64 v[4:5], v[2:3], 1, s[2:3]
	s_delay_alu instid0(VALU_DEP_1) | instskip(NEXT) | instid1(VALU_DEP_1)
	v_and_b32_e32 v2, 2, v4
	v_sub_nc_u64_e32 v[6:7], 0, v[2:3]
	v_cmp_ne_u32_e64 s0, 0, v2
	v_cmp_eq_u64_e32 vcc_lo, 0, v[2:3]
	s_delay_alu instid0(VALU_DEP_3)
	v_add_nc_u64_e32 v[4:5], v[4:5], v[6:7]
	global_load_b32 v7, v[4:5], off
	s_branch .LBB5_22
.LBB5_21:                               ;   in Loop: Header=BB5_22 Depth=2
	s_or_b32 exec_lo, exec_lo, s1
	global_atomic_cmpswap_b32 v2, v[4:5], v[6:7], off th:TH_ATOMIC_RETURN scope:SCOPE_DEV
	s_wait_loadcnt 0x0
	v_cmp_eq_u32_e64 s1, v7, v2
	v_mov_b32_e32 v7, v2
	s_or_b32 s5, s1, s5
	s_delay_alu instid0(SALU_CYCLE_1)
	s_and_not1_b32 exec_lo, exec_lo, s5
	s_cbranch_execz .LBB5_19
.LBB5_22:                               ;   Parent Loop BB5_20 Depth=1
                                        ; =>  This Inner Loop Header: Depth=2
	s_wait_loadcnt 0x0
	v_lshrrev_b32_e32 v2, 16, v7
	s_delay_alu instid0(VALU_DEP_1) | instskip(SKIP_1) | instid1(VALU_DEP_1)
	v_cndmask_b32_e32 v2, v2, v7, vcc_lo
	s_wait_dscnt 0x0
	v_add_f16_e32 v2, v1, v2
	s_delay_alu instid0(VALU_DEP_1) | instskip(SKIP_1) | instid1(SALU_CYCLE_1)
	v_and_b32_e32 v2, 0xffff, v2
	s_and_saveexec_b32 s1, s0
	s_xor_b32 s1, exec_lo, s1
; %bb.23:                               ;   in Loop: Header=BB5_22 Depth=2
	v_and_b32_e32 v6, 0xffff, v7
	s_delay_alu instid0(VALU_DEP_1)
	v_lshl_or_b32 v6, v2, 16, v6
                                        ; implicit-def: $vgpr2
; %bb.24:                               ;   in Loop: Header=BB5_22 Depth=2
	s_and_not1_saveexec_b32 s1, s1
	s_cbranch_execz .LBB5_21
; %bb.25:                               ;   in Loop: Header=BB5_22 Depth=2
	v_and_or_b32 v6, 0xffff0000, v7, v2
	s_branch .LBB5_21
.LBB5_26:
	s_endpgm
	.section	.rodata,"a",@progbits
	.p2align	6, 0x0
	.amdhsa_kernel _ZN4vllm4gptq32gemm_half_q_half_alt_8bit_kernelEPK7__half2PKjP6__halfPKS6_S5_PKiiiib
		.amdhsa_group_segment_fixed_size 18432
		.amdhsa_private_segment_fixed_size 0
		.amdhsa_kernarg_size 64
		.amdhsa_user_sgpr_count 4
		.amdhsa_user_sgpr_dispatch_ptr 1
		.amdhsa_user_sgpr_queue_ptr 0
		.amdhsa_user_sgpr_kernarg_segment_ptr 1
		.amdhsa_user_sgpr_dispatch_id 0
		.amdhsa_user_sgpr_kernarg_preload_length 0
		.amdhsa_user_sgpr_kernarg_preload_offset 0
		.amdhsa_user_sgpr_private_segment_size 0
		.amdhsa_wavefront_size32 1
		.amdhsa_uses_dynamic_stack 0
		.amdhsa_enable_private_segment 0
		.amdhsa_system_sgpr_workgroup_id_x 1
		.amdhsa_system_sgpr_workgroup_id_y 1
		.amdhsa_system_sgpr_workgroup_id_z 1
		.amdhsa_system_sgpr_workgroup_info 0
		.amdhsa_system_vgpr_workitem_id 2
		.amdhsa_next_free_vgpr 20
		.amdhsa_next_free_sgpr 32
		.amdhsa_named_barrier_count 0
		.amdhsa_reserve_vcc 1
		.amdhsa_float_round_mode_32 0
		.amdhsa_float_round_mode_16_64 0
		.amdhsa_float_denorm_mode_32 3
		.amdhsa_float_denorm_mode_16_64 3
		.amdhsa_fp16_overflow 0
		.amdhsa_memory_ordered 1
		.amdhsa_forward_progress 1
		.amdhsa_inst_pref_size 16
		.amdhsa_round_robin_scheduling 0
		.amdhsa_exception_fp_ieee_invalid_op 0
		.amdhsa_exception_fp_denorm_src 0
		.amdhsa_exception_fp_ieee_div_zero 0
		.amdhsa_exception_fp_ieee_overflow 0
		.amdhsa_exception_fp_ieee_underflow 0
		.amdhsa_exception_fp_ieee_inexact 0
		.amdhsa_exception_int_div_zero 0
	.end_amdhsa_kernel
	.text
.Lfunc_end5:
	.size	_ZN4vllm4gptq32gemm_half_q_half_alt_8bit_kernelEPK7__half2PKjP6__halfPKS6_S5_PKiiiib, .Lfunc_end5-_ZN4vllm4gptq32gemm_half_q_half_alt_8bit_kernelEPK7__half2PKjP6__halfPKS6_S5_PKiiiib
                                        ; -- End function
	.set _ZN4vllm4gptq32gemm_half_q_half_alt_8bit_kernelEPK7__half2PKjP6__halfPKS6_S5_PKiiiib.num_vgpr, 20
	.set _ZN4vllm4gptq32gemm_half_q_half_alt_8bit_kernelEPK7__half2PKjP6__halfPKS6_S5_PKiiiib.num_agpr, 0
	.set _ZN4vllm4gptq32gemm_half_q_half_alt_8bit_kernelEPK7__half2PKjP6__halfPKS6_S5_PKiiiib.numbered_sgpr, 32
	.set _ZN4vllm4gptq32gemm_half_q_half_alt_8bit_kernelEPK7__half2PKjP6__halfPKS6_S5_PKiiiib.num_named_barrier, 0
	.set _ZN4vllm4gptq32gemm_half_q_half_alt_8bit_kernelEPK7__half2PKjP6__halfPKS6_S5_PKiiiib.private_seg_size, 0
	.set _ZN4vllm4gptq32gemm_half_q_half_alt_8bit_kernelEPK7__half2PKjP6__halfPKS6_S5_PKiiiib.uses_vcc, 1
	.set _ZN4vllm4gptq32gemm_half_q_half_alt_8bit_kernelEPK7__half2PKjP6__halfPKS6_S5_PKiiiib.uses_flat_scratch, 0
	.set _ZN4vllm4gptq32gemm_half_q_half_alt_8bit_kernelEPK7__half2PKjP6__halfPKS6_S5_PKiiiib.has_dyn_sized_stack, 0
	.set _ZN4vllm4gptq32gemm_half_q_half_alt_8bit_kernelEPK7__half2PKjP6__halfPKS6_S5_PKiiiib.has_recursion, 0
	.set _ZN4vllm4gptq32gemm_half_q_half_alt_8bit_kernelEPK7__half2PKjP6__halfPKS6_S5_PKiiiib.has_indirect_call, 0
	.section	.AMDGPU.csdata,"",@progbits
; Kernel info:
; codeLenInByte = 2008
; TotalNumSgprs: 34
; NumVgprs: 20
; ScratchSize: 0
; MemoryBound: 0
; FloatMode: 240
; IeeeMode: 1
; LDSByteSize: 18432 bytes/workgroup (compile time only)
; SGPRBlocks: 0
; VGPRBlocks: 1
; NumSGPRsForWavesPerEU: 34
; NumVGPRsForWavesPerEU: 20
; NamedBarCnt: 0
; Occupancy: 16
; WaveLimiterHint : 1
; COMPUTE_PGM_RSRC2:SCRATCH_EN: 0
; COMPUTE_PGM_RSRC2:USER_SGPR: 4
; COMPUTE_PGM_RSRC2:TRAP_HANDLER: 0
; COMPUTE_PGM_RSRC2:TGID_X_EN: 1
; COMPUTE_PGM_RSRC2:TGID_Y_EN: 1
; COMPUTE_PGM_RSRC2:TGID_Z_EN: 1
; COMPUTE_PGM_RSRC2:TIDIG_COMP_CNT: 2
	.text
	.protected	_ZN4vllm4gptq28reconstruct_gptq_3bit_kernelEPKjPK6__halfS2_PKiiiibPS3_ ; -- Begin function _ZN4vllm4gptq28reconstruct_gptq_3bit_kernelEPKjPK6__halfS2_PKiiiibPS3_
	.globl	_ZN4vllm4gptq28reconstruct_gptq_3bit_kernelEPKjPK6__halfS2_PKiiiibPS3_
	.p2align	8
	.type	_ZN4vllm4gptq28reconstruct_gptq_3bit_kernelEPKjPK6__halfS2_PKiiiibPS3_,@function
_ZN4vllm4gptq28reconstruct_gptq_3bit_kernelEPKjPK6__halfS2_PKiiiibPS3_: ; @_ZN4vllm4gptq28reconstruct_gptq_3bit_kernelEPKjPK6__halfS2_PKiiiibPS3_
; %bb.0:
	s_load_b32 s12, s[0:1], 0x24
	s_bfe_u32 s2, ttmp6, 0x4000c
	s_and_b32 s3, ttmp6, 15
	s_add_co_i32 s2, s2, 1
	s_delay_alu instid0(SALU_CYCLE_1) | instskip(SKIP_4) | instid1(SALU_CYCLE_1)
	s_mul_i32 s4, ttmp9, s2
	s_getreg_b32 s2, hwreg(HW_REG_IB_STS2, 6, 4)
	s_add_co_i32 s3, s3, s4
	s_cmp_eq_u32 s2, 0
	s_cselect_b32 s3, ttmp9, s3
	v_lshl_add_u32 v5, s3, 7, v0
	s_mov_b32 s3, exec_lo
	s_wait_kmcnt 0x0
	s_delay_alu instid0(VALU_DEP_1)
	v_cmpx_gt_u32_e64 s12, v5
	s_cbranch_execz .LBB6_175
; %bb.1:
	s_clause 0x1
	s_load_b256 s[4:11], s[0:1], 0x0
	s_load_b64 s[14:15], s[0:1], 0x30
	s_bfe_u32 s3, ttmp6, 0x40010
	s_bfe_u32 s13, ttmp6, 0x40004
	s_add_co_i32 s3, s3, 1
	s_mul_i32 s18, s12, 3
	s_mul_i32 s3, ttmp7, s3
	v_lshl_add_u32 v1, v5, 1, v5
	s_add_co_i32 s13, s13, s3
	s_cmp_eq_u32 s2, 0
	s_mov_b32 s17, 0
	s_cselect_b32 s2, ttmp7, s13
                                        ; implicit-def: $vgpr13
	s_delay_alu instid0(SALU_CYCLE_1) | instskip(SKIP_4) | instid1(VALU_DEP_2)
	s_lshl_b32 s16, s2, 5
	v_mad_u32 v6, s18, s2, v5
	v_ashrrev_i32_e32 v2, 31, v1
	s_wait_kmcnt 0x0
	s_load_b32 s3, s[10:11], s16 offset:0x0 scale_offset
	v_add_nc_u32_e32 v7, s12, v6
	s_delay_alu instid0(VALU_DEP_2) | instskip(NEXT) | instid1(VALU_DEP_1)
	v_lshrrev_b32_e32 v2, 27, v2
	v_add_nc_u32_e32 v1, v1, v2
	s_delay_alu instid0(VALU_DEP_1) | instskip(SKIP_4) | instid1(SALU_CYCLE_1)
	v_ashrrev_i32_e32 v10, 5, v1
	s_wait_kmcnt 0x0
	s_mul_i32 s2, s18, s3
	v_mad_u32 v9, s3, s12, v5
	s_ashr_i32 s13, s2, 31
	s_lshr_b32 s3, s13, 27
	s_delay_alu instid0(SALU_CYCLE_1) | instskip(NEXT) | instid1(SALU_CYCLE_1)
	s_add_co_i32 s2, s2, s3
	s_ashr_i32 s2, s2, 5
	s_delay_alu instid0(SALU_CYCLE_1)
	v_dual_add_nc_u32 v1, s12, v7 :: v_dual_add_nc_u32 v8, s2, v10
	s_clause 0x2
	global_load_b32 v12, v6, s[4:5] scale_offset
	global_load_b32 v11, v7, s[4:5] scale_offset
	;; [unrolled: 1-line block ×3, first 2 shown]
	global_load_u16 v2, v9, s[6:7] scale_offset
	global_load_b32 v3, v8, s[8:9] scale_offset
	s_wait_xcnt 0x3
	v_and_b32_e32 v7, 31, v0
	s_wait_xcnt 0x2
	s_mov_b32 s4, s17
	s_wait_xcnt 0x1
	v_ashrrev_i32_e32 v9, 31, v8
	s_mov_b32 s5, exec_lo
	v_cmp_lt_u32_e64 s2, 9, v7
	v_cmp_lt_u32_e32 vcc_lo, 20, v7
	s_delay_alu instid0(VALU_DEP_3)
	v_lshl_add_u64 v[0:1], v[8:9], 2, s[8:9]
	s_wait_xcnt 0x0
	v_cmpx_lt_i32_e32 20, v7
	s_xor_b32 s5, exec_lo, s5
	s_cbranch_execz .LBB6_5
; %bb.2:
	s_mov_b32 s4, -1
	s_mov_b32 s13, exec_lo
                                        ; implicit-def: $vgpr13
	v_cmpx_eq_u32_e32 21, v7
	s_cbranch_execz .LBB6_4
; %bb.3:
	global_load_b32 v6, v[0:1], off offset:4
	s_xor_b32 s4, exec_lo, -1
	s_wait_loadcnt 0x0
	v_alignbit_b32 v6, v6, v3, 31
	s_delay_alu instid0(VALU_DEP_1)
	v_and_b32_e32 v13, 7, v6
.LBB6_4:
	s_or_b32 exec_lo, exec_lo, s13
	s_delay_alu instid0(SALU_CYCLE_1)
	s_and_b32 s4, s4, exec_lo
.LBB6_5:
	s_or_saveexec_b32 s5, s5
	s_mov_b32 s13, 0
	s_xor_b32 exec_lo, exec_lo, s5
; %bb.6:
	v_cmp_ne_u32_e64 s3, 10, v7
	s_and_not1_b32 s4, s4, exec_lo
	s_mov_b32 s13, exec_lo
	s_and_b32 s3, s3, exec_lo
	s_delay_alu instid0(SALU_CYCLE_1)
	s_or_b32 s4, s4, s3
; %bb.7:
	s_or_b32 exec_lo, exec_lo, s5
	v_mul_u32_u24_e32 v8, 3, v7
	v_mad_u32_u24 v9, v7, 3, 0xffffffc0
	v_mad_u32_u24 v6, v7, 3, 0xffffffe0
	s_and_saveexec_b32 s3, s4
	s_delay_alu instid0(SALU_CYCLE_1)
	s_xor_b32 s3, exec_lo, s3
	s_cbranch_execz .LBB6_17
; %bb.8:
                                        ; implicit-def: $vgpr13
	s_and_saveexec_b32 s4, s2
	s_delay_alu instid0(SALU_CYCLE_1)
	s_xor_b32 s4, exec_lo, s4
	s_cbranch_execz .LBB6_14
; %bb.9:
                                        ; implicit-def: $vgpr13
	s_and_saveexec_b32 s5, vcc_lo
	s_delay_alu instid0(SALU_CYCLE_1)
	s_xor_b32 s5, exec_lo, s5
	s_cbranch_execz .LBB6_11
; %bb.10:
	s_wait_loadcnt 0x0
	v_bfe_u32 v13, v3, v9, 3
.LBB6_11:
	s_and_not1_saveexec_b32 s5, s5
	s_cbranch_execz .LBB6_13
; %bb.12:
	s_wait_loadcnt 0x0
	v_bfe_u32 v13, v3, v6, 3
.LBB6_13:
	s_or_b32 exec_lo, exec_lo, s5
.LBB6_14:
	s_and_not1_saveexec_b32 s4, s4
	s_cbranch_execz .LBB6_16
; %bb.15:
	s_wait_loadcnt 0x0
	v_bfe_u32 v13, v3, v8, 3
.LBB6_16:
	s_or_b32 exec_lo, exec_lo, s4
	s_delay_alu instid0(SALU_CYCLE_1)
	s_and_not1_b32 s13, s13, exec_lo
.LBB6_17:
	s_or_b32 exec_lo, exec_lo, s3
	s_lshl_b64 s[4:5], s[16:17], 2
	s_and_saveexec_b32 s3, s13
	s_cbranch_execz .LBB6_19
; %bb.18:
	global_load_b32 v0, v[0:1], off offset:4
	s_wait_loadcnt 0x0
	v_alignbit_b32 v0, v0, v3, 30
	s_delay_alu instid0(VALU_DEP_1)
	v_and_b32_e32 v13, 7, v0
.LBB6_19:
	s_or_b32 exec_lo, exec_lo, s3
	s_load_b32 s0, s[0:1], 0x2c
	s_add_nc_u64 s[4:5], s[10:11], s[4:5]
	v_mad_u32 v14, s12, s16, v5
	s_mov_b32 s11, exec_lo
	s_delay_alu instid0(VALU_DEP_1)
	v_ashrrev_i32_e32 v15, 31, v14
	s_wait_kmcnt 0x0
	s_and_b32 s1, s0, 1
	s_load_b32 s0, s[4:5], 0x4
	s_add_co_i32 s1, s1, -1
	s_wait_loadcnt 0x4
	v_dual_sub_nc_u32 v1, s1, v13 :: v_dual_bitop2_b32 v0, 7, v12 bitop3:0x40
	s_delay_alu instid0(VALU_DEP_1) | instskip(NEXT) | instid1(VALU_DEP_1)
	v_add_nc_u32_e32 v0, v1, v0
	v_cvt_f32_i32_e32 v0, v0
	s_delay_alu instid0(VALU_DEP_1)
	v_cvt_f16_f32_e32 v0, v0
	s_wait_kmcnt 0x0
	s_mul_i32 s3, s18, s0
	s_wait_loadcnt 0x0
	v_mad_u32 v3, s0, s12, v5
	s_ashr_i32 s10, s3, 31
	v_mul_f16_e32 v2, v2, v0
	s_lshr_b32 s0, s10, 27
	v_lshl_add_u64 v[0:1], v[14:15], 1, s[14:15]
	s_add_co_i32 s3, s3, s0
	s_mov_b32 s10, 0
	s_ashr_i32 s0, s3, 5
	global_store_b16 v14, v2, s[14:15] scale_offset
	s_wait_xcnt 0x0
	v_add_nc_u32_e32 v2, s0, v10
	s_mov_b32 s3, 0
                                        ; implicit-def: $vgpr15
	global_load_u16 v13, v3, s[6:7] scale_offset
	global_load_b32 v14, v2, s[8:9] scale_offset
	s_wait_xcnt 0x1
	v_ashrrev_i32_e32 v3, 31, v2
	s_wait_xcnt 0x0
	s_delay_alu instid0(VALU_DEP_1)
	v_lshl_add_u64 v[2:3], v[2:3], 2, s[8:9]
	v_cmpx_lt_i32_e32 20, v7
	s_xor_b32 s11, exec_lo, s11
	s_cbranch_execnz .LBB6_176
; %bb.20:
	s_and_not1_saveexec_b32 s11, s11
	s_cbranch_execnz .LBB6_179
.LBB6_21:
	s_or_b32 exec_lo, exec_lo, s11
	s_and_saveexec_b32 s0, s10
	s_delay_alu instid0(SALU_CYCLE_1)
	s_xor_b32 s0, exec_lo, s0
	s_cbranch_execnz .LBB6_180
.LBB6_22:
	s_or_b32 exec_lo, exec_lo, s0
	s_and_saveexec_b32 s0, s3
	s_cbranch_execz .LBB6_24
.LBB6_23:
	global_load_b32 v2, v[2:3], off offset:4
	s_wait_loadcnt 0x0
	v_alignbit_b32 v2, v2, v14, 30
	s_delay_alu instid0(VALU_DEP_1)
	v_and_b32_e32 v15, 7, v2
.LBB6_24:
	s_or_b32 exec_lo, exec_lo, s0
	s_load_b32 s0, s[4:5], 0x8
	v_bfe_u32 v2, v12, 3, 3
	s_delay_alu instid0(VALU_DEP_2) | instskip(SKIP_3) | instid1(VALU_DEP_2)
	v_sub_nc_u32_e32 v3, s1, v15
	s_ashr_i32 s13, s12, 31
	s_mov_b32 s11, exec_lo
	v_lshl_add_u64 v[0:1], s[12:13], 1, v[0:1]
                                        ; implicit-def: $vgpr15
	v_add_nc_u32_e32 v2, v3, v2
	s_delay_alu instid0(VALU_DEP_1) | instskip(NEXT) | instid1(VALU_DEP_1)
	v_cvt_f32_i32_e32 v2, v2
	v_cvt_f16_f32_e32 v2, v2
	s_wait_kmcnt 0x0
	s_mul_i32 s3, s18, s0
	v_mad_u32 v3, s0, s12, v5
	s_ashr_i32 s10, s3, 31
	s_wait_loadcnt 0x1
	v_mul_f16_e32 v2, v13, v2
	s_lshr_b32 s0, s10, 27
	s_mov_b32 s10, 0
	s_add_co_i32 s3, s3, s0
	global_store_b16 v[0:1], v2, off
	s_ashr_i32 s0, s3, 5
	s_mov_b32 s3, 0
	s_wait_xcnt 0x0
	v_add_nc_u32_e32 v2, s0, v10
	global_load_u16 v13, v3, s[6:7] scale_offset
	s_wait_loadcnt 0x1
	global_load_b32 v14, v2, s[8:9] scale_offset
	s_wait_xcnt 0x1
	v_ashrrev_i32_e32 v3, 31, v2
	s_wait_xcnt 0x0
	s_delay_alu instid0(VALU_DEP_1)
	v_lshl_add_u64 v[2:3], v[2:3], 2, s[8:9]
	v_cmpx_lt_i32_e32 20, v7
	s_xor_b32 s11, exec_lo, s11
	s_cbranch_execnz .LBB6_189
; %bb.25:
	s_and_not1_saveexec_b32 s11, s11
	s_cbranch_execnz .LBB6_192
.LBB6_26:
	s_or_b32 exec_lo, exec_lo, s11
	s_and_saveexec_b32 s0, s10
	s_delay_alu instid0(SALU_CYCLE_1)
	s_xor_b32 s0, exec_lo, s0
	s_cbranch_execnz .LBB6_193
.LBB6_27:
	s_or_b32 exec_lo, exec_lo, s0
	s_and_saveexec_b32 s0, s3
	s_cbranch_execz .LBB6_29
.LBB6_28:
	global_load_b32 v2, v[2:3], off offset:4
	s_wait_loadcnt 0x0
	v_alignbit_b32 v2, v2, v14, 30
	s_delay_alu instid0(VALU_DEP_1)
	v_and_b32_e32 v15, 7, v2
.LBB6_29:
	s_or_b32 exec_lo, exec_lo, s0
	s_load_b32 s0, s[4:5], 0xc
	v_bfe_u32 v2, v12, 6, 3
	s_delay_alu instid0(VALU_DEP_2) | instskip(SKIP_2) | instid1(VALU_DEP_2)
	v_sub_nc_u32_e32 v3, s1, v15
	v_lshl_add_u64 v[0:1], s[12:13], 1, v[0:1]
	s_mov_b32 s11, exec_lo
                                        ; implicit-def: $vgpr15
	v_add_nc_u32_e32 v2, v3, v2
	s_delay_alu instid0(VALU_DEP_1) | instskip(NEXT) | instid1(VALU_DEP_1)
	v_cvt_f32_i32_e32 v2, v2
	v_cvt_f16_f32_e32 v2, v2
	s_wait_kmcnt 0x0
	s_mul_i32 s3, s18, s0
	v_mad_u32 v3, s0, s12, v5
	s_ashr_i32 s10, s3, 31
	s_wait_loadcnt 0x1
	v_mul_f16_e32 v2, v13, v2
	s_lshr_b32 s0, s10, 27
	s_mov_b32 s10, 0
	s_add_co_i32 s3, s3, s0
	global_store_b16 v[0:1], v2, off
	s_ashr_i32 s0, s3, 5
	s_mov_b32 s3, 0
	s_wait_xcnt 0x0
	v_add_nc_u32_e32 v2, s0, v10
	global_load_u16 v13, v3, s[6:7] scale_offset
	s_wait_loadcnt 0x1
	global_load_b32 v14, v2, s[8:9] scale_offset
	s_wait_xcnt 0x1
	v_ashrrev_i32_e32 v3, 31, v2
	s_wait_xcnt 0x0
	s_delay_alu instid0(VALU_DEP_1)
	v_lshl_add_u64 v[2:3], v[2:3], 2, s[8:9]
	v_cmpx_lt_i32_e32 20, v7
	s_xor_b32 s11, exec_lo, s11
	s_cbranch_execnz .LBB6_202
; %bb.30:
	s_and_not1_saveexec_b32 s11, s11
	s_cbranch_execnz .LBB6_205
.LBB6_31:
	s_or_b32 exec_lo, exec_lo, s11
	s_and_saveexec_b32 s0, s10
	s_delay_alu instid0(SALU_CYCLE_1)
	s_xor_b32 s0, exec_lo, s0
	s_cbranch_execnz .LBB6_206
.LBB6_32:
	s_or_b32 exec_lo, exec_lo, s0
	s_and_saveexec_b32 s0, s3
	s_cbranch_execz .LBB6_34
.LBB6_33:
	global_load_b32 v2, v[2:3], off offset:4
	s_wait_loadcnt 0x0
	v_alignbit_b32 v2, v2, v14, 30
	s_delay_alu instid0(VALU_DEP_1)
	v_and_b32_e32 v15, 7, v2
.LBB6_34:
	s_or_b32 exec_lo, exec_lo, s0
	s_load_b32 s0, s[4:5], 0x10
	v_bfe_u32 v2, v12, 9, 3
	s_delay_alu instid0(VALU_DEP_2) | instskip(SKIP_2) | instid1(VALU_DEP_2)
	v_sub_nc_u32_e32 v3, s1, v15
	v_lshl_add_u64 v[0:1], s[12:13], 1, v[0:1]
	s_mov_b32 s11, exec_lo
                                        ; implicit-def: $vgpr15
	v_add_nc_u32_e32 v2, v3, v2
	s_delay_alu instid0(VALU_DEP_1) | instskip(NEXT) | instid1(VALU_DEP_1)
	v_cvt_f32_i32_e32 v2, v2
	v_cvt_f16_f32_e32 v2, v2
	s_wait_kmcnt 0x0
	s_mul_i32 s3, s18, s0
	v_mad_u32 v3, s0, s12, v5
	s_ashr_i32 s10, s3, 31
	s_wait_loadcnt 0x1
	v_mul_f16_e32 v2, v13, v2
	s_lshr_b32 s0, s10, 27
	s_mov_b32 s10, 0
	s_add_co_i32 s3, s3, s0
	global_store_b16 v[0:1], v2, off
	s_ashr_i32 s0, s3, 5
	s_mov_b32 s3, 0
	s_wait_xcnt 0x0
	v_add_nc_u32_e32 v2, s0, v10
	global_load_u16 v13, v3, s[6:7] scale_offset
	s_wait_loadcnt 0x1
	global_load_b32 v14, v2, s[8:9] scale_offset
	s_wait_xcnt 0x1
	v_ashrrev_i32_e32 v3, 31, v2
	s_wait_xcnt 0x0
	s_delay_alu instid0(VALU_DEP_1)
	v_lshl_add_u64 v[2:3], v[2:3], 2, s[8:9]
	v_cmpx_lt_i32_e32 20, v7
	s_xor_b32 s11, exec_lo, s11
	s_cbranch_execnz .LBB6_215
; %bb.35:
	s_and_not1_saveexec_b32 s11, s11
	s_cbranch_execnz .LBB6_218
.LBB6_36:
	s_or_b32 exec_lo, exec_lo, s11
	s_and_saveexec_b32 s0, s10
	s_delay_alu instid0(SALU_CYCLE_1)
	s_xor_b32 s0, exec_lo, s0
	s_cbranch_execnz .LBB6_219
.LBB6_37:
	s_or_b32 exec_lo, exec_lo, s0
	s_and_saveexec_b32 s0, s3
	s_cbranch_execz .LBB6_39
.LBB6_38:
	global_load_b32 v2, v[2:3], off offset:4
	s_wait_loadcnt 0x0
	v_alignbit_b32 v2, v2, v14, 30
	s_delay_alu instid0(VALU_DEP_1)
	v_and_b32_e32 v15, 7, v2
.LBB6_39:
	s_or_b32 exec_lo, exec_lo, s0
	s_load_b32 s0, s[4:5], 0x14
	v_bfe_u32 v2, v12, 12, 3
	s_delay_alu instid0(VALU_DEP_2) | instskip(SKIP_2) | instid1(VALU_DEP_2)
	v_sub_nc_u32_e32 v3, s1, v15
	v_lshl_add_u64 v[0:1], s[12:13], 1, v[0:1]
	s_mov_b32 s11, exec_lo
                                        ; implicit-def: $vgpr15
	v_add_nc_u32_e32 v2, v3, v2
	s_delay_alu instid0(VALU_DEP_1) | instskip(NEXT) | instid1(VALU_DEP_1)
	v_cvt_f32_i32_e32 v2, v2
	v_cvt_f16_f32_e32 v2, v2
	s_wait_kmcnt 0x0
	s_mul_i32 s3, s18, s0
	v_mad_u32 v3, s0, s12, v5
	s_ashr_i32 s10, s3, 31
	s_wait_loadcnt 0x1
	v_mul_f16_e32 v2, v13, v2
	s_lshr_b32 s0, s10, 27
	s_mov_b32 s10, 0
	s_add_co_i32 s3, s3, s0
	global_store_b16 v[0:1], v2, off
	s_ashr_i32 s0, s3, 5
	s_mov_b32 s3, 0
	s_wait_xcnt 0x0
	v_add_nc_u32_e32 v2, s0, v10
	global_load_u16 v13, v3, s[6:7] scale_offset
	s_wait_loadcnt 0x1
	global_load_b32 v14, v2, s[8:9] scale_offset
	s_wait_xcnt 0x1
	v_ashrrev_i32_e32 v3, 31, v2
	s_wait_xcnt 0x0
	s_delay_alu instid0(VALU_DEP_1)
	v_lshl_add_u64 v[2:3], v[2:3], 2, s[8:9]
	v_cmpx_lt_i32_e32 20, v7
	s_xor_b32 s11, exec_lo, s11
	s_cbranch_execnz .LBB6_228
; %bb.40:
	s_and_not1_saveexec_b32 s11, s11
	s_cbranch_execnz .LBB6_231
.LBB6_41:
	s_or_b32 exec_lo, exec_lo, s11
	s_and_saveexec_b32 s0, s10
	s_delay_alu instid0(SALU_CYCLE_1)
	s_xor_b32 s0, exec_lo, s0
	s_cbranch_execnz .LBB6_232
.LBB6_42:
	s_or_b32 exec_lo, exec_lo, s0
	s_and_saveexec_b32 s0, s3
	s_cbranch_execz .LBB6_44
.LBB6_43:
	global_load_b32 v2, v[2:3], off offset:4
	s_wait_loadcnt 0x0
	v_alignbit_b32 v2, v2, v14, 30
	s_delay_alu instid0(VALU_DEP_1)
	v_and_b32_e32 v15, 7, v2
.LBB6_44:
	s_or_b32 exec_lo, exec_lo, s0
	s_load_b32 s0, s[4:5], 0x18
	v_bfe_u32 v2, v12, 15, 3
	s_delay_alu instid0(VALU_DEP_2) | instskip(SKIP_2) | instid1(VALU_DEP_2)
	v_sub_nc_u32_e32 v3, s1, v15
	v_lshl_add_u64 v[0:1], s[12:13], 1, v[0:1]
	s_mov_b32 s11, exec_lo
                                        ; implicit-def: $vgpr15
	v_add_nc_u32_e32 v2, v3, v2
	s_delay_alu instid0(VALU_DEP_1) | instskip(NEXT) | instid1(VALU_DEP_1)
	v_cvt_f32_i32_e32 v2, v2
	v_cvt_f16_f32_e32 v2, v2
	s_wait_kmcnt 0x0
	s_mul_i32 s3, s18, s0
	v_mad_u32 v3, s0, s12, v5
	s_ashr_i32 s10, s3, 31
	s_wait_loadcnt 0x1
	v_mul_f16_e32 v2, v13, v2
	s_lshr_b32 s0, s10, 27
	s_mov_b32 s10, 0
	s_add_co_i32 s3, s3, s0
	global_store_b16 v[0:1], v2, off
	s_ashr_i32 s0, s3, 5
	s_mov_b32 s3, 0
	s_wait_xcnt 0x0
	v_add_nc_u32_e32 v2, s0, v10
	global_load_u16 v13, v3, s[6:7] scale_offset
	s_wait_loadcnt 0x1
	global_load_b32 v14, v2, s[8:9] scale_offset
	s_wait_xcnt 0x1
	v_ashrrev_i32_e32 v3, 31, v2
	s_wait_xcnt 0x0
	s_delay_alu instid0(VALU_DEP_1)
	v_lshl_add_u64 v[2:3], v[2:3], 2, s[8:9]
	v_cmpx_lt_i32_e32 20, v7
	s_xor_b32 s11, exec_lo, s11
	s_cbranch_execnz .LBB6_241
; %bb.45:
	s_and_not1_saveexec_b32 s11, s11
	s_cbranch_execnz .LBB6_244
.LBB6_46:
	s_or_b32 exec_lo, exec_lo, s11
	s_and_saveexec_b32 s0, s10
	s_delay_alu instid0(SALU_CYCLE_1)
	s_xor_b32 s0, exec_lo, s0
	s_cbranch_execnz .LBB6_245
.LBB6_47:
	s_or_b32 exec_lo, exec_lo, s0
	s_and_saveexec_b32 s0, s3
	s_cbranch_execz .LBB6_49
.LBB6_48:
	global_load_b32 v2, v[2:3], off offset:4
	s_wait_loadcnt 0x0
	v_alignbit_b32 v2, v2, v14, 30
	s_delay_alu instid0(VALU_DEP_1)
	v_and_b32_e32 v15, 7, v2
.LBB6_49:
	s_or_b32 exec_lo, exec_lo, s0
	s_load_b32 s0, s[4:5], 0x1c
	v_bfe_u32 v2, v12, 18, 3
	s_delay_alu instid0(VALU_DEP_2) | instskip(SKIP_2) | instid1(VALU_DEP_2)
	v_sub_nc_u32_e32 v3, s1, v15
	v_lshl_add_u64 v[0:1], s[12:13], 1, v[0:1]
	s_mov_b32 s11, exec_lo
                                        ; implicit-def: $vgpr15
	v_add_nc_u32_e32 v2, v3, v2
	s_delay_alu instid0(VALU_DEP_1) | instskip(NEXT) | instid1(VALU_DEP_1)
	v_cvt_f32_i32_e32 v2, v2
	v_cvt_f16_f32_e32 v2, v2
	s_wait_kmcnt 0x0
	s_mul_i32 s3, s18, s0
	v_mad_u32 v3, s0, s12, v5
	s_ashr_i32 s10, s3, 31
	s_wait_loadcnt 0x1
	v_mul_f16_e32 v2, v13, v2
	s_lshr_b32 s0, s10, 27
	s_mov_b32 s10, 0
	s_add_co_i32 s3, s3, s0
	global_store_b16 v[0:1], v2, off
	s_ashr_i32 s0, s3, 5
	s_mov_b32 s3, 0
	s_wait_xcnt 0x0
	v_add_nc_u32_e32 v2, s0, v10
	global_load_u16 v13, v3, s[6:7] scale_offset
	s_wait_loadcnt 0x1
	global_load_b32 v14, v2, s[8:9] scale_offset
	s_wait_xcnt 0x1
	v_ashrrev_i32_e32 v3, 31, v2
	s_wait_xcnt 0x0
	s_delay_alu instid0(VALU_DEP_1)
	v_lshl_add_u64 v[2:3], v[2:3], 2, s[8:9]
	v_cmpx_lt_i32_e32 20, v7
	s_xor_b32 s11, exec_lo, s11
	s_cbranch_execnz .LBB6_254
; %bb.50:
	s_and_not1_saveexec_b32 s11, s11
	s_cbranch_execnz .LBB6_257
.LBB6_51:
	s_or_b32 exec_lo, exec_lo, s11
	s_and_saveexec_b32 s0, s10
	s_delay_alu instid0(SALU_CYCLE_1)
	s_xor_b32 s0, exec_lo, s0
	s_cbranch_execnz .LBB6_258
.LBB6_52:
	s_or_b32 exec_lo, exec_lo, s0
	s_and_saveexec_b32 s0, s3
	s_cbranch_execz .LBB6_54
.LBB6_53:
	global_load_b32 v2, v[2:3], off offset:4
	s_wait_loadcnt 0x0
	v_alignbit_b32 v2, v2, v14, 30
	s_delay_alu instid0(VALU_DEP_1)
	v_and_b32_e32 v15, 7, v2
.LBB6_54:
	s_or_b32 exec_lo, exec_lo, s0
	s_load_b32 s0, s[4:5], 0x20
	v_bfe_u32 v2, v12, 21, 3
	s_delay_alu instid0(VALU_DEP_2) | instskip(SKIP_2) | instid1(VALU_DEP_2)
	v_sub_nc_u32_e32 v3, s1, v15
	v_lshl_add_u64 v[0:1], s[12:13], 1, v[0:1]
	s_mov_b32 s11, exec_lo
                                        ; implicit-def: $vgpr15
	v_add_nc_u32_e32 v2, v3, v2
	s_delay_alu instid0(VALU_DEP_1) | instskip(NEXT) | instid1(VALU_DEP_1)
	v_cvt_f32_i32_e32 v2, v2
	v_cvt_f16_f32_e32 v2, v2
	s_wait_kmcnt 0x0
	s_mul_i32 s3, s18, s0
	v_mad_u32 v3, s0, s12, v5
	s_ashr_i32 s10, s3, 31
	s_wait_loadcnt 0x1
	v_mul_f16_e32 v2, v13, v2
	s_lshr_b32 s0, s10, 27
	s_mov_b32 s10, 0
	s_add_co_i32 s3, s3, s0
	global_store_b16 v[0:1], v2, off
	s_ashr_i32 s0, s3, 5
	s_mov_b32 s3, 0
	s_wait_xcnt 0x0
	v_add_nc_u32_e32 v2, s0, v10
	global_load_u16 v13, v3, s[6:7] scale_offset
	s_wait_loadcnt 0x1
	global_load_b32 v14, v2, s[8:9] scale_offset
	s_wait_xcnt 0x1
	v_ashrrev_i32_e32 v3, 31, v2
	s_wait_xcnt 0x0
	s_delay_alu instid0(VALU_DEP_1)
	v_lshl_add_u64 v[2:3], v[2:3], 2, s[8:9]
	v_cmpx_lt_i32_e32 20, v7
	s_xor_b32 s11, exec_lo, s11
	s_cbranch_execnz .LBB6_267
; %bb.55:
	s_and_not1_saveexec_b32 s11, s11
	s_cbranch_execnz .LBB6_270
.LBB6_56:
	s_or_b32 exec_lo, exec_lo, s11
	s_and_saveexec_b32 s0, s10
	s_delay_alu instid0(SALU_CYCLE_1)
	s_xor_b32 s0, exec_lo, s0
	s_cbranch_execnz .LBB6_271
.LBB6_57:
	s_or_b32 exec_lo, exec_lo, s0
	s_and_saveexec_b32 s0, s3
	s_cbranch_execz .LBB6_59
.LBB6_58:
	global_load_b32 v2, v[2:3], off offset:4
	s_wait_loadcnt 0x0
	v_alignbit_b32 v2, v2, v14, 30
	s_delay_alu instid0(VALU_DEP_1)
	v_and_b32_e32 v15, 7, v2
.LBB6_59:
	s_or_b32 exec_lo, exec_lo, s0
	s_load_b32 s0, s[4:5], 0x24
	v_bfe_u32 v2, v12, 24, 3
	s_delay_alu instid0(VALU_DEP_2) | instskip(SKIP_2) | instid1(VALU_DEP_2)
	v_sub_nc_u32_e32 v3, s1, v15
	v_lshl_add_u64 v[0:1], s[12:13], 1, v[0:1]
	s_mov_b32 s11, exec_lo
                                        ; implicit-def: $vgpr15
	v_add_nc_u32_e32 v2, v3, v2
	s_delay_alu instid0(VALU_DEP_1) | instskip(NEXT) | instid1(VALU_DEP_1)
	v_cvt_f32_i32_e32 v2, v2
	v_cvt_f16_f32_e32 v2, v2
	s_wait_kmcnt 0x0
	s_mul_i32 s3, s18, s0
	v_mad_u32 v3, s0, s12, v5
	s_ashr_i32 s10, s3, 31
	s_wait_loadcnt 0x1
	v_mul_f16_e32 v2, v13, v2
	s_lshr_b32 s0, s10, 27
	s_mov_b32 s10, 0
	s_add_co_i32 s3, s3, s0
	global_store_b16 v[0:1], v2, off
	s_ashr_i32 s0, s3, 5
	s_mov_b32 s3, 0
	s_wait_xcnt 0x0
	v_add_nc_u32_e32 v2, s0, v10
	global_load_u16 v13, v3, s[6:7] scale_offset
	s_wait_loadcnt 0x1
	global_load_b32 v14, v2, s[8:9] scale_offset
	s_wait_xcnt 0x1
	v_ashrrev_i32_e32 v3, 31, v2
	s_wait_xcnt 0x0
	s_delay_alu instid0(VALU_DEP_1)
	v_lshl_add_u64 v[2:3], v[2:3], 2, s[8:9]
	v_cmpx_lt_i32_e32 20, v7
	s_xor_b32 s11, exec_lo, s11
	s_cbranch_execnz .LBB6_280
; %bb.60:
	s_and_not1_saveexec_b32 s11, s11
	s_cbranch_execnz .LBB6_283
.LBB6_61:
	s_or_b32 exec_lo, exec_lo, s11
	s_and_saveexec_b32 s0, s10
	s_delay_alu instid0(SALU_CYCLE_1)
	s_xor_b32 s0, exec_lo, s0
	s_cbranch_execnz .LBB6_284
.LBB6_62:
	s_or_b32 exec_lo, exec_lo, s0
	s_and_saveexec_b32 s0, s3
	s_cbranch_execz .LBB6_64
.LBB6_63:
	global_load_b32 v2, v[2:3], off offset:4
	s_wait_loadcnt 0x0
	v_alignbit_b32 v2, v2, v14, 30
	s_delay_alu instid0(VALU_DEP_1)
	v_and_b32_e32 v15, 7, v2
.LBB6_64:
	s_or_b32 exec_lo, exec_lo, s0
	s_load_b32 s0, s[4:5], 0x28
	v_bfe_u32 v2, v12, 27, 3
	s_delay_alu instid0(VALU_DEP_2) | instskip(SKIP_2) | instid1(VALU_DEP_2)
	v_sub_nc_u32_e32 v3, s1, v15
	v_lshl_add_u64 v[0:1], s[12:13], 1, v[0:1]
	s_mov_b32 s11, exec_lo
                                        ; implicit-def: $vgpr15
	v_add_nc_u32_e32 v2, v3, v2
	s_delay_alu instid0(VALU_DEP_1) | instskip(NEXT) | instid1(VALU_DEP_1)
	v_cvt_f32_i32_e32 v2, v2
	v_cvt_f16_f32_e32 v2, v2
	s_wait_kmcnt 0x0
	s_mul_i32 s3, s18, s0
	v_mad_u32 v3, s0, s12, v5
	s_ashr_i32 s10, s3, 31
	s_wait_loadcnt 0x1
	v_mul_f16_e32 v2, v13, v2
	s_lshr_b32 s0, s10, 27
	s_mov_b32 s10, 0
	s_add_co_i32 s3, s3, s0
	global_store_b16 v[0:1], v2, off
	s_ashr_i32 s0, s3, 5
	s_mov_b32 s3, 0
	s_wait_xcnt 0x0
	v_add_nc_u32_e32 v2, s0, v10
	global_load_u16 v13, v3, s[6:7] scale_offset
	s_wait_loadcnt 0x1
	global_load_b32 v14, v2, s[8:9] scale_offset
	s_wait_xcnt 0x1
	v_ashrrev_i32_e32 v3, 31, v2
	s_wait_xcnt 0x0
	s_delay_alu instid0(VALU_DEP_1)
	v_lshl_add_u64 v[2:3], v[2:3], 2, s[8:9]
	v_cmpx_lt_i32_e32 20, v7
	s_xor_b32 s11, exec_lo, s11
	s_cbranch_execnz .LBB6_293
; %bb.65:
	s_and_not1_saveexec_b32 s11, s11
	s_cbranch_execnz .LBB6_296
.LBB6_66:
	s_or_b32 exec_lo, exec_lo, s11
	s_and_saveexec_b32 s0, s10
	s_delay_alu instid0(SALU_CYCLE_1)
	s_xor_b32 s0, exec_lo, s0
	s_cbranch_execnz .LBB6_297
.LBB6_67:
	s_or_b32 exec_lo, exec_lo, s0
	s_and_saveexec_b32 s0, s3
	s_cbranch_execz .LBB6_69
.LBB6_68:
	global_load_b32 v2, v[2:3], off offset:4
	s_wait_loadcnt 0x0
	v_alignbit_b32 v2, v2, v14, 30
	s_delay_alu instid0(VALU_DEP_1)
	v_and_b32_e32 v15, 7, v2
.LBB6_69:
	s_or_b32 exec_lo, exec_lo, s0
	v_alignbit_b32 v2, v11, v12, 30
	s_load_b32 s0, s[4:5], 0x2c
	v_lshl_add_u64 v[0:1], s[12:13], 1, v[0:1]
	s_mov_b32 s11, exec_lo
                                        ; implicit-def: $vgpr14
	s_delay_alu instid0(VALU_DEP_2) | instskip(NEXT) | instid1(VALU_DEP_1)
	v_dual_sub_nc_u32 v3, s1, v15 :: v_dual_bitop2_b32 v2, 7, v2 bitop3:0x40
	v_add_nc_u32_e32 v2, v3, v2
	s_delay_alu instid0(VALU_DEP_1) | instskip(NEXT) | instid1(VALU_DEP_1)
	v_cvt_f32_i32_e32 v2, v2
	v_cvt_f16_f32_e32 v2, v2
	s_wait_kmcnt 0x0
	s_mul_i32 s3, s18, s0
	v_mad_u32 v3, s0, s12, v5
	s_ashr_i32 s10, s3, 31
	s_delay_alu instid0(SALU_CYCLE_1)
	s_lshr_b32 s0, s10, 27
	s_wait_loadcnt 0x1
	v_mul_f16_e32 v2, v13, v2
	s_add_co_i32 s3, s3, s0
	s_mov_b32 s10, 0
	s_ashr_i32 s0, s3, 5
	s_mov_b32 s3, 0
	global_store_b16 v[0:1], v2, off
	s_wait_xcnt 0x0
	v_add_nc_u32_e32 v2, s0, v10
	global_load_u16 v12, v3, s[6:7] scale_offset
	global_load_b32 v13, v2, s[8:9] scale_offset
	s_wait_xcnt 0x1
	v_ashrrev_i32_e32 v3, 31, v2
	s_wait_xcnt 0x0
	s_delay_alu instid0(VALU_DEP_1)
	v_lshl_add_u64 v[2:3], v[2:3], 2, s[8:9]
	v_cmpx_lt_i32_e32 20, v7
	s_xor_b32 s11, exec_lo, s11
	s_cbranch_execnz .LBB6_306
; %bb.70:
	s_and_not1_saveexec_b32 s11, s11
	s_cbranch_execnz .LBB6_309
.LBB6_71:
	s_or_b32 exec_lo, exec_lo, s11
	s_and_saveexec_b32 s0, s10
	s_delay_alu instid0(SALU_CYCLE_1)
	s_xor_b32 s0, exec_lo, s0
	s_cbranch_execnz .LBB6_310
.LBB6_72:
	s_or_b32 exec_lo, exec_lo, s0
	s_and_saveexec_b32 s0, s3
	s_cbranch_execz .LBB6_74
.LBB6_73:
	global_load_b32 v2, v[2:3], off offset:4
	s_wait_loadcnt 0x0
	v_alignbit_b32 v2, v2, v13, 30
	s_delay_alu instid0(VALU_DEP_1)
	v_and_b32_e32 v14, 7, v2
.LBB6_74:
	s_or_b32 exec_lo, exec_lo, s0
	s_load_b32 s0, s[4:5], 0x30
	v_bfe_u32 v2, v11, 1, 3
	s_wait_loadcnt 0x2
	v_sub_nc_u32_e32 v3, s1, v14
	v_lshl_add_u64 v[0:1], s[12:13], 1, v[0:1]
	s_mov_b32 s11, exec_lo
                                        ; implicit-def: $vgpr14
	s_delay_alu instid0(VALU_DEP_2) | instskip(NEXT) | instid1(VALU_DEP_1)
	v_add_nc_u32_e32 v2, v3, v2
	v_cvt_f32_i32_e32 v2, v2
	s_delay_alu instid0(VALU_DEP_1)
	v_cvt_f16_f32_e32 v2, v2
	s_wait_kmcnt 0x0
	s_mul_i32 s3, s18, s0
	v_mad_u32 v3, s0, s12, v5
	s_ashr_i32 s10, s3, 31
	s_wait_loadcnt 0x1
	v_mul_f16_e32 v2, v12, v2
	s_lshr_b32 s0, s10, 27
	s_mov_b32 s10, 0
	s_add_co_i32 s3, s3, s0
	global_store_b16 v[0:1], v2, off
	s_ashr_i32 s0, s3, 5
	s_mov_b32 s3, 0
	s_wait_xcnt 0x0
	v_add_nc_u32_e32 v2, s0, v10
	global_load_u16 v12, v3, s[6:7] scale_offset
	s_wait_loadcnt 0x1
	global_load_b32 v13, v2, s[8:9] scale_offset
	s_wait_xcnt 0x1
	v_ashrrev_i32_e32 v3, 31, v2
	s_wait_xcnt 0x0
	s_delay_alu instid0(VALU_DEP_1)
	v_lshl_add_u64 v[2:3], v[2:3], 2, s[8:9]
	v_cmpx_lt_i32_e32 20, v7
	s_xor_b32 s11, exec_lo, s11
	s_cbranch_execnz .LBB6_319
; %bb.75:
	s_and_not1_saveexec_b32 s11, s11
	s_cbranch_execnz .LBB6_322
.LBB6_76:
	s_or_b32 exec_lo, exec_lo, s11
	s_and_saveexec_b32 s0, s10
	s_delay_alu instid0(SALU_CYCLE_1)
	s_xor_b32 s0, exec_lo, s0
	s_cbranch_execnz .LBB6_323
.LBB6_77:
	s_or_b32 exec_lo, exec_lo, s0
	s_and_saveexec_b32 s0, s3
	s_cbranch_execz .LBB6_79
.LBB6_78:
	global_load_b32 v2, v[2:3], off offset:4
	s_wait_loadcnt 0x0
	v_alignbit_b32 v2, v2, v13, 30
	s_delay_alu instid0(VALU_DEP_1)
	v_and_b32_e32 v14, 7, v2
.LBB6_79:
	s_or_b32 exec_lo, exec_lo, s0
	s_load_b32 s0, s[4:5], 0x34
	v_bfe_u32 v2, v11, 4, 3
	s_delay_alu instid0(VALU_DEP_2) | instskip(SKIP_2) | instid1(VALU_DEP_2)
	v_sub_nc_u32_e32 v3, s1, v14
	v_lshl_add_u64 v[0:1], s[12:13], 1, v[0:1]
	s_mov_b32 s11, exec_lo
                                        ; implicit-def: $vgpr14
	v_add_nc_u32_e32 v2, v3, v2
	s_delay_alu instid0(VALU_DEP_1) | instskip(NEXT) | instid1(VALU_DEP_1)
	v_cvt_f32_i32_e32 v2, v2
	v_cvt_f16_f32_e32 v2, v2
	s_wait_kmcnt 0x0
	s_mul_i32 s3, s18, s0
	v_mad_u32 v3, s0, s12, v5
	s_ashr_i32 s10, s3, 31
	s_wait_loadcnt 0x1
	v_mul_f16_e32 v2, v12, v2
	s_lshr_b32 s0, s10, 27
	s_mov_b32 s10, 0
	s_add_co_i32 s3, s3, s0
	global_store_b16 v[0:1], v2, off
	s_ashr_i32 s0, s3, 5
	s_mov_b32 s3, 0
	s_wait_xcnt 0x0
	v_add_nc_u32_e32 v2, s0, v10
	global_load_u16 v12, v3, s[6:7] scale_offset
	s_wait_loadcnt 0x1
	global_load_b32 v13, v2, s[8:9] scale_offset
	s_wait_xcnt 0x1
	v_ashrrev_i32_e32 v3, 31, v2
	s_wait_xcnt 0x0
	s_delay_alu instid0(VALU_DEP_1)
	v_lshl_add_u64 v[2:3], v[2:3], 2, s[8:9]
	v_cmpx_lt_i32_e32 20, v7
	s_xor_b32 s11, exec_lo, s11
	s_cbranch_execnz .LBB6_332
; %bb.80:
	s_and_not1_saveexec_b32 s11, s11
	s_cbranch_execnz .LBB6_335
.LBB6_81:
	s_or_b32 exec_lo, exec_lo, s11
	s_and_saveexec_b32 s0, s10
	s_delay_alu instid0(SALU_CYCLE_1)
	s_xor_b32 s0, exec_lo, s0
	s_cbranch_execnz .LBB6_336
.LBB6_82:
	s_or_b32 exec_lo, exec_lo, s0
	s_and_saveexec_b32 s0, s3
	s_cbranch_execz .LBB6_84
.LBB6_83:
	global_load_b32 v2, v[2:3], off offset:4
	s_wait_loadcnt 0x0
	v_alignbit_b32 v2, v2, v13, 30
	s_delay_alu instid0(VALU_DEP_1)
	v_and_b32_e32 v14, 7, v2
.LBB6_84:
	s_or_b32 exec_lo, exec_lo, s0
	s_load_b32 s0, s[4:5], 0x38
	v_bfe_u32 v2, v11, 7, 3
	s_delay_alu instid0(VALU_DEP_2) | instskip(SKIP_2) | instid1(VALU_DEP_2)
	v_sub_nc_u32_e32 v3, s1, v14
	v_lshl_add_u64 v[0:1], s[12:13], 1, v[0:1]
	s_mov_b32 s11, exec_lo
                                        ; implicit-def: $vgpr14
	v_add_nc_u32_e32 v2, v3, v2
	s_delay_alu instid0(VALU_DEP_1) | instskip(NEXT) | instid1(VALU_DEP_1)
	v_cvt_f32_i32_e32 v2, v2
	v_cvt_f16_f32_e32 v2, v2
	s_wait_kmcnt 0x0
	s_mul_i32 s3, s18, s0
	v_mad_u32 v3, s0, s12, v5
	s_ashr_i32 s10, s3, 31
	s_wait_loadcnt 0x1
	v_mul_f16_e32 v2, v12, v2
	s_lshr_b32 s0, s10, 27
	s_mov_b32 s10, 0
	s_add_co_i32 s3, s3, s0
	global_store_b16 v[0:1], v2, off
	s_ashr_i32 s0, s3, 5
	s_mov_b32 s3, 0
	s_wait_xcnt 0x0
	v_add_nc_u32_e32 v2, s0, v10
	global_load_u16 v12, v3, s[6:7] scale_offset
	s_wait_loadcnt 0x1
	global_load_b32 v13, v2, s[8:9] scale_offset
	s_wait_xcnt 0x1
	v_ashrrev_i32_e32 v3, 31, v2
	s_wait_xcnt 0x0
	s_delay_alu instid0(VALU_DEP_1)
	v_lshl_add_u64 v[2:3], v[2:3], 2, s[8:9]
	v_cmpx_lt_i32_e32 20, v7
	s_xor_b32 s11, exec_lo, s11
	s_cbranch_execnz .LBB6_345
; %bb.85:
	s_and_not1_saveexec_b32 s11, s11
	s_cbranch_execnz .LBB6_348
.LBB6_86:
	s_or_b32 exec_lo, exec_lo, s11
	s_and_saveexec_b32 s0, s10
	s_delay_alu instid0(SALU_CYCLE_1)
	s_xor_b32 s0, exec_lo, s0
	s_cbranch_execnz .LBB6_349
.LBB6_87:
	s_or_b32 exec_lo, exec_lo, s0
	s_and_saveexec_b32 s0, s3
	s_cbranch_execz .LBB6_89
.LBB6_88:
	global_load_b32 v2, v[2:3], off offset:4
	s_wait_loadcnt 0x0
	v_alignbit_b32 v2, v2, v13, 30
	s_delay_alu instid0(VALU_DEP_1)
	v_and_b32_e32 v14, 7, v2
.LBB6_89:
	s_or_b32 exec_lo, exec_lo, s0
	s_load_b32 s0, s[4:5], 0x3c
	v_bfe_u32 v2, v11, 10, 3
	s_delay_alu instid0(VALU_DEP_2) | instskip(SKIP_2) | instid1(VALU_DEP_2)
	v_sub_nc_u32_e32 v3, s1, v14
	v_lshl_add_u64 v[0:1], s[12:13], 1, v[0:1]
	s_mov_b32 s11, exec_lo
                                        ; implicit-def: $vgpr14
	v_add_nc_u32_e32 v2, v3, v2
	s_delay_alu instid0(VALU_DEP_1) | instskip(NEXT) | instid1(VALU_DEP_1)
	v_cvt_f32_i32_e32 v2, v2
	v_cvt_f16_f32_e32 v2, v2
	s_wait_kmcnt 0x0
	s_mul_i32 s3, s18, s0
	v_mad_u32 v3, s0, s12, v5
	s_ashr_i32 s10, s3, 31
	s_wait_loadcnt 0x1
	v_mul_f16_e32 v2, v12, v2
	s_lshr_b32 s0, s10, 27
	s_mov_b32 s10, 0
	s_add_co_i32 s3, s3, s0
	global_store_b16 v[0:1], v2, off
	s_ashr_i32 s0, s3, 5
	s_mov_b32 s3, 0
	s_wait_xcnt 0x0
	v_add_nc_u32_e32 v2, s0, v10
	global_load_u16 v12, v3, s[6:7] scale_offset
	s_wait_loadcnt 0x1
	global_load_b32 v13, v2, s[8:9] scale_offset
	s_wait_xcnt 0x1
	v_ashrrev_i32_e32 v3, 31, v2
	s_wait_xcnt 0x0
	s_delay_alu instid0(VALU_DEP_1)
	v_lshl_add_u64 v[2:3], v[2:3], 2, s[8:9]
	v_cmpx_lt_i32_e32 20, v7
	s_xor_b32 s11, exec_lo, s11
	s_cbranch_execnz .LBB6_358
; %bb.90:
	s_and_not1_saveexec_b32 s11, s11
	s_cbranch_execnz .LBB6_361
.LBB6_91:
	s_or_b32 exec_lo, exec_lo, s11
	s_and_saveexec_b32 s0, s10
	s_delay_alu instid0(SALU_CYCLE_1)
	s_xor_b32 s0, exec_lo, s0
	s_cbranch_execnz .LBB6_362
.LBB6_92:
	s_or_b32 exec_lo, exec_lo, s0
	s_and_saveexec_b32 s0, s3
	s_cbranch_execz .LBB6_94
.LBB6_93:
	global_load_b32 v2, v[2:3], off offset:4
	s_wait_loadcnt 0x0
	v_alignbit_b32 v2, v2, v13, 30
	s_delay_alu instid0(VALU_DEP_1)
	v_and_b32_e32 v14, 7, v2
.LBB6_94:
	s_or_b32 exec_lo, exec_lo, s0
	s_load_b32 s0, s[4:5], 0x40
	v_bfe_u32 v2, v11, 13, 3
	s_delay_alu instid0(VALU_DEP_2) | instskip(SKIP_2) | instid1(VALU_DEP_2)
	v_sub_nc_u32_e32 v3, s1, v14
	v_lshl_add_u64 v[0:1], s[12:13], 1, v[0:1]
	s_mov_b32 s11, exec_lo
                                        ; implicit-def: $vgpr14
	v_add_nc_u32_e32 v2, v3, v2
	s_delay_alu instid0(VALU_DEP_1) | instskip(NEXT) | instid1(VALU_DEP_1)
	v_cvt_f32_i32_e32 v2, v2
	v_cvt_f16_f32_e32 v2, v2
	s_wait_kmcnt 0x0
	s_mul_i32 s3, s18, s0
	v_mad_u32 v3, s0, s12, v5
	s_ashr_i32 s10, s3, 31
	s_wait_loadcnt 0x1
	v_mul_f16_e32 v2, v12, v2
	s_lshr_b32 s0, s10, 27
	s_mov_b32 s10, 0
	s_add_co_i32 s3, s3, s0
	global_store_b16 v[0:1], v2, off
	s_ashr_i32 s0, s3, 5
	s_mov_b32 s3, 0
	s_wait_xcnt 0x0
	v_add_nc_u32_e32 v2, s0, v10
	global_load_u16 v12, v3, s[6:7] scale_offset
	s_wait_loadcnt 0x1
	global_load_b32 v13, v2, s[8:9] scale_offset
	s_wait_xcnt 0x1
	v_ashrrev_i32_e32 v3, 31, v2
	s_wait_xcnt 0x0
	s_delay_alu instid0(VALU_DEP_1)
	v_lshl_add_u64 v[2:3], v[2:3], 2, s[8:9]
	v_cmpx_lt_i32_e32 20, v7
	s_xor_b32 s11, exec_lo, s11
	s_cbranch_execnz .LBB6_371
; %bb.95:
	s_and_not1_saveexec_b32 s11, s11
	s_cbranch_execnz .LBB6_374
.LBB6_96:
	s_or_b32 exec_lo, exec_lo, s11
	s_and_saveexec_b32 s0, s10
	s_delay_alu instid0(SALU_CYCLE_1)
	s_xor_b32 s0, exec_lo, s0
	s_cbranch_execnz .LBB6_375
.LBB6_97:
	s_or_b32 exec_lo, exec_lo, s0
	s_and_saveexec_b32 s0, s3
	s_cbranch_execz .LBB6_99
.LBB6_98:
	global_load_b32 v2, v[2:3], off offset:4
	s_wait_loadcnt 0x0
	v_alignbit_b32 v2, v2, v13, 30
	s_delay_alu instid0(VALU_DEP_1)
	v_and_b32_e32 v14, 7, v2
.LBB6_99:
	s_or_b32 exec_lo, exec_lo, s0
	s_load_b32 s0, s[4:5], 0x44
	v_bfe_u32 v2, v11, 16, 3
	s_delay_alu instid0(VALU_DEP_2) | instskip(SKIP_2) | instid1(VALU_DEP_2)
	v_sub_nc_u32_e32 v3, s1, v14
	v_lshl_add_u64 v[0:1], s[12:13], 1, v[0:1]
	s_mov_b32 s11, exec_lo
                                        ; implicit-def: $vgpr14
	v_add_nc_u32_e32 v2, v3, v2
	s_delay_alu instid0(VALU_DEP_1) | instskip(NEXT) | instid1(VALU_DEP_1)
	v_cvt_f32_i32_e32 v2, v2
	v_cvt_f16_f32_e32 v2, v2
	s_wait_kmcnt 0x0
	s_mul_i32 s3, s18, s0
	v_mad_u32 v3, s0, s12, v5
	s_ashr_i32 s10, s3, 31
	s_wait_loadcnt 0x1
	v_mul_f16_e32 v2, v12, v2
	s_lshr_b32 s0, s10, 27
	s_mov_b32 s10, 0
	s_add_co_i32 s3, s3, s0
	global_store_b16 v[0:1], v2, off
	s_ashr_i32 s0, s3, 5
	s_mov_b32 s3, 0
	s_wait_xcnt 0x0
	v_add_nc_u32_e32 v2, s0, v10
	global_load_u16 v12, v3, s[6:7] scale_offset
	s_wait_loadcnt 0x1
	global_load_b32 v13, v2, s[8:9] scale_offset
	s_wait_xcnt 0x1
	v_ashrrev_i32_e32 v3, 31, v2
	s_wait_xcnt 0x0
	s_delay_alu instid0(VALU_DEP_1)
	v_lshl_add_u64 v[2:3], v[2:3], 2, s[8:9]
	v_cmpx_lt_i32_e32 20, v7
	s_xor_b32 s11, exec_lo, s11
	s_cbranch_execnz .LBB6_384
; %bb.100:
	s_and_not1_saveexec_b32 s11, s11
	s_cbranch_execnz .LBB6_387
.LBB6_101:
	s_or_b32 exec_lo, exec_lo, s11
	s_and_saveexec_b32 s0, s10
	s_delay_alu instid0(SALU_CYCLE_1)
	s_xor_b32 s0, exec_lo, s0
	s_cbranch_execnz .LBB6_388
.LBB6_102:
	s_or_b32 exec_lo, exec_lo, s0
	s_and_saveexec_b32 s0, s3
	s_cbranch_execz .LBB6_104
.LBB6_103:
	global_load_b32 v2, v[2:3], off offset:4
	s_wait_loadcnt 0x0
	v_alignbit_b32 v2, v2, v13, 30
	s_delay_alu instid0(VALU_DEP_1)
	v_and_b32_e32 v14, 7, v2
.LBB6_104:
	s_or_b32 exec_lo, exec_lo, s0
	s_load_b32 s0, s[4:5], 0x48
	v_bfe_u32 v2, v11, 19, 3
	s_delay_alu instid0(VALU_DEP_2) | instskip(SKIP_2) | instid1(VALU_DEP_2)
	v_sub_nc_u32_e32 v3, s1, v14
	v_lshl_add_u64 v[0:1], s[12:13], 1, v[0:1]
	s_mov_b32 s11, exec_lo
                                        ; implicit-def: $vgpr14
	v_add_nc_u32_e32 v2, v3, v2
	s_delay_alu instid0(VALU_DEP_1) | instskip(NEXT) | instid1(VALU_DEP_1)
	v_cvt_f32_i32_e32 v2, v2
	v_cvt_f16_f32_e32 v2, v2
	s_wait_kmcnt 0x0
	s_mul_i32 s3, s18, s0
	v_mad_u32 v3, s0, s12, v5
	s_ashr_i32 s10, s3, 31
	s_wait_loadcnt 0x1
	v_mul_f16_e32 v2, v12, v2
	s_lshr_b32 s0, s10, 27
	s_mov_b32 s10, 0
	s_add_co_i32 s3, s3, s0
	global_store_b16 v[0:1], v2, off
	s_ashr_i32 s0, s3, 5
	s_mov_b32 s3, 0
	s_wait_xcnt 0x0
	v_add_nc_u32_e32 v2, s0, v10
	global_load_u16 v12, v3, s[6:7] scale_offset
	s_wait_loadcnt 0x1
	global_load_b32 v13, v2, s[8:9] scale_offset
	s_wait_xcnt 0x1
	v_ashrrev_i32_e32 v3, 31, v2
	s_wait_xcnt 0x0
	s_delay_alu instid0(VALU_DEP_1)
	v_lshl_add_u64 v[2:3], v[2:3], 2, s[8:9]
	v_cmpx_lt_i32_e32 20, v7
	s_xor_b32 s11, exec_lo, s11
	s_cbranch_execnz .LBB6_397
; %bb.105:
	s_and_not1_saveexec_b32 s11, s11
	s_cbranch_execnz .LBB6_400
.LBB6_106:
	s_or_b32 exec_lo, exec_lo, s11
	s_and_saveexec_b32 s0, s10
	s_delay_alu instid0(SALU_CYCLE_1)
	s_xor_b32 s0, exec_lo, s0
	s_cbranch_execnz .LBB6_401
.LBB6_107:
	s_or_b32 exec_lo, exec_lo, s0
	s_and_saveexec_b32 s0, s3
	s_cbranch_execz .LBB6_109
.LBB6_108:
	global_load_b32 v2, v[2:3], off offset:4
	s_wait_loadcnt 0x0
	v_alignbit_b32 v2, v2, v13, 30
	s_delay_alu instid0(VALU_DEP_1)
	v_and_b32_e32 v14, 7, v2
.LBB6_109:
	s_or_b32 exec_lo, exec_lo, s0
	s_load_b32 s0, s[4:5], 0x4c
	v_bfe_u32 v2, v11, 22, 3
	s_delay_alu instid0(VALU_DEP_2) | instskip(SKIP_2) | instid1(VALU_DEP_2)
	v_sub_nc_u32_e32 v3, s1, v14
	v_lshl_add_u64 v[0:1], s[12:13], 1, v[0:1]
	s_mov_b32 s11, exec_lo
                                        ; implicit-def: $vgpr14
	v_add_nc_u32_e32 v2, v3, v2
	s_delay_alu instid0(VALU_DEP_1) | instskip(NEXT) | instid1(VALU_DEP_1)
	v_cvt_f32_i32_e32 v2, v2
	v_cvt_f16_f32_e32 v2, v2
	s_wait_kmcnt 0x0
	s_mul_i32 s3, s18, s0
	v_mad_u32 v3, s0, s12, v5
	s_ashr_i32 s10, s3, 31
	s_wait_loadcnt 0x1
	v_mul_f16_e32 v2, v12, v2
	s_lshr_b32 s0, s10, 27
	s_mov_b32 s10, 0
	s_add_co_i32 s3, s3, s0
	global_store_b16 v[0:1], v2, off
	s_ashr_i32 s0, s3, 5
	s_mov_b32 s3, 0
	s_wait_xcnt 0x0
	v_add_nc_u32_e32 v2, s0, v10
	global_load_u16 v12, v3, s[6:7] scale_offset
	s_wait_loadcnt 0x1
	global_load_b32 v13, v2, s[8:9] scale_offset
	s_wait_xcnt 0x1
	v_ashrrev_i32_e32 v3, 31, v2
	s_wait_xcnt 0x0
	s_delay_alu instid0(VALU_DEP_1)
	v_lshl_add_u64 v[2:3], v[2:3], 2, s[8:9]
	v_cmpx_lt_i32_e32 20, v7
	s_xor_b32 s11, exec_lo, s11
	s_cbranch_execnz .LBB6_410
; %bb.110:
	s_and_not1_saveexec_b32 s11, s11
	s_cbranch_execnz .LBB6_413
.LBB6_111:
	s_or_b32 exec_lo, exec_lo, s11
	s_and_saveexec_b32 s0, s10
	s_delay_alu instid0(SALU_CYCLE_1)
	s_xor_b32 s0, exec_lo, s0
	s_cbranch_execnz .LBB6_414
.LBB6_112:
	s_or_b32 exec_lo, exec_lo, s0
	s_and_saveexec_b32 s0, s3
	s_cbranch_execz .LBB6_114
.LBB6_113:
	global_load_b32 v2, v[2:3], off offset:4
	s_wait_loadcnt 0x0
	v_alignbit_b32 v2, v2, v13, 30
	s_delay_alu instid0(VALU_DEP_1)
	v_and_b32_e32 v14, 7, v2
.LBB6_114:
	s_or_b32 exec_lo, exec_lo, s0
	s_load_b32 s0, s[4:5], 0x50
	v_bfe_u32 v2, v11, 25, 3
	s_delay_alu instid0(VALU_DEP_2) | instskip(SKIP_2) | instid1(VALU_DEP_2)
	v_sub_nc_u32_e32 v3, s1, v14
	v_lshl_add_u64 v[0:1], s[12:13], 1, v[0:1]
	s_mov_b32 s11, exec_lo
                                        ; implicit-def: $vgpr14
	v_add_nc_u32_e32 v2, v3, v2
	s_delay_alu instid0(VALU_DEP_1) | instskip(NEXT) | instid1(VALU_DEP_1)
	v_cvt_f32_i32_e32 v2, v2
	v_cvt_f16_f32_e32 v2, v2
	s_wait_kmcnt 0x0
	s_mul_i32 s3, s18, s0
	v_mad_u32 v3, s0, s12, v5
	s_ashr_i32 s10, s3, 31
	s_wait_loadcnt 0x1
	v_mul_f16_e32 v2, v12, v2
	s_lshr_b32 s0, s10, 27
	s_mov_b32 s10, 0
	s_add_co_i32 s3, s3, s0
	global_store_b16 v[0:1], v2, off
	s_ashr_i32 s0, s3, 5
	s_mov_b32 s3, 0
	s_wait_xcnt 0x0
	v_add_nc_u32_e32 v2, s0, v10
	global_load_u16 v12, v3, s[6:7] scale_offset
	s_wait_loadcnt 0x1
	global_load_b32 v13, v2, s[8:9] scale_offset
	s_wait_xcnt 0x1
	v_ashrrev_i32_e32 v3, 31, v2
	s_wait_xcnt 0x0
	s_delay_alu instid0(VALU_DEP_1)
	v_lshl_add_u64 v[2:3], v[2:3], 2, s[8:9]
	v_cmpx_lt_i32_e32 20, v7
	s_xor_b32 s11, exec_lo, s11
	s_cbranch_execnz .LBB6_423
; %bb.115:
	s_and_not1_saveexec_b32 s11, s11
	s_cbranch_execnz .LBB6_426
.LBB6_116:
	s_or_b32 exec_lo, exec_lo, s11
	s_and_saveexec_b32 s0, s10
	s_delay_alu instid0(SALU_CYCLE_1)
	s_xor_b32 s0, exec_lo, s0
	s_cbranch_execnz .LBB6_427
.LBB6_117:
	s_or_b32 exec_lo, exec_lo, s0
	s_and_saveexec_b32 s0, s3
	s_cbranch_execz .LBB6_119
.LBB6_118:
	global_load_b32 v2, v[2:3], off offset:4
	s_wait_loadcnt 0x0
	v_alignbit_b32 v2, v2, v13, 30
	s_delay_alu instid0(VALU_DEP_1)
	v_and_b32_e32 v14, 7, v2
.LBB6_119:
	s_or_b32 exec_lo, exec_lo, s0
	v_bfe_u32 v2, v11, 28, 3
	s_delay_alu instid0(VALU_DEP_2) | instskip(SKIP_2) | instid1(VALU_DEP_2)
	v_sub_nc_u32_e32 v3, s1, v14
	v_lshl_add_u64 v[0:1], s[12:13], 1, v[0:1]
	s_mov_b32 s11, exec_lo
                                        ; implicit-def: $vgpr14
	v_add_nc_u32_e32 v2, v3, v2
	s_delay_alu instid0(VALU_DEP_1) | instskip(NEXT) | instid1(VALU_DEP_1)
	v_cvt_f32_i32_e32 v2, v2
	v_cvt_f16_f32_e32 v2, v2
	s_wait_loadcnt 0x1
	s_delay_alu instid0(VALU_DEP_1)
	v_mul_f16_e32 v2, v12, v2
	global_store_b16 v[0:1], v2, off
	s_load_b32 s0, s[4:5], 0x54
	s_wait_kmcnt 0x0
	s_mul_i32 s3, s18, s0
	v_mad_u32 v3, s0, s12, v5
	s_ashr_i32 s10, s3, 31
	s_delay_alu instid0(SALU_CYCLE_1) | instskip(SKIP_2) | instid1(SALU_CYCLE_1)
	s_lshr_b32 s0, s10, 27
	s_mov_b32 s10, 0
	s_add_co_i32 s3, s3, s0
	s_ashr_i32 s0, s3, 5
	s_mov_b32 s3, 0
	v_add_nc_u32_e32 v2, s0, v10
	global_load_u16 v12, v3, s[6:7] scale_offset
	s_wait_loadcnt 0x1
	global_load_b32 v13, v2, s[8:9] scale_offset
	s_wait_xcnt 0x1
	v_ashrrev_i32_e32 v3, 31, v2
	s_wait_xcnt 0x0
	s_delay_alu instid0(VALU_DEP_1)
	v_lshl_add_u64 v[2:3], v[2:3], 2, s[8:9]
	v_cmpx_lt_i32_e32 20, v7
	s_xor_b32 s11, exec_lo, s11
	s_cbranch_execnz .LBB6_436
; %bb.120:
	s_and_not1_saveexec_b32 s11, s11
	s_cbranch_execnz .LBB6_439
.LBB6_121:
	s_or_b32 exec_lo, exec_lo, s11
	s_and_saveexec_b32 s0, s10
	s_delay_alu instid0(SALU_CYCLE_1)
	s_xor_b32 s0, exec_lo, s0
	s_cbranch_execnz .LBB6_440
.LBB6_122:
	s_or_b32 exec_lo, exec_lo, s0
	s_and_saveexec_b32 s0, s3
	s_cbranch_execz .LBB6_124
.LBB6_123:
	global_load_b32 v2, v[2:3], off offset:4
	s_wait_loadcnt 0x0
	v_alignbit_b32 v2, v2, v13, 30
	s_delay_alu instid0(VALU_DEP_1)
	v_and_b32_e32 v14, 7, v2
.LBB6_124:
	s_or_b32 exec_lo, exec_lo, s0
	v_alignbit_b32 v2, v4, v11, 31
	s_delay_alu instid0(VALU_DEP_2) | instskip(SKIP_2) | instid1(VALU_DEP_3)
	v_sub_nc_u32_e32 v3, s1, v14
	v_lshl_add_u64 v[0:1], s[12:13], 1, v[0:1]
	s_mov_b32 s11, exec_lo
                                        ; implicit-def: $vgpr13
	v_and_b32_e32 v2, 7, v2
	s_delay_alu instid0(VALU_DEP_1) | instskip(NEXT) | instid1(VALU_DEP_1)
	v_add_nc_u32_e32 v2, v3, v2
	v_cvt_f32_i32_e32 v2, v2
	s_delay_alu instid0(VALU_DEP_1) | instskip(SKIP_1) | instid1(VALU_DEP_1)
	v_cvt_f16_f32_e32 v2, v2
	s_wait_loadcnt 0x1
	v_mul_f16_e32 v2, v12, v2
	global_store_b16 v[0:1], v2, off
	s_load_b32 s0, s[4:5], 0x58
	s_wait_kmcnt 0x0
	s_mul_i32 s3, s18, s0
	v_mad_u32 v3, s0, s12, v5
	s_ashr_i32 s10, s3, 31
	s_delay_alu instid0(SALU_CYCLE_1) | instskip(SKIP_2) | instid1(SALU_CYCLE_1)
	s_lshr_b32 s0, s10, 27
	s_mov_b32 s10, 0
	s_add_co_i32 s3, s3, s0
	s_ashr_i32 s0, s3, 5
	s_mov_b32 s3, 0
	v_add_nc_u32_e32 v2, s0, v10
	global_load_u16 v11, v3, s[6:7] scale_offset
	global_load_b32 v12, v2, s[8:9] scale_offset
	s_wait_xcnt 0x1
	v_ashrrev_i32_e32 v3, 31, v2
	s_wait_xcnt 0x0
	s_delay_alu instid0(VALU_DEP_1)
	v_lshl_add_u64 v[2:3], v[2:3], 2, s[8:9]
	v_cmpx_lt_i32_e32 20, v7
	s_xor_b32 s11, exec_lo, s11
	s_cbranch_execnz .LBB6_449
; %bb.125:
	s_and_not1_saveexec_b32 s11, s11
	s_cbranch_execnz .LBB6_452
.LBB6_126:
	s_or_b32 exec_lo, exec_lo, s11
	s_and_saveexec_b32 s0, s10
	s_delay_alu instid0(SALU_CYCLE_1)
	s_xor_b32 s0, exec_lo, s0
	s_cbranch_execnz .LBB6_453
.LBB6_127:
	s_or_b32 exec_lo, exec_lo, s0
	s_and_saveexec_b32 s0, s3
	s_cbranch_execz .LBB6_129
.LBB6_128:
	global_load_b32 v2, v[2:3], off offset:4
	s_wait_loadcnt 0x0
	v_alignbit_b32 v2, v2, v12, 30
	s_delay_alu instid0(VALU_DEP_1)
	v_and_b32_e32 v13, 7, v2
.LBB6_129:
	s_or_b32 exec_lo, exec_lo, s0
	v_bfe_u32 v2, v4, 2, 3
	s_wait_loadcnt 0x2
	s_delay_alu instid0(VALU_DEP_2) | instskip(SKIP_2) | instid1(VALU_DEP_2)
	v_sub_nc_u32_e32 v3, s1, v13
	v_lshl_add_u64 v[0:1], s[12:13], 1, v[0:1]
	s_mov_b32 s11, exec_lo
                                        ; implicit-def: $vgpr13
	v_add_nc_u32_e32 v2, v3, v2
	s_delay_alu instid0(VALU_DEP_1) | instskip(NEXT) | instid1(VALU_DEP_1)
	v_cvt_f32_i32_e32 v2, v2
	v_cvt_f16_f32_e32 v2, v2
	s_wait_loadcnt 0x1
	s_delay_alu instid0(VALU_DEP_1)
	v_mul_f16_e32 v2, v11, v2
	global_store_b16 v[0:1], v2, off
	s_load_b32 s0, s[4:5], 0x5c
	s_wait_kmcnt 0x0
	s_mul_i32 s3, s18, s0
	v_mad_u32 v3, s0, s12, v5
	s_ashr_i32 s10, s3, 31
	s_delay_alu instid0(SALU_CYCLE_1) | instskip(SKIP_2) | instid1(SALU_CYCLE_1)
	s_lshr_b32 s0, s10, 27
	s_mov_b32 s10, 0
	s_add_co_i32 s3, s3, s0
	s_ashr_i32 s0, s3, 5
	s_mov_b32 s3, 0
	v_add_nc_u32_e32 v2, s0, v10
	global_load_u16 v11, v3, s[6:7] scale_offset
	s_wait_loadcnt 0x1
	global_load_b32 v12, v2, s[8:9] scale_offset
	s_wait_xcnt 0x1
	v_ashrrev_i32_e32 v3, 31, v2
	s_wait_xcnt 0x0
	s_delay_alu instid0(VALU_DEP_1)
	v_lshl_add_u64 v[2:3], v[2:3], 2, s[8:9]
	v_cmpx_lt_i32_e32 20, v7
	s_xor_b32 s11, exec_lo, s11
	s_cbranch_execnz .LBB6_462
; %bb.130:
	s_and_not1_saveexec_b32 s11, s11
	s_cbranch_execnz .LBB6_465
.LBB6_131:
	s_or_b32 exec_lo, exec_lo, s11
	s_and_saveexec_b32 s0, s10
	s_delay_alu instid0(SALU_CYCLE_1)
	s_xor_b32 s0, exec_lo, s0
	s_cbranch_execnz .LBB6_466
.LBB6_132:
	s_or_b32 exec_lo, exec_lo, s0
	s_and_saveexec_b32 s0, s3
	s_cbranch_execz .LBB6_134
.LBB6_133:
	global_load_b32 v2, v[2:3], off offset:4
	s_wait_loadcnt 0x0
	v_alignbit_b32 v2, v2, v12, 30
	s_delay_alu instid0(VALU_DEP_1)
	v_and_b32_e32 v13, 7, v2
.LBB6_134:
	s_or_b32 exec_lo, exec_lo, s0
	v_bfe_u32 v2, v4, 5, 3
	s_delay_alu instid0(VALU_DEP_2) | instskip(SKIP_2) | instid1(VALU_DEP_2)
	v_sub_nc_u32_e32 v3, s1, v13
	v_lshl_add_u64 v[0:1], s[12:13], 1, v[0:1]
	s_mov_b32 s11, exec_lo
                                        ; implicit-def: $vgpr13
	v_add_nc_u32_e32 v2, v3, v2
	s_delay_alu instid0(VALU_DEP_1) | instskip(NEXT) | instid1(VALU_DEP_1)
	v_cvt_f32_i32_e32 v2, v2
	v_cvt_f16_f32_e32 v2, v2
	s_wait_loadcnt 0x1
	s_delay_alu instid0(VALU_DEP_1)
	v_mul_f16_e32 v2, v11, v2
	global_store_b16 v[0:1], v2, off
	s_load_b32 s0, s[4:5], 0x60
	s_wait_kmcnt 0x0
	s_mul_i32 s3, s18, s0
	v_mad_u32 v3, s0, s12, v5
	s_ashr_i32 s10, s3, 31
	s_delay_alu instid0(SALU_CYCLE_1) | instskip(SKIP_2) | instid1(SALU_CYCLE_1)
	s_lshr_b32 s0, s10, 27
	s_mov_b32 s10, 0
	s_add_co_i32 s3, s3, s0
	s_ashr_i32 s0, s3, 5
	s_mov_b32 s3, 0
	v_add_nc_u32_e32 v2, s0, v10
	global_load_u16 v11, v3, s[6:7] scale_offset
	s_wait_loadcnt 0x1
	global_load_b32 v12, v2, s[8:9] scale_offset
	s_wait_xcnt 0x1
	v_ashrrev_i32_e32 v3, 31, v2
	s_wait_xcnt 0x0
	s_delay_alu instid0(VALU_DEP_1)
	v_lshl_add_u64 v[2:3], v[2:3], 2, s[8:9]
	v_cmpx_lt_i32_e32 20, v7
	s_xor_b32 s11, exec_lo, s11
	s_cbranch_execnz .LBB6_475
; %bb.135:
	s_and_not1_saveexec_b32 s11, s11
	s_cbranch_execnz .LBB6_478
.LBB6_136:
	s_or_b32 exec_lo, exec_lo, s11
	s_and_saveexec_b32 s0, s10
	s_delay_alu instid0(SALU_CYCLE_1)
	s_xor_b32 s0, exec_lo, s0
	s_cbranch_execnz .LBB6_479
.LBB6_137:
	s_or_b32 exec_lo, exec_lo, s0
	s_and_saveexec_b32 s0, s3
	s_cbranch_execz .LBB6_139
.LBB6_138:
	global_load_b32 v2, v[2:3], off offset:4
	s_wait_loadcnt 0x0
	v_alignbit_b32 v2, v2, v12, 30
	s_delay_alu instid0(VALU_DEP_1)
	v_and_b32_e32 v13, 7, v2
.LBB6_139:
	s_or_b32 exec_lo, exec_lo, s0
	v_bfe_u32 v2, v4, 8, 3
	s_delay_alu instid0(VALU_DEP_2) | instskip(SKIP_2) | instid1(VALU_DEP_2)
	v_sub_nc_u32_e32 v3, s1, v13
	v_lshl_add_u64 v[0:1], s[12:13], 1, v[0:1]
	s_mov_b32 s11, exec_lo
                                        ; implicit-def: $vgpr13
	v_add_nc_u32_e32 v2, v3, v2
	s_delay_alu instid0(VALU_DEP_1) | instskip(NEXT) | instid1(VALU_DEP_1)
	v_cvt_f32_i32_e32 v2, v2
	v_cvt_f16_f32_e32 v2, v2
	s_wait_loadcnt 0x1
	s_delay_alu instid0(VALU_DEP_1)
	v_mul_f16_e32 v2, v11, v2
	global_store_b16 v[0:1], v2, off
	s_load_b32 s0, s[4:5], 0x64
	s_wait_kmcnt 0x0
	s_mul_i32 s3, s18, s0
	v_mad_u32 v3, s0, s12, v5
	s_ashr_i32 s10, s3, 31
	s_delay_alu instid0(SALU_CYCLE_1) | instskip(SKIP_2) | instid1(SALU_CYCLE_1)
	s_lshr_b32 s0, s10, 27
	s_mov_b32 s10, 0
	s_add_co_i32 s3, s3, s0
	s_ashr_i32 s0, s3, 5
	s_mov_b32 s3, 0
	v_add_nc_u32_e32 v2, s0, v10
	global_load_u16 v11, v3, s[6:7] scale_offset
	s_wait_loadcnt 0x1
	global_load_b32 v12, v2, s[8:9] scale_offset
	s_wait_xcnt 0x1
	v_ashrrev_i32_e32 v3, 31, v2
	s_wait_xcnt 0x0
	s_delay_alu instid0(VALU_DEP_1)
	v_lshl_add_u64 v[2:3], v[2:3], 2, s[8:9]
	v_cmpx_lt_i32_e32 20, v7
	s_xor_b32 s11, exec_lo, s11
	s_cbranch_execnz .LBB6_488
; %bb.140:
	s_and_not1_saveexec_b32 s11, s11
	s_cbranch_execnz .LBB6_491
.LBB6_141:
	s_or_b32 exec_lo, exec_lo, s11
	s_and_saveexec_b32 s0, s10
	s_delay_alu instid0(SALU_CYCLE_1)
	s_xor_b32 s0, exec_lo, s0
	s_cbranch_execnz .LBB6_492
.LBB6_142:
	s_or_b32 exec_lo, exec_lo, s0
	s_and_saveexec_b32 s0, s3
	s_cbranch_execz .LBB6_144
.LBB6_143:
	global_load_b32 v2, v[2:3], off offset:4
	s_wait_loadcnt 0x0
	v_alignbit_b32 v2, v2, v12, 30
	s_delay_alu instid0(VALU_DEP_1)
	v_and_b32_e32 v13, 7, v2
.LBB6_144:
	s_or_b32 exec_lo, exec_lo, s0
	v_bfe_u32 v2, v4, 11, 3
	s_delay_alu instid0(VALU_DEP_2) | instskip(SKIP_2) | instid1(VALU_DEP_2)
	v_sub_nc_u32_e32 v3, s1, v13
	v_lshl_add_u64 v[0:1], s[12:13], 1, v[0:1]
	s_mov_b32 s11, exec_lo
                                        ; implicit-def: $vgpr13
	v_add_nc_u32_e32 v2, v3, v2
	s_delay_alu instid0(VALU_DEP_1) | instskip(NEXT) | instid1(VALU_DEP_1)
	v_cvt_f32_i32_e32 v2, v2
	v_cvt_f16_f32_e32 v2, v2
	s_wait_loadcnt 0x1
	s_delay_alu instid0(VALU_DEP_1)
	v_mul_f16_e32 v2, v11, v2
	global_store_b16 v[0:1], v2, off
	s_load_b32 s0, s[4:5], 0x68
	s_wait_kmcnt 0x0
	s_mul_i32 s3, s18, s0
	v_mad_u32 v3, s0, s12, v5
	s_ashr_i32 s10, s3, 31
	s_delay_alu instid0(SALU_CYCLE_1) | instskip(SKIP_2) | instid1(SALU_CYCLE_1)
	s_lshr_b32 s0, s10, 27
	s_mov_b32 s10, 0
	s_add_co_i32 s3, s3, s0
	s_ashr_i32 s0, s3, 5
	s_mov_b32 s3, 0
	v_add_nc_u32_e32 v2, s0, v10
	global_load_u16 v11, v3, s[6:7] scale_offset
	s_wait_loadcnt 0x1
	global_load_b32 v12, v2, s[8:9] scale_offset
	s_wait_xcnt 0x1
	v_ashrrev_i32_e32 v3, 31, v2
	s_wait_xcnt 0x0
	s_delay_alu instid0(VALU_DEP_1)
	v_lshl_add_u64 v[2:3], v[2:3], 2, s[8:9]
	v_cmpx_lt_i32_e32 20, v7
	s_xor_b32 s11, exec_lo, s11
	s_cbranch_execnz .LBB6_501
; %bb.145:
	s_and_not1_saveexec_b32 s11, s11
	s_cbranch_execnz .LBB6_504
.LBB6_146:
	s_or_b32 exec_lo, exec_lo, s11
	s_and_saveexec_b32 s0, s10
	s_delay_alu instid0(SALU_CYCLE_1)
	s_xor_b32 s0, exec_lo, s0
	s_cbranch_execnz .LBB6_505
.LBB6_147:
	s_or_b32 exec_lo, exec_lo, s0
	s_and_saveexec_b32 s0, s3
	s_cbranch_execz .LBB6_149
.LBB6_148:
	global_load_b32 v2, v[2:3], off offset:4
	s_wait_loadcnt 0x0
	v_alignbit_b32 v2, v2, v12, 30
	s_delay_alu instid0(VALU_DEP_1)
	v_and_b32_e32 v13, 7, v2
.LBB6_149:
	s_or_b32 exec_lo, exec_lo, s0
	v_bfe_u32 v2, v4, 14, 3
	s_delay_alu instid0(VALU_DEP_2) | instskip(SKIP_2) | instid1(VALU_DEP_2)
	v_sub_nc_u32_e32 v3, s1, v13
	v_lshl_add_u64 v[0:1], s[12:13], 1, v[0:1]
	s_mov_b32 s11, exec_lo
                                        ; implicit-def: $vgpr13
	v_add_nc_u32_e32 v2, v3, v2
	s_delay_alu instid0(VALU_DEP_1) | instskip(NEXT) | instid1(VALU_DEP_1)
	v_cvt_f32_i32_e32 v2, v2
	v_cvt_f16_f32_e32 v2, v2
	s_wait_loadcnt 0x1
	s_delay_alu instid0(VALU_DEP_1)
	v_mul_f16_e32 v2, v11, v2
	global_store_b16 v[0:1], v2, off
	s_load_b32 s0, s[4:5], 0x6c
	s_wait_kmcnt 0x0
	s_mul_i32 s3, s18, s0
	v_mad_u32 v3, s0, s12, v5
	s_ashr_i32 s10, s3, 31
	s_delay_alu instid0(SALU_CYCLE_1) | instskip(SKIP_2) | instid1(SALU_CYCLE_1)
	s_lshr_b32 s0, s10, 27
	s_mov_b32 s10, 0
	s_add_co_i32 s3, s3, s0
	s_ashr_i32 s0, s3, 5
	s_mov_b32 s3, 0
	v_add_nc_u32_e32 v2, s0, v10
	global_load_u16 v11, v3, s[6:7] scale_offset
	s_wait_loadcnt 0x1
	global_load_b32 v12, v2, s[8:9] scale_offset
	s_wait_xcnt 0x1
	v_ashrrev_i32_e32 v3, 31, v2
	s_wait_xcnt 0x0
	s_delay_alu instid0(VALU_DEP_1)
	v_lshl_add_u64 v[2:3], v[2:3], 2, s[8:9]
	v_cmpx_lt_i32_e32 20, v7
	s_xor_b32 s11, exec_lo, s11
	s_cbranch_execnz .LBB6_514
; %bb.150:
	s_and_not1_saveexec_b32 s11, s11
	s_cbranch_execnz .LBB6_517
.LBB6_151:
	s_or_b32 exec_lo, exec_lo, s11
	s_and_saveexec_b32 s0, s10
	s_delay_alu instid0(SALU_CYCLE_1)
	s_xor_b32 s0, exec_lo, s0
	s_cbranch_execnz .LBB6_518
.LBB6_152:
	s_or_b32 exec_lo, exec_lo, s0
	s_and_saveexec_b32 s0, s3
	s_cbranch_execz .LBB6_154
.LBB6_153:
	global_load_b32 v2, v[2:3], off offset:4
	s_wait_loadcnt 0x0
	v_alignbit_b32 v2, v2, v12, 30
	s_delay_alu instid0(VALU_DEP_1)
	v_and_b32_e32 v13, 7, v2
.LBB6_154:
	s_or_b32 exec_lo, exec_lo, s0
	v_bfe_u32 v2, v4, 17, 3
	s_delay_alu instid0(VALU_DEP_2) | instskip(SKIP_2) | instid1(VALU_DEP_2)
	v_sub_nc_u32_e32 v3, s1, v13
	v_lshl_add_u64 v[0:1], s[12:13], 1, v[0:1]
	s_mov_b32 s11, exec_lo
                                        ; implicit-def: $vgpr13
	v_add_nc_u32_e32 v2, v3, v2
	s_delay_alu instid0(VALU_DEP_1) | instskip(NEXT) | instid1(VALU_DEP_1)
	v_cvt_f32_i32_e32 v2, v2
	v_cvt_f16_f32_e32 v2, v2
	s_wait_loadcnt 0x1
	s_delay_alu instid0(VALU_DEP_1)
	v_mul_f16_e32 v2, v11, v2
	global_store_b16 v[0:1], v2, off
	s_load_b32 s0, s[4:5], 0x70
	s_wait_kmcnt 0x0
	s_mul_i32 s3, s18, s0
	v_mad_u32 v3, s0, s12, v5
	s_ashr_i32 s10, s3, 31
	s_delay_alu instid0(SALU_CYCLE_1) | instskip(SKIP_2) | instid1(SALU_CYCLE_1)
	s_lshr_b32 s0, s10, 27
	s_mov_b32 s10, 0
	s_add_co_i32 s3, s3, s0
	s_ashr_i32 s0, s3, 5
	s_mov_b32 s3, 0
	v_add_nc_u32_e32 v2, s0, v10
	global_load_u16 v11, v3, s[6:7] scale_offset
	s_wait_loadcnt 0x1
	global_load_b32 v12, v2, s[8:9] scale_offset
	s_wait_xcnt 0x1
	v_ashrrev_i32_e32 v3, 31, v2
	s_wait_xcnt 0x0
	s_delay_alu instid0(VALU_DEP_1)
	v_lshl_add_u64 v[2:3], v[2:3], 2, s[8:9]
	v_cmpx_lt_i32_e32 20, v7
	s_xor_b32 s11, exec_lo, s11
	s_cbranch_execnz .LBB6_527
; %bb.155:
	s_and_not1_saveexec_b32 s11, s11
	s_cbranch_execnz .LBB6_530
.LBB6_156:
	s_or_b32 exec_lo, exec_lo, s11
	s_and_saveexec_b32 s0, s10
	s_delay_alu instid0(SALU_CYCLE_1)
	s_xor_b32 s0, exec_lo, s0
	s_cbranch_execnz .LBB6_531
.LBB6_157:
	s_or_b32 exec_lo, exec_lo, s0
	s_and_saveexec_b32 s0, s3
	s_cbranch_execz .LBB6_159
.LBB6_158:
	global_load_b32 v2, v[2:3], off offset:4
	s_wait_loadcnt 0x0
	v_alignbit_b32 v2, v2, v12, 30
	s_delay_alu instid0(VALU_DEP_1)
	v_and_b32_e32 v13, 7, v2
.LBB6_159:
	s_or_b32 exec_lo, exec_lo, s0
	v_bfe_u32 v2, v4, 20, 3
	s_delay_alu instid0(VALU_DEP_2) | instskip(SKIP_2) | instid1(VALU_DEP_2)
	v_sub_nc_u32_e32 v3, s1, v13
	v_lshl_add_u64 v[0:1], s[12:13], 1, v[0:1]
	s_mov_b32 s11, exec_lo
                                        ; implicit-def: $vgpr13
	v_add_nc_u32_e32 v2, v3, v2
	s_delay_alu instid0(VALU_DEP_1) | instskip(NEXT) | instid1(VALU_DEP_1)
	v_cvt_f32_i32_e32 v2, v2
	v_cvt_f16_f32_e32 v2, v2
	s_wait_loadcnt 0x1
	s_delay_alu instid0(VALU_DEP_1)
	v_mul_f16_e32 v2, v11, v2
	global_store_b16 v[0:1], v2, off
	s_load_b32 s0, s[4:5], 0x74
	s_wait_kmcnt 0x0
	s_mul_i32 s3, s18, s0
	v_mad_u32 v3, s0, s12, v5
	s_ashr_i32 s10, s3, 31
	s_delay_alu instid0(SALU_CYCLE_1) | instskip(SKIP_2) | instid1(SALU_CYCLE_1)
	s_lshr_b32 s0, s10, 27
	s_mov_b32 s10, 0
	s_add_co_i32 s3, s3, s0
	s_ashr_i32 s0, s3, 5
	s_mov_b32 s3, 0
	v_add_nc_u32_e32 v2, s0, v10
	global_load_u16 v11, v3, s[6:7] scale_offset
	s_wait_loadcnt 0x1
	global_load_b32 v12, v2, s[8:9] scale_offset
	s_wait_xcnt 0x1
	v_ashrrev_i32_e32 v3, 31, v2
	s_wait_xcnt 0x0
	s_delay_alu instid0(VALU_DEP_1)
	v_lshl_add_u64 v[2:3], v[2:3], 2, s[8:9]
	v_cmpx_lt_i32_e32 20, v7
	s_xor_b32 s11, exec_lo, s11
	s_cbranch_execnz .LBB6_540
; %bb.160:
	s_and_not1_saveexec_b32 s11, s11
	s_cbranch_execnz .LBB6_543
.LBB6_161:
	s_or_b32 exec_lo, exec_lo, s11
	s_and_saveexec_b32 s0, s10
	s_delay_alu instid0(SALU_CYCLE_1)
	s_xor_b32 s0, exec_lo, s0
	s_cbranch_execnz .LBB6_544
.LBB6_162:
	s_or_b32 exec_lo, exec_lo, s0
	s_and_saveexec_b32 s0, s3
	s_cbranch_execz .LBB6_164
.LBB6_163:
	global_load_b32 v2, v[2:3], off offset:4
	s_wait_loadcnt 0x0
	v_alignbit_b32 v2, v2, v12, 30
	s_delay_alu instid0(VALU_DEP_1)
	v_and_b32_e32 v13, 7, v2
.LBB6_164:
	s_or_b32 exec_lo, exec_lo, s0
	v_bfe_u32 v2, v4, 23, 3
	s_delay_alu instid0(VALU_DEP_2) | instskip(SKIP_2) | instid1(VALU_DEP_2)
	v_sub_nc_u32_e32 v3, s1, v13
	v_lshl_add_u64 v[0:1], s[12:13], 1, v[0:1]
	s_mov_b32 s11, exec_lo
                                        ; implicit-def: $vgpr13
	v_add_nc_u32_e32 v2, v3, v2
	s_delay_alu instid0(VALU_DEP_1) | instskip(NEXT) | instid1(VALU_DEP_1)
	v_cvt_f32_i32_e32 v2, v2
	v_cvt_f16_f32_e32 v2, v2
	s_wait_loadcnt 0x1
	s_delay_alu instid0(VALU_DEP_1)
	v_mul_f16_e32 v2, v11, v2
	global_store_b16 v[0:1], v2, off
	s_load_b32 s0, s[4:5], 0x78
	s_wait_kmcnt 0x0
	s_mul_i32 s3, s18, s0
	v_mad_u32 v3, s0, s12, v5
	s_ashr_i32 s10, s3, 31
	s_delay_alu instid0(SALU_CYCLE_1) | instskip(SKIP_2) | instid1(SALU_CYCLE_1)
	s_lshr_b32 s0, s10, 27
	s_mov_b32 s10, 0
	s_add_co_i32 s3, s3, s0
	s_ashr_i32 s0, s3, 5
	s_mov_b32 s3, 0
	v_add_nc_u32_e32 v2, s0, v10
	global_load_u16 v11, v3, s[6:7] scale_offset
	s_wait_loadcnt 0x1
	global_load_b32 v12, v2, s[8:9] scale_offset
	s_wait_xcnt 0x1
	v_ashrrev_i32_e32 v3, 31, v2
	s_wait_xcnt 0x0
	s_delay_alu instid0(VALU_DEP_1)
	v_lshl_add_u64 v[2:3], v[2:3], 2, s[8:9]
	v_cmpx_lt_i32_e32 20, v7
	s_xor_b32 s11, exec_lo, s11
	s_cbranch_execnz .LBB6_553
; %bb.165:
	s_and_not1_saveexec_b32 s11, s11
	s_cbranch_execnz .LBB6_556
.LBB6_166:
	s_or_b32 exec_lo, exec_lo, s11
	s_and_saveexec_b32 s0, s10
	s_delay_alu instid0(SALU_CYCLE_1)
	s_xor_b32 s0, exec_lo, s0
	s_cbranch_execnz .LBB6_557
.LBB6_167:
	s_or_b32 exec_lo, exec_lo, s0
	s_and_saveexec_b32 s0, s3
	s_cbranch_execz .LBB6_169
.LBB6_168:
	global_load_b32 v2, v[2:3], off offset:4
	s_wait_loadcnt 0x0
	v_alignbit_b32 v2, v2, v12, 30
	s_delay_alu instid0(VALU_DEP_1)
	v_and_b32_e32 v13, 7, v2
.LBB6_169:
	s_or_b32 exec_lo, exec_lo, s0
	v_bfe_u32 v2, v4, 26, 3
	s_delay_alu instid0(VALU_DEP_2) | instskip(SKIP_1) | instid1(VALU_DEP_2)
	v_sub_nc_u32_e32 v3, s1, v13
	v_lshl_add_u64 v[0:1], s[12:13], 1, v[0:1]
	v_add_nc_u32_e32 v2, v3, v2
	s_delay_alu instid0(VALU_DEP_1) | instskip(NEXT) | instid1(VALU_DEP_1)
	v_cvt_f32_i32_e32 v2, v2
	v_cvt_f16_f32_e32 v2, v2
	s_wait_loadcnt 0x1
	s_delay_alu instid0(VALU_DEP_1)
	v_mul_f16_e32 v2, v11, v2
                                        ; implicit-def: $vgpr11
	global_store_b16 v[0:1], v2, off
	s_load_b32 s0, s[4:5], 0x7c
	s_wait_xcnt 0x0
	s_mov_b32 s5, exec_lo
	s_wait_kmcnt 0x0
	s_mul_i32 s3, s18, s0
	v_mad_u32 v3, s0, s12, v5
	s_ashr_i32 s4, s3, 31
	s_delay_alu instid0(SALU_CYCLE_1) | instskip(SKIP_2) | instid1(SALU_CYCLE_1)
	s_lshr_b32 s0, s4, 27
	s_mov_b32 s4, 0
	s_add_co_i32 s3, s3, s0
	s_ashr_i32 s0, s3, 5
	s_mov_b32 s3, 0
	v_add_nc_u32_e32 v2, s0, v10
	global_load_u16 v5, v3, s[6:7] scale_offset
	global_load_b32 v10, v2, s[8:9] scale_offset
	s_wait_xcnt 0x1
	v_ashrrev_i32_e32 v3, 31, v2
	s_wait_xcnt 0x0
	s_delay_alu instid0(VALU_DEP_1)
	v_lshl_add_u64 v[2:3], v[2:3], 2, s[8:9]
	v_cmpx_lt_i32_e32 20, v7
	s_xor_b32 s5, exec_lo, s5
	s_cbranch_execnz .LBB6_566
; %bb.170:
	s_and_not1_saveexec_b32 s5, s5
	s_cbranch_execnz .LBB6_569
.LBB6_171:
	s_or_b32 exec_lo, exec_lo, s5
	s_and_saveexec_b32 s0, s4
	s_delay_alu instid0(SALU_CYCLE_1)
	s_xor_b32 s0, exec_lo, s0
	s_cbranch_execnz .LBB6_570
.LBB6_172:
	s_or_b32 exec_lo, exec_lo, s0
	s_and_saveexec_b32 s0, s3
	s_cbranch_execz .LBB6_174
.LBB6_173:
	global_load_b32 v2, v[2:3], off offset:4
	s_wait_loadcnt 0x0
	v_alignbit_b32 v2, v2, v10, 30
	s_delay_alu instid0(VALU_DEP_1)
	v_and_b32_e32 v11, 7, v2
.LBB6_174:
	s_or_b32 exec_lo, exec_lo, s0
	s_delay_alu instid0(VALU_DEP_1) | instskip(SKIP_1) | instid1(VALU_DEP_2)
	v_dual_lshrrev_b32 v2, 29, v4 :: v_dual_sub_nc_u32 v3, s1, v11
	v_lshl_add_u64 v[0:1], s[12:13], 1, v[0:1]
	v_add_nc_u32_e32 v2, v3, v2
	s_delay_alu instid0(VALU_DEP_1) | instskip(NEXT) | instid1(VALU_DEP_1)
	v_cvt_f32_i32_e32 v2, v2
	v_cvt_f16_f32_e32 v2, v2
	s_wait_loadcnt 0x1
	s_delay_alu instid0(VALU_DEP_1)
	v_mul_f16_e32 v2, v5, v2
	global_store_b16 v[0:1], v2, off
.LBB6_175:
	s_endpgm
.LBB6_176:
	s_mov_b32 s10, -1
	s_mov_b32 s13, exec_lo
                                        ; implicit-def: $vgpr15
	v_cmpx_eq_u32_e32 21, v7
	s_cbranch_execz .LBB6_178
; %bb.177:
	global_load_b32 v15, v[2:3], off offset:4
	s_xor_b32 s10, exec_lo, -1
	s_wait_loadcnt 0x0
	v_alignbit_b32 v15, v15, v14, 31
	s_delay_alu instid0(VALU_DEP_1)
	v_and_b32_e32 v15, 7, v15
.LBB6_178:
	s_wait_xcnt 0x0
	s_or_b32 exec_lo, exec_lo, s13
	s_delay_alu instid0(SALU_CYCLE_1)
	s_and_b32 s10, s10, exec_lo
	s_and_not1_saveexec_b32 s11, s11
	s_cbranch_execz .LBB6_21
.LBB6_179:
	v_cmp_ne_u32_e64 s0, 10, v7
	s_and_not1_b32 s10, s10, exec_lo
	s_mov_b32 s3, exec_lo
	s_and_b32 s0, s0, exec_lo
	s_delay_alu instid0(SALU_CYCLE_1) | instskip(SKIP_2) | instid1(SALU_CYCLE_1)
	s_or_b32 s10, s10, s0
	s_or_b32 exec_lo, exec_lo, s11
	s_and_saveexec_b32 s0, s10
	s_xor_b32 s0, exec_lo, s0
	s_cbranch_execz .LBB6_22
.LBB6_180:
                                        ; implicit-def: $vgpr15
	s_and_saveexec_b32 s10, s2
	s_delay_alu instid0(SALU_CYCLE_1)
	s_xor_b32 s10, exec_lo, s10
	s_cbranch_execz .LBB6_186
; %bb.181:
                                        ; implicit-def: $vgpr15
	s_and_saveexec_b32 s11, vcc_lo
	s_delay_alu instid0(SALU_CYCLE_1)
	s_xor_b32 s11, exec_lo, s11
	s_cbranch_execz .LBB6_183
; %bb.182:
	s_wait_loadcnt 0x0
	v_bfe_u32 v15, v14, v9, 3
.LBB6_183:
	s_and_not1_saveexec_b32 s11, s11
	s_cbranch_execz .LBB6_185
; %bb.184:
	s_wait_loadcnt 0x0
	v_bfe_u32 v15, v14, v6, 3
.LBB6_185:
	s_or_b32 exec_lo, exec_lo, s11
.LBB6_186:
	s_and_not1_saveexec_b32 s10, s10
	s_cbranch_execz .LBB6_188
; %bb.187:
	s_wait_loadcnt 0x0
	v_bfe_u32 v15, v14, v8, 3
.LBB6_188:
	s_or_b32 exec_lo, exec_lo, s10
	s_delay_alu instid0(SALU_CYCLE_1)
	s_and_not1_b32 s3, s3, exec_lo
	s_or_b32 exec_lo, exec_lo, s0
	s_and_saveexec_b32 s0, s3
	s_cbranch_execnz .LBB6_23
	s_branch .LBB6_24
.LBB6_189:
	s_mov_b32 s10, -1
	s_mov_b32 s14, exec_lo
                                        ; implicit-def: $vgpr15
	v_cmpx_eq_u32_e32 21, v7
	s_cbranch_execz .LBB6_191
; %bb.190:
	global_load_b32 v15, v[2:3], off offset:4
	s_xor_b32 s10, exec_lo, -1
	s_wait_loadcnt 0x0
	v_alignbit_b32 v15, v15, v14, 31
	s_delay_alu instid0(VALU_DEP_1)
	v_and_b32_e32 v15, 7, v15
.LBB6_191:
	s_wait_xcnt 0x0
	s_or_b32 exec_lo, exec_lo, s14
	s_delay_alu instid0(SALU_CYCLE_1)
	s_and_b32 s10, s10, exec_lo
	s_and_not1_saveexec_b32 s11, s11
	s_cbranch_execz .LBB6_26
.LBB6_192:
	v_cmp_ne_u32_e64 s0, 10, v7
	s_and_not1_b32 s10, s10, exec_lo
	s_mov_b32 s3, exec_lo
	s_and_b32 s0, s0, exec_lo
	s_delay_alu instid0(SALU_CYCLE_1) | instskip(SKIP_2) | instid1(SALU_CYCLE_1)
	s_or_b32 s10, s10, s0
	s_or_b32 exec_lo, exec_lo, s11
	s_and_saveexec_b32 s0, s10
	s_xor_b32 s0, exec_lo, s0
	s_cbranch_execz .LBB6_27
.LBB6_193:
                                        ; implicit-def: $vgpr15
	s_and_saveexec_b32 s10, s2
	s_delay_alu instid0(SALU_CYCLE_1)
	s_xor_b32 s10, exec_lo, s10
	s_cbranch_execz .LBB6_199
; %bb.194:
                                        ; implicit-def: $vgpr15
	s_and_saveexec_b32 s11, vcc_lo
	s_delay_alu instid0(SALU_CYCLE_1)
	s_xor_b32 s11, exec_lo, s11
	s_cbranch_execz .LBB6_196
; %bb.195:
	s_wait_loadcnt 0x0
	v_bfe_u32 v15, v14, v9, 3
.LBB6_196:
	s_and_not1_saveexec_b32 s11, s11
	s_cbranch_execz .LBB6_198
; %bb.197:
	s_wait_loadcnt 0x0
	v_bfe_u32 v15, v14, v6, 3
.LBB6_198:
	s_or_b32 exec_lo, exec_lo, s11
.LBB6_199:
	s_and_not1_saveexec_b32 s10, s10
	s_cbranch_execz .LBB6_201
; %bb.200:
	s_wait_loadcnt 0x0
	v_bfe_u32 v15, v14, v8, 3
.LBB6_201:
	s_or_b32 exec_lo, exec_lo, s10
	s_delay_alu instid0(SALU_CYCLE_1)
	s_and_not1_b32 s3, s3, exec_lo
	s_or_b32 exec_lo, exec_lo, s0
	s_and_saveexec_b32 s0, s3
	s_cbranch_execnz .LBB6_28
	s_branch .LBB6_29
.LBB6_202:
	s_mov_b32 s10, -1
	s_mov_b32 s14, exec_lo
                                        ; implicit-def: $vgpr15
	v_cmpx_eq_u32_e32 21, v7
	s_cbranch_execz .LBB6_204
; %bb.203:
	global_load_b32 v15, v[2:3], off offset:4
	s_xor_b32 s10, exec_lo, -1
	s_wait_loadcnt 0x0
	v_alignbit_b32 v15, v15, v14, 31
	s_delay_alu instid0(VALU_DEP_1)
	v_and_b32_e32 v15, 7, v15
.LBB6_204:
	s_wait_xcnt 0x0
	s_or_b32 exec_lo, exec_lo, s14
	s_delay_alu instid0(SALU_CYCLE_1)
	s_and_b32 s10, s10, exec_lo
	s_and_not1_saveexec_b32 s11, s11
	s_cbranch_execz .LBB6_31
.LBB6_205:
	v_cmp_ne_u32_e64 s0, 10, v7
	s_and_not1_b32 s10, s10, exec_lo
	s_mov_b32 s3, exec_lo
	s_and_b32 s0, s0, exec_lo
	s_delay_alu instid0(SALU_CYCLE_1) | instskip(SKIP_2) | instid1(SALU_CYCLE_1)
	s_or_b32 s10, s10, s0
	s_or_b32 exec_lo, exec_lo, s11
	s_and_saveexec_b32 s0, s10
	s_xor_b32 s0, exec_lo, s0
	s_cbranch_execz .LBB6_32
.LBB6_206:
                                        ; implicit-def: $vgpr15
	s_and_saveexec_b32 s10, s2
	s_delay_alu instid0(SALU_CYCLE_1)
	s_xor_b32 s10, exec_lo, s10
	s_cbranch_execz .LBB6_212
; %bb.207:
                                        ; implicit-def: $vgpr15
	s_and_saveexec_b32 s11, vcc_lo
	s_delay_alu instid0(SALU_CYCLE_1)
	s_xor_b32 s11, exec_lo, s11
	s_cbranch_execz .LBB6_209
; %bb.208:
	s_wait_loadcnt 0x0
	v_bfe_u32 v15, v14, v9, 3
.LBB6_209:
	s_and_not1_saveexec_b32 s11, s11
	s_cbranch_execz .LBB6_211
; %bb.210:
	s_wait_loadcnt 0x0
	v_bfe_u32 v15, v14, v6, 3
.LBB6_211:
	s_or_b32 exec_lo, exec_lo, s11
.LBB6_212:
	s_and_not1_saveexec_b32 s10, s10
	s_cbranch_execz .LBB6_214
; %bb.213:
	s_wait_loadcnt 0x0
	v_bfe_u32 v15, v14, v8, 3
.LBB6_214:
	s_or_b32 exec_lo, exec_lo, s10
	s_delay_alu instid0(SALU_CYCLE_1)
	s_and_not1_b32 s3, s3, exec_lo
	s_or_b32 exec_lo, exec_lo, s0
	s_and_saveexec_b32 s0, s3
	s_cbranch_execnz .LBB6_33
	s_branch .LBB6_34
.LBB6_215:
	s_mov_b32 s10, -1
	s_mov_b32 s14, exec_lo
                                        ; implicit-def: $vgpr15
	v_cmpx_eq_u32_e32 21, v7
	s_cbranch_execz .LBB6_217
; %bb.216:
	global_load_b32 v15, v[2:3], off offset:4
	s_xor_b32 s10, exec_lo, -1
	s_wait_loadcnt 0x0
	v_alignbit_b32 v15, v15, v14, 31
	s_delay_alu instid0(VALU_DEP_1)
	v_and_b32_e32 v15, 7, v15
.LBB6_217:
	s_wait_xcnt 0x0
	s_or_b32 exec_lo, exec_lo, s14
	s_delay_alu instid0(SALU_CYCLE_1)
	s_and_b32 s10, s10, exec_lo
	s_and_not1_saveexec_b32 s11, s11
	s_cbranch_execz .LBB6_36
.LBB6_218:
	v_cmp_ne_u32_e64 s0, 10, v7
	s_and_not1_b32 s10, s10, exec_lo
	s_mov_b32 s3, exec_lo
	s_and_b32 s0, s0, exec_lo
	s_delay_alu instid0(SALU_CYCLE_1) | instskip(SKIP_2) | instid1(SALU_CYCLE_1)
	s_or_b32 s10, s10, s0
	s_or_b32 exec_lo, exec_lo, s11
	s_and_saveexec_b32 s0, s10
	s_xor_b32 s0, exec_lo, s0
	s_cbranch_execz .LBB6_37
.LBB6_219:
                                        ; implicit-def: $vgpr15
	s_and_saveexec_b32 s10, s2
	s_delay_alu instid0(SALU_CYCLE_1)
	s_xor_b32 s10, exec_lo, s10
	s_cbranch_execz .LBB6_225
; %bb.220:
                                        ; implicit-def: $vgpr15
	s_and_saveexec_b32 s11, vcc_lo
	s_delay_alu instid0(SALU_CYCLE_1)
	s_xor_b32 s11, exec_lo, s11
	s_cbranch_execz .LBB6_222
; %bb.221:
	s_wait_loadcnt 0x0
	v_bfe_u32 v15, v14, v9, 3
.LBB6_222:
	s_and_not1_saveexec_b32 s11, s11
	s_cbranch_execz .LBB6_224
; %bb.223:
	s_wait_loadcnt 0x0
	v_bfe_u32 v15, v14, v6, 3
.LBB6_224:
	s_or_b32 exec_lo, exec_lo, s11
.LBB6_225:
	s_and_not1_saveexec_b32 s10, s10
	s_cbranch_execz .LBB6_227
; %bb.226:
	s_wait_loadcnt 0x0
	v_bfe_u32 v15, v14, v8, 3
.LBB6_227:
	s_or_b32 exec_lo, exec_lo, s10
	s_delay_alu instid0(SALU_CYCLE_1)
	s_and_not1_b32 s3, s3, exec_lo
	s_or_b32 exec_lo, exec_lo, s0
	s_and_saveexec_b32 s0, s3
	s_cbranch_execnz .LBB6_38
	s_branch .LBB6_39
.LBB6_228:
	s_mov_b32 s10, -1
	s_mov_b32 s14, exec_lo
                                        ; implicit-def: $vgpr15
	v_cmpx_eq_u32_e32 21, v7
	s_cbranch_execz .LBB6_230
; %bb.229:
	global_load_b32 v15, v[2:3], off offset:4
	s_xor_b32 s10, exec_lo, -1
	s_wait_loadcnt 0x0
	v_alignbit_b32 v15, v15, v14, 31
	s_delay_alu instid0(VALU_DEP_1)
	v_and_b32_e32 v15, 7, v15
.LBB6_230:
	s_wait_xcnt 0x0
	s_or_b32 exec_lo, exec_lo, s14
	s_delay_alu instid0(SALU_CYCLE_1)
	s_and_b32 s10, s10, exec_lo
	s_and_not1_saveexec_b32 s11, s11
	s_cbranch_execz .LBB6_41
.LBB6_231:
	v_cmp_ne_u32_e64 s0, 10, v7
	s_and_not1_b32 s10, s10, exec_lo
	s_mov_b32 s3, exec_lo
	s_and_b32 s0, s0, exec_lo
	s_delay_alu instid0(SALU_CYCLE_1) | instskip(SKIP_2) | instid1(SALU_CYCLE_1)
	s_or_b32 s10, s10, s0
	s_or_b32 exec_lo, exec_lo, s11
	s_and_saveexec_b32 s0, s10
	s_xor_b32 s0, exec_lo, s0
	s_cbranch_execz .LBB6_42
.LBB6_232:
                                        ; implicit-def: $vgpr15
	s_and_saveexec_b32 s10, s2
	s_delay_alu instid0(SALU_CYCLE_1)
	s_xor_b32 s10, exec_lo, s10
	s_cbranch_execz .LBB6_238
; %bb.233:
                                        ; implicit-def: $vgpr15
	s_and_saveexec_b32 s11, vcc_lo
	s_delay_alu instid0(SALU_CYCLE_1)
	s_xor_b32 s11, exec_lo, s11
	s_cbranch_execz .LBB6_235
; %bb.234:
	s_wait_loadcnt 0x0
	v_bfe_u32 v15, v14, v9, 3
.LBB6_235:
	s_and_not1_saveexec_b32 s11, s11
	s_cbranch_execz .LBB6_237
; %bb.236:
	s_wait_loadcnt 0x0
	v_bfe_u32 v15, v14, v6, 3
.LBB6_237:
	s_or_b32 exec_lo, exec_lo, s11
.LBB6_238:
	s_and_not1_saveexec_b32 s10, s10
	s_cbranch_execz .LBB6_240
; %bb.239:
	s_wait_loadcnt 0x0
	v_bfe_u32 v15, v14, v8, 3
.LBB6_240:
	s_or_b32 exec_lo, exec_lo, s10
	s_delay_alu instid0(SALU_CYCLE_1)
	s_and_not1_b32 s3, s3, exec_lo
	s_or_b32 exec_lo, exec_lo, s0
	s_and_saveexec_b32 s0, s3
	s_cbranch_execnz .LBB6_43
	s_branch .LBB6_44
.LBB6_241:
	s_mov_b32 s10, -1
	s_mov_b32 s14, exec_lo
                                        ; implicit-def: $vgpr15
	v_cmpx_eq_u32_e32 21, v7
	s_cbranch_execz .LBB6_243
; %bb.242:
	global_load_b32 v15, v[2:3], off offset:4
	s_xor_b32 s10, exec_lo, -1
	s_wait_loadcnt 0x0
	v_alignbit_b32 v15, v15, v14, 31
	s_delay_alu instid0(VALU_DEP_1)
	v_and_b32_e32 v15, 7, v15
.LBB6_243:
	s_wait_xcnt 0x0
	s_or_b32 exec_lo, exec_lo, s14
	s_delay_alu instid0(SALU_CYCLE_1)
	s_and_b32 s10, s10, exec_lo
	s_and_not1_saveexec_b32 s11, s11
	s_cbranch_execz .LBB6_46
.LBB6_244:
	v_cmp_ne_u32_e64 s0, 10, v7
	s_and_not1_b32 s10, s10, exec_lo
	s_mov_b32 s3, exec_lo
	s_and_b32 s0, s0, exec_lo
	s_delay_alu instid0(SALU_CYCLE_1) | instskip(SKIP_2) | instid1(SALU_CYCLE_1)
	s_or_b32 s10, s10, s0
	s_or_b32 exec_lo, exec_lo, s11
	s_and_saveexec_b32 s0, s10
	s_xor_b32 s0, exec_lo, s0
	s_cbranch_execz .LBB6_47
.LBB6_245:
                                        ; implicit-def: $vgpr15
	s_and_saveexec_b32 s10, s2
	s_delay_alu instid0(SALU_CYCLE_1)
	s_xor_b32 s10, exec_lo, s10
	s_cbranch_execz .LBB6_251
; %bb.246:
                                        ; implicit-def: $vgpr15
	s_and_saveexec_b32 s11, vcc_lo
	s_delay_alu instid0(SALU_CYCLE_1)
	s_xor_b32 s11, exec_lo, s11
	s_cbranch_execz .LBB6_248
; %bb.247:
	s_wait_loadcnt 0x0
	v_bfe_u32 v15, v14, v9, 3
.LBB6_248:
	s_and_not1_saveexec_b32 s11, s11
	s_cbranch_execz .LBB6_250
; %bb.249:
	s_wait_loadcnt 0x0
	v_bfe_u32 v15, v14, v6, 3
.LBB6_250:
	s_or_b32 exec_lo, exec_lo, s11
.LBB6_251:
	s_and_not1_saveexec_b32 s10, s10
	s_cbranch_execz .LBB6_253
; %bb.252:
	s_wait_loadcnt 0x0
	v_bfe_u32 v15, v14, v8, 3
.LBB6_253:
	s_or_b32 exec_lo, exec_lo, s10
	s_delay_alu instid0(SALU_CYCLE_1)
	s_and_not1_b32 s3, s3, exec_lo
	s_or_b32 exec_lo, exec_lo, s0
	s_and_saveexec_b32 s0, s3
	s_cbranch_execnz .LBB6_48
	s_branch .LBB6_49
.LBB6_254:
	s_mov_b32 s10, -1
	s_mov_b32 s14, exec_lo
                                        ; implicit-def: $vgpr15
	v_cmpx_eq_u32_e32 21, v7
	s_cbranch_execz .LBB6_256
; %bb.255:
	global_load_b32 v15, v[2:3], off offset:4
	s_xor_b32 s10, exec_lo, -1
	s_wait_loadcnt 0x0
	v_alignbit_b32 v15, v15, v14, 31
	s_delay_alu instid0(VALU_DEP_1)
	v_and_b32_e32 v15, 7, v15
.LBB6_256:
	s_wait_xcnt 0x0
	s_or_b32 exec_lo, exec_lo, s14
	s_delay_alu instid0(SALU_CYCLE_1)
	s_and_b32 s10, s10, exec_lo
	s_and_not1_saveexec_b32 s11, s11
	s_cbranch_execz .LBB6_51
.LBB6_257:
	v_cmp_ne_u32_e64 s0, 10, v7
	s_and_not1_b32 s10, s10, exec_lo
	s_mov_b32 s3, exec_lo
	s_and_b32 s0, s0, exec_lo
	s_delay_alu instid0(SALU_CYCLE_1) | instskip(SKIP_2) | instid1(SALU_CYCLE_1)
	s_or_b32 s10, s10, s0
	s_or_b32 exec_lo, exec_lo, s11
	s_and_saveexec_b32 s0, s10
	s_xor_b32 s0, exec_lo, s0
	s_cbranch_execz .LBB6_52
.LBB6_258:
                                        ; implicit-def: $vgpr15
	s_and_saveexec_b32 s10, s2
	s_delay_alu instid0(SALU_CYCLE_1)
	s_xor_b32 s10, exec_lo, s10
	s_cbranch_execz .LBB6_264
; %bb.259:
                                        ; implicit-def: $vgpr15
	s_and_saveexec_b32 s11, vcc_lo
	s_delay_alu instid0(SALU_CYCLE_1)
	s_xor_b32 s11, exec_lo, s11
	s_cbranch_execz .LBB6_261
; %bb.260:
	s_wait_loadcnt 0x0
	v_bfe_u32 v15, v14, v9, 3
.LBB6_261:
	s_and_not1_saveexec_b32 s11, s11
	s_cbranch_execz .LBB6_263
; %bb.262:
	s_wait_loadcnt 0x0
	v_bfe_u32 v15, v14, v6, 3
.LBB6_263:
	s_or_b32 exec_lo, exec_lo, s11
.LBB6_264:
	s_and_not1_saveexec_b32 s10, s10
	s_cbranch_execz .LBB6_266
; %bb.265:
	s_wait_loadcnt 0x0
	v_bfe_u32 v15, v14, v8, 3
.LBB6_266:
	s_or_b32 exec_lo, exec_lo, s10
	s_delay_alu instid0(SALU_CYCLE_1)
	s_and_not1_b32 s3, s3, exec_lo
	s_or_b32 exec_lo, exec_lo, s0
	s_and_saveexec_b32 s0, s3
	s_cbranch_execnz .LBB6_53
	s_branch .LBB6_54
.LBB6_267:
	s_mov_b32 s10, -1
	s_mov_b32 s14, exec_lo
                                        ; implicit-def: $vgpr15
	v_cmpx_eq_u32_e32 21, v7
	s_cbranch_execz .LBB6_269
; %bb.268:
	global_load_b32 v15, v[2:3], off offset:4
	s_xor_b32 s10, exec_lo, -1
	s_wait_loadcnt 0x0
	v_alignbit_b32 v15, v15, v14, 31
	s_delay_alu instid0(VALU_DEP_1)
	v_and_b32_e32 v15, 7, v15
.LBB6_269:
	s_wait_xcnt 0x0
	s_or_b32 exec_lo, exec_lo, s14
	s_delay_alu instid0(SALU_CYCLE_1)
	s_and_b32 s10, s10, exec_lo
	s_and_not1_saveexec_b32 s11, s11
	s_cbranch_execz .LBB6_56
.LBB6_270:
	v_cmp_ne_u32_e64 s0, 10, v7
	s_and_not1_b32 s10, s10, exec_lo
	s_mov_b32 s3, exec_lo
	s_and_b32 s0, s0, exec_lo
	s_delay_alu instid0(SALU_CYCLE_1) | instskip(SKIP_2) | instid1(SALU_CYCLE_1)
	s_or_b32 s10, s10, s0
	s_or_b32 exec_lo, exec_lo, s11
	s_and_saveexec_b32 s0, s10
	s_xor_b32 s0, exec_lo, s0
	s_cbranch_execz .LBB6_57
.LBB6_271:
                                        ; implicit-def: $vgpr15
	s_and_saveexec_b32 s10, s2
	s_delay_alu instid0(SALU_CYCLE_1)
	s_xor_b32 s10, exec_lo, s10
	s_cbranch_execz .LBB6_277
; %bb.272:
                                        ; implicit-def: $vgpr15
	s_and_saveexec_b32 s11, vcc_lo
	s_delay_alu instid0(SALU_CYCLE_1)
	s_xor_b32 s11, exec_lo, s11
	s_cbranch_execz .LBB6_274
; %bb.273:
	s_wait_loadcnt 0x0
	v_bfe_u32 v15, v14, v9, 3
.LBB6_274:
	s_and_not1_saveexec_b32 s11, s11
	s_cbranch_execz .LBB6_276
; %bb.275:
	s_wait_loadcnt 0x0
	v_bfe_u32 v15, v14, v6, 3
.LBB6_276:
	s_or_b32 exec_lo, exec_lo, s11
.LBB6_277:
	s_and_not1_saveexec_b32 s10, s10
	s_cbranch_execz .LBB6_279
; %bb.278:
	s_wait_loadcnt 0x0
	v_bfe_u32 v15, v14, v8, 3
.LBB6_279:
	s_or_b32 exec_lo, exec_lo, s10
	s_delay_alu instid0(SALU_CYCLE_1)
	s_and_not1_b32 s3, s3, exec_lo
	s_or_b32 exec_lo, exec_lo, s0
	s_and_saveexec_b32 s0, s3
	s_cbranch_execnz .LBB6_58
	s_branch .LBB6_59
.LBB6_280:
	s_mov_b32 s10, -1
	s_mov_b32 s14, exec_lo
                                        ; implicit-def: $vgpr15
	v_cmpx_eq_u32_e32 21, v7
	s_cbranch_execz .LBB6_282
; %bb.281:
	global_load_b32 v15, v[2:3], off offset:4
	s_xor_b32 s10, exec_lo, -1
	s_wait_loadcnt 0x0
	v_alignbit_b32 v15, v15, v14, 31
	s_delay_alu instid0(VALU_DEP_1)
	v_and_b32_e32 v15, 7, v15
.LBB6_282:
	s_wait_xcnt 0x0
	s_or_b32 exec_lo, exec_lo, s14
	s_delay_alu instid0(SALU_CYCLE_1)
	s_and_b32 s10, s10, exec_lo
	s_and_not1_saveexec_b32 s11, s11
	s_cbranch_execz .LBB6_61
.LBB6_283:
	v_cmp_ne_u32_e64 s0, 10, v7
	s_and_not1_b32 s10, s10, exec_lo
	s_mov_b32 s3, exec_lo
	s_and_b32 s0, s0, exec_lo
	s_delay_alu instid0(SALU_CYCLE_1) | instskip(SKIP_2) | instid1(SALU_CYCLE_1)
	s_or_b32 s10, s10, s0
	s_or_b32 exec_lo, exec_lo, s11
	s_and_saveexec_b32 s0, s10
	s_xor_b32 s0, exec_lo, s0
	s_cbranch_execz .LBB6_62
.LBB6_284:
                                        ; implicit-def: $vgpr15
	s_and_saveexec_b32 s10, s2
	s_delay_alu instid0(SALU_CYCLE_1)
	s_xor_b32 s10, exec_lo, s10
	s_cbranch_execz .LBB6_290
; %bb.285:
                                        ; implicit-def: $vgpr15
	s_and_saveexec_b32 s11, vcc_lo
	s_delay_alu instid0(SALU_CYCLE_1)
	s_xor_b32 s11, exec_lo, s11
	s_cbranch_execz .LBB6_287
; %bb.286:
	s_wait_loadcnt 0x0
	v_bfe_u32 v15, v14, v9, 3
.LBB6_287:
	s_and_not1_saveexec_b32 s11, s11
	s_cbranch_execz .LBB6_289
; %bb.288:
	s_wait_loadcnt 0x0
	v_bfe_u32 v15, v14, v6, 3
.LBB6_289:
	s_or_b32 exec_lo, exec_lo, s11
.LBB6_290:
	s_and_not1_saveexec_b32 s10, s10
	s_cbranch_execz .LBB6_292
; %bb.291:
	s_wait_loadcnt 0x0
	v_bfe_u32 v15, v14, v8, 3
.LBB6_292:
	s_or_b32 exec_lo, exec_lo, s10
	s_delay_alu instid0(SALU_CYCLE_1)
	s_and_not1_b32 s3, s3, exec_lo
	s_or_b32 exec_lo, exec_lo, s0
	s_and_saveexec_b32 s0, s3
	s_cbranch_execnz .LBB6_63
	s_branch .LBB6_64
.LBB6_293:
	s_mov_b32 s10, -1
	s_mov_b32 s14, exec_lo
                                        ; implicit-def: $vgpr15
	v_cmpx_eq_u32_e32 21, v7
	s_cbranch_execz .LBB6_295
; %bb.294:
	global_load_b32 v15, v[2:3], off offset:4
	s_xor_b32 s10, exec_lo, -1
	s_wait_loadcnt 0x0
	v_alignbit_b32 v15, v15, v14, 31
	s_delay_alu instid0(VALU_DEP_1)
	v_and_b32_e32 v15, 7, v15
.LBB6_295:
	s_wait_xcnt 0x0
	s_or_b32 exec_lo, exec_lo, s14
	s_delay_alu instid0(SALU_CYCLE_1)
	s_and_b32 s10, s10, exec_lo
	s_and_not1_saveexec_b32 s11, s11
	s_cbranch_execz .LBB6_66
.LBB6_296:
	v_cmp_ne_u32_e64 s0, 10, v7
	s_and_not1_b32 s10, s10, exec_lo
	s_mov_b32 s3, exec_lo
	s_and_b32 s0, s0, exec_lo
	s_delay_alu instid0(SALU_CYCLE_1) | instskip(SKIP_2) | instid1(SALU_CYCLE_1)
	s_or_b32 s10, s10, s0
	s_or_b32 exec_lo, exec_lo, s11
	s_and_saveexec_b32 s0, s10
	s_xor_b32 s0, exec_lo, s0
	s_cbranch_execz .LBB6_67
.LBB6_297:
                                        ; implicit-def: $vgpr15
	s_and_saveexec_b32 s10, s2
	s_delay_alu instid0(SALU_CYCLE_1)
	s_xor_b32 s10, exec_lo, s10
	s_cbranch_execz .LBB6_303
; %bb.298:
                                        ; implicit-def: $vgpr15
	s_and_saveexec_b32 s11, vcc_lo
	s_delay_alu instid0(SALU_CYCLE_1)
	s_xor_b32 s11, exec_lo, s11
	s_cbranch_execz .LBB6_300
; %bb.299:
	s_wait_loadcnt 0x0
	v_bfe_u32 v15, v14, v9, 3
.LBB6_300:
	s_and_not1_saveexec_b32 s11, s11
	s_cbranch_execz .LBB6_302
; %bb.301:
	s_wait_loadcnt 0x0
	v_bfe_u32 v15, v14, v6, 3
.LBB6_302:
	s_or_b32 exec_lo, exec_lo, s11
.LBB6_303:
	s_and_not1_saveexec_b32 s10, s10
	s_cbranch_execz .LBB6_305
; %bb.304:
	s_wait_loadcnt 0x0
	v_bfe_u32 v15, v14, v8, 3
.LBB6_305:
	s_or_b32 exec_lo, exec_lo, s10
	s_delay_alu instid0(SALU_CYCLE_1)
	s_and_not1_b32 s3, s3, exec_lo
	s_or_b32 exec_lo, exec_lo, s0
	s_and_saveexec_b32 s0, s3
	s_cbranch_execnz .LBB6_68
	s_branch .LBB6_69
.LBB6_306:
	s_mov_b32 s10, -1
	s_mov_b32 s14, exec_lo
                                        ; implicit-def: $vgpr14
	v_cmpx_eq_u32_e32 21, v7
	s_cbranch_execz .LBB6_308
; %bb.307:
	s_wait_loadcnt 0x2
	global_load_b32 v14, v[2:3], off offset:4
	s_xor_b32 s10, exec_lo, -1
	s_wait_loadcnt 0x0
	v_alignbit_b32 v14, v14, v13, 31
	s_delay_alu instid0(VALU_DEP_1)
	v_and_b32_e32 v14, 7, v14
.LBB6_308:
	s_wait_xcnt 0x0
	s_or_b32 exec_lo, exec_lo, s14
	s_delay_alu instid0(SALU_CYCLE_1)
	s_and_b32 s10, s10, exec_lo
	s_and_not1_saveexec_b32 s11, s11
	s_cbranch_execz .LBB6_71
.LBB6_309:
	v_cmp_ne_u32_e64 s0, 10, v7
	s_and_not1_b32 s10, s10, exec_lo
	s_mov_b32 s3, exec_lo
	s_and_b32 s0, s0, exec_lo
	s_delay_alu instid0(SALU_CYCLE_1) | instskip(SKIP_2) | instid1(SALU_CYCLE_1)
	s_or_b32 s10, s10, s0
	s_or_b32 exec_lo, exec_lo, s11
	s_and_saveexec_b32 s0, s10
	s_xor_b32 s0, exec_lo, s0
	s_cbranch_execz .LBB6_72
.LBB6_310:
                                        ; implicit-def: $vgpr14
	s_and_saveexec_b32 s10, s2
	s_delay_alu instid0(SALU_CYCLE_1)
	s_xor_b32 s10, exec_lo, s10
	s_cbranch_execz .LBB6_316
; %bb.311:
                                        ; implicit-def: $vgpr14
	s_and_saveexec_b32 s11, vcc_lo
	s_delay_alu instid0(SALU_CYCLE_1)
	s_xor_b32 s11, exec_lo, s11
	s_cbranch_execz .LBB6_313
; %bb.312:
	s_wait_loadcnt 0x0
	v_bfe_u32 v14, v13, v9, 3
.LBB6_313:
	s_and_not1_saveexec_b32 s11, s11
	s_cbranch_execz .LBB6_315
; %bb.314:
	s_wait_loadcnt 0x0
	v_bfe_u32 v14, v13, v6, 3
.LBB6_315:
	s_or_b32 exec_lo, exec_lo, s11
.LBB6_316:
	s_and_not1_saveexec_b32 s10, s10
	s_cbranch_execz .LBB6_318
; %bb.317:
	s_wait_loadcnt 0x0
	v_bfe_u32 v14, v13, v8, 3
.LBB6_318:
	s_or_b32 exec_lo, exec_lo, s10
	s_delay_alu instid0(SALU_CYCLE_1)
	s_and_not1_b32 s3, s3, exec_lo
	s_or_b32 exec_lo, exec_lo, s0
	s_and_saveexec_b32 s0, s3
	s_cbranch_execnz .LBB6_73
	s_branch .LBB6_74
.LBB6_319:
	s_mov_b32 s10, -1
	s_mov_b32 s14, exec_lo
                                        ; implicit-def: $vgpr14
	v_cmpx_eq_u32_e32 21, v7
	s_cbranch_execz .LBB6_321
; %bb.320:
	global_load_b32 v14, v[2:3], off offset:4
	s_xor_b32 s10, exec_lo, -1
	s_wait_loadcnt 0x0
	v_alignbit_b32 v14, v14, v13, 31
	s_delay_alu instid0(VALU_DEP_1)
	v_and_b32_e32 v14, 7, v14
.LBB6_321:
	s_wait_xcnt 0x0
	s_or_b32 exec_lo, exec_lo, s14
	s_delay_alu instid0(SALU_CYCLE_1)
	s_and_b32 s10, s10, exec_lo
	s_and_not1_saveexec_b32 s11, s11
	s_cbranch_execz .LBB6_76
.LBB6_322:
	v_cmp_ne_u32_e64 s0, 10, v7
	s_and_not1_b32 s10, s10, exec_lo
	s_mov_b32 s3, exec_lo
	s_and_b32 s0, s0, exec_lo
	s_delay_alu instid0(SALU_CYCLE_1) | instskip(SKIP_2) | instid1(SALU_CYCLE_1)
	s_or_b32 s10, s10, s0
	s_or_b32 exec_lo, exec_lo, s11
	s_and_saveexec_b32 s0, s10
	s_xor_b32 s0, exec_lo, s0
	s_cbranch_execz .LBB6_77
.LBB6_323:
                                        ; implicit-def: $vgpr14
	s_and_saveexec_b32 s10, s2
	s_delay_alu instid0(SALU_CYCLE_1)
	s_xor_b32 s10, exec_lo, s10
	s_cbranch_execz .LBB6_329
; %bb.324:
                                        ; implicit-def: $vgpr14
	s_and_saveexec_b32 s11, vcc_lo
	s_delay_alu instid0(SALU_CYCLE_1)
	s_xor_b32 s11, exec_lo, s11
	s_cbranch_execz .LBB6_326
; %bb.325:
	s_wait_loadcnt 0x0
	v_bfe_u32 v14, v13, v9, 3
.LBB6_326:
	s_and_not1_saveexec_b32 s11, s11
	s_cbranch_execz .LBB6_328
; %bb.327:
	s_wait_loadcnt 0x0
	v_bfe_u32 v14, v13, v6, 3
.LBB6_328:
	s_or_b32 exec_lo, exec_lo, s11
.LBB6_329:
	s_and_not1_saveexec_b32 s10, s10
	s_cbranch_execz .LBB6_331
; %bb.330:
	s_wait_loadcnt 0x0
	v_bfe_u32 v14, v13, v8, 3
.LBB6_331:
	s_or_b32 exec_lo, exec_lo, s10
	s_delay_alu instid0(SALU_CYCLE_1)
	s_and_not1_b32 s3, s3, exec_lo
	s_or_b32 exec_lo, exec_lo, s0
	s_and_saveexec_b32 s0, s3
	s_cbranch_execnz .LBB6_78
	s_branch .LBB6_79
.LBB6_332:
	s_mov_b32 s10, -1
	s_mov_b32 s14, exec_lo
                                        ; implicit-def: $vgpr14
	v_cmpx_eq_u32_e32 21, v7
	s_cbranch_execz .LBB6_334
; %bb.333:
	global_load_b32 v14, v[2:3], off offset:4
	s_xor_b32 s10, exec_lo, -1
	s_wait_loadcnt 0x0
	v_alignbit_b32 v14, v14, v13, 31
	s_delay_alu instid0(VALU_DEP_1)
	v_and_b32_e32 v14, 7, v14
.LBB6_334:
	s_wait_xcnt 0x0
	s_or_b32 exec_lo, exec_lo, s14
	s_delay_alu instid0(SALU_CYCLE_1)
	s_and_b32 s10, s10, exec_lo
	s_and_not1_saveexec_b32 s11, s11
	s_cbranch_execz .LBB6_81
.LBB6_335:
	v_cmp_ne_u32_e64 s0, 10, v7
	s_and_not1_b32 s10, s10, exec_lo
	s_mov_b32 s3, exec_lo
	s_and_b32 s0, s0, exec_lo
	s_delay_alu instid0(SALU_CYCLE_1) | instskip(SKIP_2) | instid1(SALU_CYCLE_1)
	s_or_b32 s10, s10, s0
	s_or_b32 exec_lo, exec_lo, s11
	s_and_saveexec_b32 s0, s10
	s_xor_b32 s0, exec_lo, s0
	s_cbranch_execz .LBB6_82
.LBB6_336:
                                        ; implicit-def: $vgpr14
	s_and_saveexec_b32 s10, s2
	s_delay_alu instid0(SALU_CYCLE_1)
	s_xor_b32 s10, exec_lo, s10
	s_cbranch_execz .LBB6_342
; %bb.337:
                                        ; implicit-def: $vgpr14
	s_and_saveexec_b32 s11, vcc_lo
	s_delay_alu instid0(SALU_CYCLE_1)
	s_xor_b32 s11, exec_lo, s11
	s_cbranch_execz .LBB6_339
; %bb.338:
	s_wait_loadcnt 0x0
	v_bfe_u32 v14, v13, v9, 3
.LBB6_339:
	s_and_not1_saveexec_b32 s11, s11
	s_cbranch_execz .LBB6_341
; %bb.340:
	s_wait_loadcnt 0x0
	v_bfe_u32 v14, v13, v6, 3
.LBB6_341:
	s_or_b32 exec_lo, exec_lo, s11
.LBB6_342:
	s_and_not1_saveexec_b32 s10, s10
	s_cbranch_execz .LBB6_344
; %bb.343:
	s_wait_loadcnt 0x0
	v_bfe_u32 v14, v13, v8, 3
.LBB6_344:
	s_or_b32 exec_lo, exec_lo, s10
	s_delay_alu instid0(SALU_CYCLE_1)
	s_and_not1_b32 s3, s3, exec_lo
	s_or_b32 exec_lo, exec_lo, s0
	s_and_saveexec_b32 s0, s3
	s_cbranch_execnz .LBB6_83
	s_branch .LBB6_84
.LBB6_345:
	s_mov_b32 s10, -1
	s_mov_b32 s14, exec_lo
                                        ; implicit-def: $vgpr14
	v_cmpx_eq_u32_e32 21, v7
	s_cbranch_execz .LBB6_347
; %bb.346:
	global_load_b32 v14, v[2:3], off offset:4
	s_xor_b32 s10, exec_lo, -1
	s_wait_loadcnt 0x0
	v_alignbit_b32 v14, v14, v13, 31
	s_delay_alu instid0(VALU_DEP_1)
	v_and_b32_e32 v14, 7, v14
.LBB6_347:
	s_wait_xcnt 0x0
	s_or_b32 exec_lo, exec_lo, s14
	s_delay_alu instid0(SALU_CYCLE_1)
	s_and_b32 s10, s10, exec_lo
	s_and_not1_saveexec_b32 s11, s11
	s_cbranch_execz .LBB6_86
.LBB6_348:
	v_cmp_ne_u32_e64 s0, 10, v7
	s_and_not1_b32 s10, s10, exec_lo
	s_mov_b32 s3, exec_lo
	s_and_b32 s0, s0, exec_lo
	s_delay_alu instid0(SALU_CYCLE_1) | instskip(SKIP_2) | instid1(SALU_CYCLE_1)
	s_or_b32 s10, s10, s0
	s_or_b32 exec_lo, exec_lo, s11
	s_and_saveexec_b32 s0, s10
	s_xor_b32 s0, exec_lo, s0
	s_cbranch_execz .LBB6_87
.LBB6_349:
                                        ; implicit-def: $vgpr14
	s_and_saveexec_b32 s10, s2
	s_delay_alu instid0(SALU_CYCLE_1)
	s_xor_b32 s10, exec_lo, s10
	s_cbranch_execz .LBB6_355
; %bb.350:
                                        ; implicit-def: $vgpr14
	s_and_saveexec_b32 s11, vcc_lo
	s_delay_alu instid0(SALU_CYCLE_1)
	s_xor_b32 s11, exec_lo, s11
	s_cbranch_execz .LBB6_352
; %bb.351:
	s_wait_loadcnt 0x0
	v_bfe_u32 v14, v13, v9, 3
.LBB6_352:
	s_and_not1_saveexec_b32 s11, s11
	s_cbranch_execz .LBB6_354
; %bb.353:
	s_wait_loadcnt 0x0
	v_bfe_u32 v14, v13, v6, 3
.LBB6_354:
	s_or_b32 exec_lo, exec_lo, s11
.LBB6_355:
	s_and_not1_saveexec_b32 s10, s10
	s_cbranch_execz .LBB6_357
; %bb.356:
	s_wait_loadcnt 0x0
	v_bfe_u32 v14, v13, v8, 3
.LBB6_357:
	s_or_b32 exec_lo, exec_lo, s10
	s_delay_alu instid0(SALU_CYCLE_1)
	s_and_not1_b32 s3, s3, exec_lo
	s_or_b32 exec_lo, exec_lo, s0
	s_and_saveexec_b32 s0, s3
	s_cbranch_execnz .LBB6_88
	s_branch .LBB6_89
.LBB6_358:
	s_mov_b32 s10, -1
	s_mov_b32 s14, exec_lo
                                        ; implicit-def: $vgpr14
	v_cmpx_eq_u32_e32 21, v7
	s_cbranch_execz .LBB6_360
; %bb.359:
	global_load_b32 v14, v[2:3], off offset:4
	s_xor_b32 s10, exec_lo, -1
	s_wait_loadcnt 0x0
	v_alignbit_b32 v14, v14, v13, 31
	s_delay_alu instid0(VALU_DEP_1)
	v_and_b32_e32 v14, 7, v14
.LBB6_360:
	s_wait_xcnt 0x0
	s_or_b32 exec_lo, exec_lo, s14
	s_delay_alu instid0(SALU_CYCLE_1)
	s_and_b32 s10, s10, exec_lo
	s_and_not1_saveexec_b32 s11, s11
	s_cbranch_execz .LBB6_91
.LBB6_361:
	v_cmp_ne_u32_e64 s0, 10, v7
	s_and_not1_b32 s10, s10, exec_lo
	s_mov_b32 s3, exec_lo
	s_and_b32 s0, s0, exec_lo
	s_delay_alu instid0(SALU_CYCLE_1) | instskip(SKIP_2) | instid1(SALU_CYCLE_1)
	s_or_b32 s10, s10, s0
	s_or_b32 exec_lo, exec_lo, s11
	s_and_saveexec_b32 s0, s10
	s_xor_b32 s0, exec_lo, s0
	s_cbranch_execz .LBB6_92
.LBB6_362:
                                        ; implicit-def: $vgpr14
	s_and_saveexec_b32 s10, s2
	s_delay_alu instid0(SALU_CYCLE_1)
	s_xor_b32 s10, exec_lo, s10
	s_cbranch_execz .LBB6_368
; %bb.363:
                                        ; implicit-def: $vgpr14
	s_and_saveexec_b32 s11, vcc_lo
	s_delay_alu instid0(SALU_CYCLE_1)
	s_xor_b32 s11, exec_lo, s11
	s_cbranch_execz .LBB6_365
; %bb.364:
	s_wait_loadcnt 0x0
	v_bfe_u32 v14, v13, v9, 3
.LBB6_365:
	s_and_not1_saveexec_b32 s11, s11
	s_cbranch_execz .LBB6_367
; %bb.366:
	s_wait_loadcnt 0x0
	v_bfe_u32 v14, v13, v6, 3
.LBB6_367:
	s_or_b32 exec_lo, exec_lo, s11
.LBB6_368:
	s_and_not1_saveexec_b32 s10, s10
	s_cbranch_execz .LBB6_370
; %bb.369:
	s_wait_loadcnt 0x0
	v_bfe_u32 v14, v13, v8, 3
.LBB6_370:
	s_or_b32 exec_lo, exec_lo, s10
	s_delay_alu instid0(SALU_CYCLE_1)
	s_and_not1_b32 s3, s3, exec_lo
	s_or_b32 exec_lo, exec_lo, s0
	s_and_saveexec_b32 s0, s3
	s_cbranch_execnz .LBB6_93
	s_branch .LBB6_94
.LBB6_371:
	s_mov_b32 s10, -1
	s_mov_b32 s14, exec_lo
                                        ; implicit-def: $vgpr14
	v_cmpx_eq_u32_e32 21, v7
	s_cbranch_execz .LBB6_373
; %bb.372:
	global_load_b32 v14, v[2:3], off offset:4
	s_xor_b32 s10, exec_lo, -1
	s_wait_loadcnt 0x0
	v_alignbit_b32 v14, v14, v13, 31
	s_delay_alu instid0(VALU_DEP_1)
	v_and_b32_e32 v14, 7, v14
.LBB6_373:
	s_wait_xcnt 0x0
	s_or_b32 exec_lo, exec_lo, s14
	s_delay_alu instid0(SALU_CYCLE_1)
	s_and_b32 s10, s10, exec_lo
	s_and_not1_saveexec_b32 s11, s11
	s_cbranch_execz .LBB6_96
.LBB6_374:
	v_cmp_ne_u32_e64 s0, 10, v7
	s_and_not1_b32 s10, s10, exec_lo
	s_mov_b32 s3, exec_lo
	s_and_b32 s0, s0, exec_lo
	s_delay_alu instid0(SALU_CYCLE_1) | instskip(SKIP_2) | instid1(SALU_CYCLE_1)
	s_or_b32 s10, s10, s0
	s_or_b32 exec_lo, exec_lo, s11
	s_and_saveexec_b32 s0, s10
	s_xor_b32 s0, exec_lo, s0
	s_cbranch_execz .LBB6_97
.LBB6_375:
                                        ; implicit-def: $vgpr14
	s_and_saveexec_b32 s10, s2
	s_delay_alu instid0(SALU_CYCLE_1)
	s_xor_b32 s10, exec_lo, s10
	s_cbranch_execz .LBB6_381
; %bb.376:
                                        ; implicit-def: $vgpr14
	s_and_saveexec_b32 s11, vcc_lo
	s_delay_alu instid0(SALU_CYCLE_1)
	s_xor_b32 s11, exec_lo, s11
	s_cbranch_execz .LBB6_378
; %bb.377:
	s_wait_loadcnt 0x0
	v_bfe_u32 v14, v13, v9, 3
.LBB6_378:
	s_and_not1_saveexec_b32 s11, s11
	s_cbranch_execz .LBB6_380
; %bb.379:
	s_wait_loadcnt 0x0
	v_bfe_u32 v14, v13, v6, 3
.LBB6_380:
	s_or_b32 exec_lo, exec_lo, s11
.LBB6_381:
	s_and_not1_saveexec_b32 s10, s10
	s_cbranch_execz .LBB6_383
; %bb.382:
	s_wait_loadcnt 0x0
	v_bfe_u32 v14, v13, v8, 3
.LBB6_383:
	s_or_b32 exec_lo, exec_lo, s10
	s_delay_alu instid0(SALU_CYCLE_1)
	s_and_not1_b32 s3, s3, exec_lo
	s_or_b32 exec_lo, exec_lo, s0
	s_and_saveexec_b32 s0, s3
	s_cbranch_execnz .LBB6_98
	s_branch .LBB6_99
.LBB6_384:
	s_mov_b32 s10, -1
	s_mov_b32 s14, exec_lo
                                        ; implicit-def: $vgpr14
	v_cmpx_eq_u32_e32 21, v7
	s_cbranch_execz .LBB6_386
; %bb.385:
	global_load_b32 v14, v[2:3], off offset:4
	s_xor_b32 s10, exec_lo, -1
	s_wait_loadcnt 0x0
	v_alignbit_b32 v14, v14, v13, 31
	s_delay_alu instid0(VALU_DEP_1)
	v_and_b32_e32 v14, 7, v14
.LBB6_386:
	s_wait_xcnt 0x0
	s_or_b32 exec_lo, exec_lo, s14
	s_delay_alu instid0(SALU_CYCLE_1)
	s_and_b32 s10, s10, exec_lo
	s_and_not1_saveexec_b32 s11, s11
	s_cbranch_execz .LBB6_101
.LBB6_387:
	v_cmp_ne_u32_e64 s0, 10, v7
	s_and_not1_b32 s10, s10, exec_lo
	s_mov_b32 s3, exec_lo
	s_and_b32 s0, s0, exec_lo
	s_delay_alu instid0(SALU_CYCLE_1) | instskip(SKIP_2) | instid1(SALU_CYCLE_1)
	s_or_b32 s10, s10, s0
	s_or_b32 exec_lo, exec_lo, s11
	s_and_saveexec_b32 s0, s10
	s_xor_b32 s0, exec_lo, s0
	s_cbranch_execz .LBB6_102
.LBB6_388:
                                        ; implicit-def: $vgpr14
	s_and_saveexec_b32 s10, s2
	s_delay_alu instid0(SALU_CYCLE_1)
	s_xor_b32 s10, exec_lo, s10
	s_cbranch_execz .LBB6_394
; %bb.389:
                                        ; implicit-def: $vgpr14
	s_and_saveexec_b32 s11, vcc_lo
	s_delay_alu instid0(SALU_CYCLE_1)
	s_xor_b32 s11, exec_lo, s11
	s_cbranch_execz .LBB6_391
; %bb.390:
	s_wait_loadcnt 0x0
	v_bfe_u32 v14, v13, v9, 3
.LBB6_391:
	s_and_not1_saveexec_b32 s11, s11
	s_cbranch_execz .LBB6_393
; %bb.392:
	s_wait_loadcnt 0x0
	v_bfe_u32 v14, v13, v6, 3
.LBB6_393:
	s_or_b32 exec_lo, exec_lo, s11
.LBB6_394:
	s_and_not1_saveexec_b32 s10, s10
	s_cbranch_execz .LBB6_396
; %bb.395:
	s_wait_loadcnt 0x0
	v_bfe_u32 v14, v13, v8, 3
.LBB6_396:
	s_or_b32 exec_lo, exec_lo, s10
	s_delay_alu instid0(SALU_CYCLE_1)
	s_and_not1_b32 s3, s3, exec_lo
	s_or_b32 exec_lo, exec_lo, s0
	s_and_saveexec_b32 s0, s3
	s_cbranch_execnz .LBB6_103
	s_branch .LBB6_104
.LBB6_397:
	s_mov_b32 s10, -1
	s_mov_b32 s14, exec_lo
                                        ; implicit-def: $vgpr14
	v_cmpx_eq_u32_e32 21, v7
	s_cbranch_execz .LBB6_399
; %bb.398:
	global_load_b32 v14, v[2:3], off offset:4
	s_xor_b32 s10, exec_lo, -1
	s_wait_loadcnt 0x0
	v_alignbit_b32 v14, v14, v13, 31
	s_delay_alu instid0(VALU_DEP_1)
	v_and_b32_e32 v14, 7, v14
.LBB6_399:
	s_wait_xcnt 0x0
	s_or_b32 exec_lo, exec_lo, s14
	s_delay_alu instid0(SALU_CYCLE_1)
	s_and_b32 s10, s10, exec_lo
	s_and_not1_saveexec_b32 s11, s11
	s_cbranch_execz .LBB6_106
.LBB6_400:
	v_cmp_ne_u32_e64 s0, 10, v7
	s_and_not1_b32 s10, s10, exec_lo
	s_mov_b32 s3, exec_lo
	s_and_b32 s0, s0, exec_lo
	s_delay_alu instid0(SALU_CYCLE_1) | instskip(SKIP_2) | instid1(SALU_CYCLE_1)
	s_or_b32 s10, s10, s0
	s_or_b32 exec_lo, exec_lo, s11
	s_and_saveexec_b32 s0, s10
	s_xor_b32 s0, exec_lo, s0
	s_cbranch_execz .LBB6_107
.LBB6_401:
                                        ; implicit-def: $vgpr14
	s_and_saveexec_b32 s10, s2
	s_delay_alu instid0(SALU_CYCLE_1)
	s_xor_b32 s10, exec_lo, s10
	s_cbranch_execz .LBB6_407
; %bb.402:
                                        ; implicit-def: $vgpr14
	s_and_saveexec_b32 s11, vcc_lo
	s_delay_alu instid0(SALU_CYCLE_1)
	s_xor_b32 s11, exec_lo, s11
	s_cbranch_execz .LBB6_404
; %bb.403:
	s_wait_loadcnt 0x0
	v_bfe_u32 v14, v13, v9, 3
.LBB6_404:
	s_and_not1_saveexec_b32 s11, s11
	s_cbranch_execz .LBB6_406
; %bb.405:
	s_wait_loadcnt 0x0
	v_bfe_u32 v14, v13, v6, 3
.LBB6_406:
	s_or_b32 exec_lo, exec_lo, s11
.LBB6_407:
	s_and_not1_saveexec_b32 s10, s10
	s_cbranch_execz .LBB6_409
; %bb.408:
	s_wait_loadcnt 0x0
	v_bfe_u32 v14, v13, v8, 3
.LBB6_409:
	s_or_b32 exec_lo, exec_lo, s10
	s_delay_alu instid0(SALU_CYCLE_1)
	s_and_not1_b32 s3, s3, exec_lo
	s_or_b32 exec_lo, exec_lo, s0
	s_and_saveexec_b32 s0, s3
	s_cbranch_execnz .LBB6_108
	s_branch .LBB6_109
.LBB6_410:
	s_mov_b32 s10, -1
	s_mov_b32 s14, exec_lo
                                        ; implicit-def: $vgpr14
	v_cmpx_eq_u32_e32 21, v7
	s_cbranch_execz .LBB6_412
; %bb.411:
	global_load_b32 v14, v[2:3], off offset:4
	s_xor_b32 s10, exec_lo, -1
	s_wait_loadcnt 0x0
	v_alignbit_b32 v14, v14, v13, 31
	s_delay_alu instid0(VALU_DEP_1)
	v_and_b32_e32 v14, 7, v14
.LBB6_412:
	s_wait_xcnt 0x0
	s_or_b32 exec_lo, exec_lo, s14
	s_delay_alu instid0(SALU_CYCLE_1)
	s_and_b32 s10, s10, exec_lo
	s_and_not1_saveexec_b32 s11, s11
	s_cbranch_execz .LBB6_111
.LBB6_413:
	v_cmp_ne_u32_e64 s0, 10, v7
	s_and_not1_b32 s10, s10, exec_lo
	s_mov_b32 s3, exec_lo
	s_and_b32 s0, s0, exec_lo
	s_delay_alu instid0(SALU_CYCLE_1) | instskip(SKIP_2) | instid1(SALU_CYCLE_1)
	s_or_b32 s10, s10, s0
	s_or_b32 exec_lo, exec_lo, s11
	s_and_saveexec_b32 s0, s10
	s_xor_b32 s0, exec_lo, s0
	s_cbranch_execz .LBB6_112
.LBB6_414:
                                        ; implicit-def: $vgpr14
	s_and_saveexec_b32 s10, s2
	s_delay_alu instid0(SALU_CYCLE_1)
	s_xor_b32 s10, exec_lo, s10
	s_cbranch_execz .LBB6_420
; %bb.415:
                                        ; implicit-def: $vgpr14
	s_and_saveexec_b32 s11, vcc_lo
	s_delay_alu instid0(SALU_CYCLE_1)
	s_xor_b32 s11, exec_lo, s11
	s_cbranch_execz .LBB6_417
; %bb.416:
	s_wait_loadcnt 0x0
	v_bfe_u32 v14, v13, v9, 3
.LBB6_417:
	s_and_not1_saveexec_b32 s11, s11
	s_cbranch_execz .LBB6_419
; %bb.418:
	s_wait_loadcnt 0x0
	v_bfe_u32 v14, v13, v6, 3
.LBB6_419:
	s_or_b32 exec_lo, exec_lo, s11
.LBB6_420:
	s_and_not1_saveexec_b32 s10, s10
	s_cbranch_execz .LBB6_422
; %bb.421:
	s_wait_loadcnt 0x0
	v_bfe_u32 v14, v13, v8, 3
.LBB6_422:
	s_or_b32 exec_lo, exec_lo, s10
	s_delay_alu instid0(SALU_CYCLE_1)
	s_and_not1_b32 s3, s3, exec_lo
	s_or_b32 exec_lo, exec_lo, s0
	s_and_saveexec_b32 s0, s3
	s_cbranch_execnz .LBB6_113
	s_branch .LBB6_114
.LBB6_423:
	s_mov_b32 s10, -1
	s_mov_b32 s14, exec_lo
                                        ; implicit-def: $vgpr14
	v_cmpx_eq_u32_e32 21, v7
	s_cbranch_execz .LBB6_425
; %bb.424:
	global_load_b32 v14, v[2:3], off offset:4
	s_xor_b32 s10, exec_lo, -1
	s_wait_loadcnt 0x0
	v_alignbit_b32 v14, v14, v13, 31
	s_delay_alu instid0(VALU_DEP_1)
	v_and_b32_e32 v14, 7, v14
.LBB6_425:
	s_wait_xcnt 0x0
	s_or_b32 exec_lo, exec_lo, s14
	s_delay_alu instid0(SALU_CYCLE_1)
	s_and_b32 s10, s10, exec_lo
	s_and_not1_saveexec_b32 s11, s11
	s_cbranch_execz .LBB6_116
.LBB6_426:
	v_cmp_ne_u32_e64 s0, 10, v7
	s_and_not1_b32 s10, s10, exec_lo
	s_mov_b32 s3, exec_lo
	s_and_b32 s0, s0, exec_lo
	s_delay_alu instid0(SALU_CYCLE_1) | instskip(SKIP_2) | instid1(SALU_CYCLE_1)
	s_or_b32 s10, s10, s0
	s_or_b32 exec_lo, exec_lo, s11
	s_and_saveexec_b32 s0, s10
	s_xor_b32 s0, exec_lo, s0
	s_cbranch_execz .LBB6_117
.LBB6_427:
                                        ; implicit-def: $vgpr14
	s_and_saveexec_b32 s10, s2
	s_delay_alu instid0(SALU_CYCLE_1)
	s_xor_b32 s10, exec_lo, s10
	s_cbranch_execz .LBB6_433
; %bb.428:
                                        ; implicit-def: $vgpr14
	s_and_saveexec_b32 s11, vcc_lo
	s_delay_alu instid0(SALU_CYCLE_1)
	s_xor_b32 s11, exec_lo, s11
	s_cbranch_execz .LBB6_430
; %bb.429:
	s_wait_loadcnt 0x0
	v_bfe_u32 v14, v13, v9, 3
.LBB6_430:
	s_and_not1_saveexec_b32 s11, s11
	s_cbranch_execz .LBB6_432
; %bb.431:
	s_wait_loadcnt 0x0
	v_bfe_u32 v14, v13, v6, 3
.LBB6_432:
	s_or_b32 exec_lo, exec_lo, s11
.LBB6_433:
	s_and_not1_saveexec_b32 s10, s10
	s_cbranch_execz .LBB6_435
; %bb.434:
	s_wait_loadcnt 0x0
	v_bfe_u32 v14, v13, v8, 3
.LBB6_435:
	s_or_b32 exec_lo, exec_lo, s10
	s_delay_alu instid0(SALU_CYCLE_1)
	s_and_not1_b32 s3, s3, exec_lo
	s_or_b32 exec_lo, exec_lo, s0
	s_and_saveexec_b32 s0, s3
	s_cbranch_execnz .LBB6_118
	s_branch .LBB6_119
.LBB6_436:
	s_mov_b32 s10, -1
	s_mov_b32 s14, exec_lo
                                        ; implicit-def: $vgpr14
	v_cmpx_eq_u32_e32 21, v7
	s_cbranch_execz .LBB6_438
; %bb.437:
	global_load_b32 v14, v[2:3], off offset:4
	s_xor_b32 s10, exec_lo, -1
	s_wait_loadcnt 0x0
	v_alignbit_b32 v14, v14, v13, 31
	s_delay_alu instid0(VALU_DEP_1)
	v_and_b32_e32 v14, 7, v14
.LBB6_438:
	s_wait_xcnt 0x0
	s_or_b32 exec_lo, exec_lo, s14
	s_delay_alu instid0(SALU_CYCLE_1)
	s_and_b32 s10, s10, exec_lo
	s_and_not1_saveexec_b32 s11, s11
	s_cbranch_execz .LBB6_121
.LBB6_439:
	v_cmp_ne_u32_e64 s0, 10, v7
	s_and_not1_b32 s10, s10, exec_lo
	s_mov_b32 s3, exec_lo
	s_and_b32 s0, s0, exec_lo
	s_delay_alu instid0(SALU_CYCLE_1) | instskip(SKIP_2) | instid1(SALU_CYCLE_1)
	s_or_b32 s10, s10, s0
	s_or_b32 exec_lo, exec_lo, s11
	s_and_saveexec_b32 s0, s10
	s_xor_b32 s0, exec_lo, s0
	s_cbranch_execz .LBB6_122
.LBB6_440:
                                        ; implicit-def: $vgpr14
	s_and_saveexec_b32 s10, s2
	s_delay_alu instid0(SALU_CYCLE_1)
	s_xor_b32 s10, exec_lo, s10
	s_cbranch_execz .LBB6_446
; %bb.441:
                                        ; implicit-def: $vgpr14
	s_and_saveexec_b32 s11, vcc_lo
	s_delay_alu instid0(SALU_CYCLE_1)
	s_xor_b32 s11, exec_lo, s11
	s_cbranch_execz .LBB6_443
; %bb.442:
	s_wait_loadcnt 0x0
	v_bfe_u32 v14, v13, v9, 3
.LBB6_443:
	s_and_not1_saveexec_b32 s11, s11
	s_cbranch_execz .LBB6_445
; %bb.444:
	s_wait_loadcnt 0x0
	v_bfe_u32 v14, v13, v6, 3
.LBB6_445:
	s_or_b32 exec_lo, exec_lo, s11
.LBB6_446:
	s_and_not1_saveexec_b32 s10, s10
	s_cbranch_execz .LBB6_448
; %bb.447:
	s_wait_loadcnt 0x0
	v_bfe_u32 v14, v13, v8, 3
.LBB6_448:
	s_or_b32 exec_lo, exec_lo, s10
	s_delay_alu instid0(SALU_CYCLE_1)
	s_and_not1_b32 s3, s3, exec_lo
	s_or_b32 exec_lo, exec_lo, s0
	s_and_saveexec_b32 s0, s3
	s_cbranch_execnz .LBB6_123
	s_branch .LBB6_124
.LBB6_449:
	s_mov_b32 s10, -1
	s_mov_b32 s14, exec_lo
                                        ; implicit-def: $vgpr13
	v_cmpx_eq_u32_e32 21, v7
	s_cbranch_execz .LBB6_451
; %bb.450:
	s_wait_loadcnt 0x2
	global_load_b32 v13, v[2:3], off offset:4
	s_xor_b32 s10, exec_lo, -1
	s_wait_loadcnt 0x0
	v_alignbit_b32 v13, v13, v12, 31
	s_delay_alu instid0(VALU_DEP_1)
	v_and_b32_e32 v13, 7, v13
.LBB6_451:
	s_wait_xcnt 0x0
	s_or_b32 exec_lo, exec_lo, s14
	s_delay_alu instid0(SALU_CYCLE_1)
	s_and_b32 s10, s10, exec_lo
	s_and_not1_saveexec_b32 s11, s11
	s_cbranch_execz .LBB6_126
.LBB6_452:
	v_cmp_ne_u32_e64 s0, 10, v7
	s_and_not1_b32 s10, s10, exec_lo
	s_mov_b32 s3, exec_lo
	s_and_b32 s0, s0, exec_lo
	s_delay_alu instid0(SALU_CYCLE_1) | instskip(SKIP_2) | instid1(SALU_CYCLE_1)
	s_or_b32 s10, s10, s0
	s_or_b32 exec_lo, exec_lo, s11
	s_and_saveexec_b32 s0, s10
	s_xor_b32 s0, exec_lo, s0
	s_cbranch_execz .LBB6_127
.LBB6_453:
                                        ; implicit-def: $vgpr13
	s_and_saveexec_b32 s10, s2
	s_delay_alu instid0(SALU_CYCLE_1)
	s_xor_b32 s10, exec_lo, s10
	s_cbranch_execz .LBB6_459
; %bb.454:
                                        ; implicit-def: $vgpr13
	s_and_saveexec_b32 s11, vcc_lo
	s_delay_alu instid0(SALU_CYCLE_1)
	s_xor_b32 s11, exec_lo, s11
	s_cbranch_execz .LBB6_456
; %bb.455:
	s_wait_loadcnt 0x0
	v_bfe_u32 v13, v12, v9, 3
.LBB6_456:
	s_and_not1_saveexec_b32 s11, s11
	s_cbranch_execz .LBB6_458
; %bb.457:
	s_wait_loadcnt 0x0
	v_bfe_u32 v13, v12, v6, 3
.LBB6_458:
	s_or_b32 exec_lo, exec_lo, s11
.LBB6_459:
	s_and_not1_saveexec_b32 s10, s10
	s_cbranch_execz .LBB6_461
; %bb.460:
	s_wait_loadcnt 0x0
	v_bfe_u32 v13, v12, v8, 3
.LBB6_461:
	s_or_b32 exec_lo, exec_lo, s10
	s_delay_alu instid0(SALU_CYCLE_1)
	s_and_not1_b32 s3, s3, exec_lo
	s_or_b32 exec_lo, exec_lo, s0
	s_and_saveexec_b32 s0, s3
	s_cbranch_execnz .LBB6_128
	s_branch .LBB6_129
.LBB6_462:
	s_mov_b32 s10, -1
	s_mov_b32 s14, exec_lo
                                        ; implicit-def: $vgpr13
	v_cmpx_eq_u32_e32 21, v7
	s_cbranch_execz .LBB6_464
; %bb.463:
	global_load_b32 v13, v[2:3], off offset:4
	s_xor_b32 s10, exec_lo, -1
	s_wait_loadcnt 0x0
	v_alignbit_b32 v13, v13, v12, 31
	s_delay_alu instid0(VALU_DEP_1)
	v_and_b32_e32 v13, 7, v13
.LBB6_464:
	s_wait_xcnt 0x0
	s_or_b32 exec_lo, exec_lo, s14
	s_delay_alu instid0(SALU_CYCLE_1)
	s_and_b32 s10, s10, exec_lo
	s_and_not1_saveexec_b32 s11, s11
	s_cbranch_execz .LBB6_131
.LBB6_465:
	v_cmp_ne_u32_e64 s0, 10, v7
	s_and_not1_b32 s10, s10, exec_lo
	s_mov_b32 s3, exec_lo
	s_and_b32 s0, s0, exec_lo
	s_delay_alu instid0(SALU_CYCLE_1) | instskip(SKIP_2) | instid1(SALU_CYCLE_1)
	s_or_b32 s10, s10, s0
	s_or_b32 exec_lo, exec_lo, s11
	s_and_saveexec_b32 s0, s10
	s_xor_b32 s0, exec_lo, s0
	s_cbranch_execz .LBB6_132
.LBB6_466:
                                        ; implicit-def: $vgpr13
	s_and_saveexec_b32 s10, s2
	s_delay_alu instid0(SALU_CYCLE_1)
	s_xor_b32 s10, exec_lo, s10
	s_cbranch_execz .LBB6_472
; %bb.467:
                                        ; implicit-def: $vgpr13
	s_and_saveexec_b32 s11, vcc_lo
	s_delay_alu instid0(SALU_CYCLE_1)
	s_xor_b32 s11, exec_lo, s11
	s_cbranch_execz .LBB6_469
; %bb.468:
	s_wait_loadcnt 0x0
	v_bfe_u32 v13, v12, v9, 3
.LBB6_469:
	s_and_not1_saveexec_b32 s11, s11
	s_cbranch_execz .LBB6_471
; %bb.470:
	s_wait_loadcnt 0x0
	v_bfe_u32 v13, v12, v6, 3
.LBB6_471:
	s_or_b32 exec_lo, exec_lo, s11
.LBB6_472:
	s_and_not1_saveexec_b32 s10, s10
	s_cbranch_execz .LBB6_474
; %bb.473:
	s_wait_loadcnt 0x0
	v_bfe_u32 v13, v12, v8, 3
.LBB6_474:
	s_or_b32 exec_lo, exec_lo, s10
	s_delay_alu instid0(SALU_CYCLE_1)
	s_and_not1_b32 s3, s3, exec_lo
	s_or_b32 exec_lo, exec_lo, s0
	s_and_saveexec_b32 s0, s3
	s_cbranch_execnz .LBB6_133
	s_branch .LBB6_134
.LBB6_475:
	s_mov_b32 s10, -1
	s_mov_b32 s14, exec_lo
                                        ; implicit-def: $vgpr13
	v_cmpx_eq_u32_e32 21, v7
	s_cbranch_execz .LBB6_477
; %bb.476:
	global_load_b32 v13, v[2:3], off offset:4
	s_xor_b32 s10, exec_lo, -1
	s_wait_loadcnt 0x0
	v_alignbit_b32 v13, v13, v12, 31
	s_delay_alu instid0(VALU_DEP_1)
	v_and_b32_e32 v13, 7, v13
.LBB6_477:
	s_wait_xcnt 0x0
	s_or_b32 exec_lo, exec_lo, s14
	s_delay_alu instid0(SALU_CYCLE_1)
	s_and_b32 s10, s10, exec_lo
	s_and_not1_saveexec_b32 s11, s11
	s_cbranch_execz .LBB6_136
.LBB6_478:
	v_cmp_ne_u32_e64 s0, 10, v7
	s_and_not1_b32 s10, s10, exec_lo
	s_mov_b32 s3, exec_lo
	s_and_b32 s0, s0, exec_lo
	s_delay_alu instid0(SALU_CYCLE_1) | instskip(SKIP_2) | instid1(SALU_CYCLE_1)
	s_or_b32 s10, s10, s0
	s_or_b32 exec_lo, exec_lo, s11
	s_and_saveexec_b32 s0, s10
	s_xor_b32 s0, exec_lo, s0
	s_cbranch_execz .LBB6_137
.LBB6_479:
                                        ; implicit-def: $vgpr13
	s_and_saveexec_b32 s10, s2
	s_delay_alu instid0(SALU_CYCLE_1)
	s_xor_b32 s10, exec_lo, s10
	s_cbranch_execz .LBB6_485
; %bb.480:
                                        ; implicit-def: $vgpr13
	s_and_saveexec_b32 s11, vcc_lo
	s_delay_alu instid0(SALU_CYCLE_1)
	s_xor_b32 s11, exec_lo, s11
	s_cbranch_execz .LBB6_482
; %bb.481:
	s_wait_loadcnt 0x0
	v_bfe_u32 v13, v12, v9, 3
.LBB6_482:
	s_and_not1_saveexec_b32 s11, s11
	s_cbranch_execz .LBB6_484
; %bb.483:
	s_wait_loadcnt 0x0
	v_bfe_u32 v13, v12, v6, 3
.LBB6_484:
	s_or_b32 exec_lo, exec_lo, s11
.LBB6_485:
	s_and_not1_saveexec_b32 s10, s10
	s_cbranch_execz .LBB6_487
; %bb.486:
	s_wait_loadcnt 0x0
	v_bfe_u32 v13, v12, v8, 3
.LBB6_487:
	s_or_b32 exec_lo, exec_lo, s10
	s_delay_alu instid0(SALU_CYCLE_1)
	s_and_not1_b32 s3, s3, exec_lo
	s_or_b32 exec_lo, exec_lo, s0
	s_and_saveexec_b32 s0, s3
	s_cbranch_execnz .LBB6_138
	s_branch .LBB6_139
.LBB6_488:
	s_mov_b32 s10, -1
	s_mov_b32 s14, exec_lo
                                        ; implicit-def: $vgpr13
	v_cmpx_eq_u32_e32 21, v7
	s_cbranch_execz .LBB6_490
; %bb.489:
	global_load_b32 v13, v[2:3], off offset:4
	s_xor_b32 s10, exec_lo, -1
	s_wait_loadcnt 0x0
	v_alignbit_b32 v13, v13, v12, 31
	s_delay_alu instid0(VALU_DEP_1)
	v_and_b32_e32 v13, 7, v13
.LBB6_490:
	s_wait_xcnt 0x0
	s_or_b32 exec_lo, exec_lo, s14
	s_delay_alu instid0(SALU_CYCLE_1)
	s_and_b32 s10, s10, exec_lo
	s_and_not1_saveexec_b32 s11, s11
	s_cbranch_execz .LBB6_141
.LBB6_491:
	v_cmp_ne_u32_e64 s0, 10, v7
	s_and_not1_b32 s10, s10, exec_lo
	s_mov_b32 s3, exec_lo
	s_and_b32 s0, s0, exec_lo
	s_delay_alu instid0(SALU_CYCLE_1) | instskip(SKIP_2) | instid1(SALU_CYCLE_1)
	s_or_b32 s10, s10, s0
	s_or_b32 exec_lo, exec_lo, s11
	s_and_saveexec_b32 s0, s10
	s_xor_b32 s0, exec_lo, s0
	s_cbranch_execz .LBB6_142
.LBB6_492:
                                        ; implicit-def: $vgpr13
	s_and_saveexec_b32 s10, s2
	s_delay_alu instid0(SALU_CYCLE_1)
	s_xor_b32 s10, exec_lo, s10
	s_cbranch_execz .LBB6_498
; %bb.493:
                                        ; implicit-def: $vgpr13
	s_and_saveexec_b32 s11, vcc_lo
	s_delay_alu instid0(SALU_CYCLE_1)
	s_xor_b32 s11, exec_lo, s11
	s_cbranch_execz .LBB6_495
; %bb.494:
	s_wait_loadcnt 0x0
	v_bfe_u32 v13, v12, v9, 3
.LBB6_495:
	s_and_not1_saveexec_b32 s11, s11
	s_cbranch_execz .LBB6_497
; %bb.496:
	s_wait_loadcnt 0x0
	v_bfe_u32 v13, v12, v6, 3
.LBB6_497:
	s_or_b32 exec_lo, exec_lo, s11
.LBB6_498:
	s_and_not1_saveexec_b32 s10, s10
	s_cbranch_execz .LBB6_500
; %bb.499:
	s_wait_loadcnt 0x0
	v_bfe_u32 v13, v12, v8, 3
.LBB6_500:
	s_or_b32 exec_lo, exec_lo, s10
	s_delay_alu instid0(SALU_CYCLE_1)
	s_and_not1_b32 s3, s3, exec_lo
	s_or_b32 exec_lo, exec_lo, s0
	s_and_saveexec_b32 s0, s3
	s_cbranch_execnz .LBB6_143
	s_branch .LBB6_144
.LBB6_501:
	s_mov_b32 s10, -1
	s_mov_b32 s14, exec_lo
                                        ; implicit-def: $vgpr13
	v_cmpx_eq_u32_e32 21, v7
	s_cbranch_execz .LBB6_503
; %bb.502:
	global_load_b32 v13, v[2:3], off offset:4
	s_xor_b32 s10, exec_lo, -1
	s_wait_loadcnt 0x0
	v_alignbit_b32 v13, v13, v12, 31
	s_delay_alu instid0(VALU_DEP_1)
	v_and_b32_e32 v13, 7, v13
.LBB6_503:
	s_wait_xcnt 0x0
	s_or_b32 exec_lo, exec_lo, s14
	s_delay_alu instid0(SALU_CYCLE_1)
	s_and_b32 s10, s10, exec_lo
	s_and_not1_saveexec_b32 s11, s11
	s_cbranch_execz .LBB6_146
.LBB6_504:
	v_cmp_ne_u32_e64 s0, 10, v7
	s_and_not1_b32 s10, s10, exec_lo
	s_mov_b32 s3, exec_lo
	s_and_b32 s0, s0, exec_lo
	s_delay_alu instid0(SALU_CYCLE_1) | instskip(SKIP_2) | instid1(SALU_CYCLE_1)
	s_or_b32 s10, s10, s0
	s_or_b32 exec_lo, exec_lo, s11
	s_and_saveexec_b32 s0, s10
	s_xor_b32 s0, exec_lo, s0
	s_cbranch_execz .LBB6_147
.LBB6_505:
                                        ; implicit-def: $vgpr13
	s_and_saveexec_b32 s10, s2
	s_delay_alu instid0(SALU_CYCLE_1)
	s_xor_b32 s10, exec_lo, s10
	s_cbranch_execz .LBB6_511
; %bb.506:
                                        ; implicit-def: $vgpr13
	s_and_saveexec_b32 s11, vcc_lo
	s_delay_alu instid0(SALU_CYCLE_1)
	s_xor_b32 s11, exec_lo, s11
	s_cbranch_execz .LBB6_508
; %bb.507:
	s_wait_loadcnt 0x0
	v_bfe_u32 v13, v12, v9, 3
.LBB6_508:
	s_and_not1_saveexec_b32 s11, s11
	s_cbranch_execz .LBB6_510
; %bb.509:
	s_wait_loadcnt 0x0
	v_bfe_u32 v13, v12, v6, 3
.LBB6_510:
	s_or_b32 exec_lo, exec_lo, s11
.LBB6_511:
	s_and_not1_saveexec_b32 s10, s10
	s_cbranch_execz .LBB6_513
; %bb.512:
	s_wait_loadcnt 0x0
	v_bfe_u32 v13, v12, v8, 3
.LBB6_513:
	s_or_b32 exec_lo, exec_lo, s10
	s_delay_alu instid0(SALU_CYCLE_1)
	s_and_not1_b32 s3, s3, exec_lo
	s_or_b32 exec_lo, exec_lo, s0
	s_and_saveexec_b32 s0, s3
	s_cbranch_execnz .LBB6_148
	s_branch .LBB6_149
.LBB6_514:
	s_mov_b32 s10, -1
	s_mov_b32 s14, exec_lo
                                        ; implicit-def: $vgpr13
	v_cmpx_eq_u32_e32 21, v7
	s_cbranch_execz .LBB6_516
; %bb.515:
	global_load_b32 v13, v[2:3], off offset:4
	s_xor_b32 s10, exec_lo, -1
	s_wait_loadcnt 0x0
	v_alignbit_b32 v13, v13, v12, 31
	s_delay_alu instid0(VALU_DEP_1)
	v_and_b32_e32 v13, 7, v13
.LBB6_516:
	s_wait_xcnt 0x0
	s_or_b32 exec_lo, exec_lo, s14
	s_delay_alu instid0(SALU_CYCLE_1)
	s_and_b32 s10, s10, exec_lo
	s_and_not1_saveexec_b32 s11, s11
	s_cbranch_execz .LBB6_151
.LBB6_517:
	v_cmp_ne_u32_e64 s0, 10, v7
	s_and_not1_b32 s10, s10, exec_lo
	s_mov_b32 s3, exec_lo
	s_and_b32 s0, s0, exec_lo
	s_delay_alu instid0(SALU_CYCLE_1) | instskip(SKIP_2) | instid1(SALU_CYCLE_1)
	s_or_b32 s10, s10, s0
	s_or_b32 exec_lo, exec_lo, s11
	s_and_saveexec_b32 s0, s10
	s_xor_b32 s0, exec_lo, s0
	s_cbranch_execz .LBB6_152
.LBB6_518:
                                        ; implicit-def: $vgpr13
	s_and_saveexec_b32 s10, s2
	s_delay_alu instid0(SALU_CYCLE_1)
	s_xor_b32 s10, exec_lo, s10
	s_cbranch_execz .LBB6_524
; %bb.519:
                                        ; implicit-def: $vgpr13
	s_and_saveexec_b32 s11, vcc_lo
	s_delay_alu instid0(SALU_CYCLE_1)
	s_xor_b32 s11, exec_lo, s11
	s_cbranch_execz .LBB6_521
; %bb.520:
	s_wait_loadcnt 0x0
	v_bfe_u32 v13, v12, v9, 3
.LBB6_521:
	s_and_not1_saveexec_b32 s11, s11
	s_cbranch_execz .LBB6_523
; %bb.522:
	s_wait_loadcnt 0x0
	v_bfe_u32 v13, v12, v6, 3
.LBB6_523:
	s_or_b32 exec_lo, exec_lo, s11
.LBB6_524:
	s_and_not1_saveexec_b32 s10, s10
	s_cbranch_execz .LBB6_526
; %bb.525:
	s_wait_loadcnt 0x0
	v_bfe_u32 v13, v12, v8, 3
.LBB6_526:
	s_or_b32 exec_lo, exec_lo, s10
	s_delay_alu instid0(SALU_CYCLE_1)
	s_and_not1_b32 s3, s3, exec_lo
	s_or_b32 exec_lo, exec_lo, s0
	s_and_saveexec_b32 s0, s3
	s_cbranch_execnz .LBB6_153
	s_branch .LBB6_154
.LBB6_527:
	s_mov_b32 s10, -1
	s_mov_b32 s14, exec_lo
                                        ; implicit-def: $vgpr13
	v_cmpx_eq_u32_e32 21, v7
	s_cbranch_execz .LBB6_529
; %bb.528:
	global_load_b32 v13, v[2:3], off offset:4
	s_xor_b32 s10, exec_lo, -1
	s_wait_loadcnt 0x0
	v_alignbit_b32 v13, v13, v12, 31
	s_delay_alu instid0(VALU_DEP_1)
	v_and_b32_e32 v13, 7, v13
.LBB6_529:
	s_wait_xcnt 0x0
	s_or_b32 exec_lo, exec_lo, s14
	s_delay_alu instid0(SALU_CYCLE_1)
	s_and_b32 s10, s10, exec_lo
	s_and_not1_saveexec_b32 s11, s11
	s_cbranch_execz .LBB6_156
.LBB6_530:
	v_cmp_ne_u32_e64 s0, 10, v7
	s_and_not1_b32 s10, s10, exec_lo
	s_mov_b32 s3, exec_lo
	s_and_b32 s0, s0, exec_lo
	s_delay_alu instid0(SALU_CYCLE_1) | instskip(SKIP_2) | instid1(SALU_CYCLE_1)
	s_or_b32 s10, s10, s0
	s_or_b32 exec_lo, exec_lo, s11
	s_and_saveexec_b32 s0, s10
	s_xor_b32 s0, exec_lo, s0
	s_cbranch_execz .LBB6_157
.LBB6_531:
                                        ; implicit-def: $vgpr13
	s_and_saveexec_b32 s10, s2
	s_delay_alu instid0(SALU_CYCLE_1)
	s_xor_b32 s10, exec_lo, s10
	s_cbranch_execz .LBB6_537
; %bb.532:
                                        ; implicit-def: $vgpr13
	s_and_saveexec_b32 s11, vcc_lo
	s_delay_alu instid0(SALU_CYCLE_1)
	s_xor_b32 s11, exec_lo, s11
	s_cbranch_execz .LBB6_534
; %bb.533:
	s_wait_loadcnt 0x0
	v_bfe_u32 v13, v12, v9, 3
.LBB6_534:
	s_and_not1_saveexec_b32 s11, s11
	s_cbranch_execz .LBB6_536
; %bb.535:
	s_wait_loadcnt 0x0
	v_bfe_u32 v13, v12, v6, 3
.LBB6_536:
	s_or_b32 exec_lo, exec_lo, s11
.LBB6_537:
	s_and_not1_saveexec_b32 s10, s10
	s_cbranch_execz .LBB6_539
; %bb.538:
	s_wait_loadcnt 0x0
	v_bfe_u32 v13, v12, v8, 3
.LBB6_539:
	s_or_b32 exec_lo, exec_lo, s10
	s_delay_alu instid0(SALU_CYCLE_1)
	s_and_not1_b32 s3, s3, exec_lo
	s_or_b32 exec_lo, exec_lo, s0
	s_and_saveexec_b32 s0, s3
	s_cbranch_execnz .LBB6_158
	s_branch .LBB6_159
.LBB6_540:
	s_mov_b32 s10, -1
	s_mov_b32 s14, exec_lo
                                        ; implicit-def: $vgpr13
	v_cmpx_eq_u32_e32 21, v7
	s_cbranch_execz .LBB6_542
; %bb.541:
	global_load_b32 v13, v[2:3], off offset:4
	s_xor_b32 s10, exec_lo, -1
	s_wait_loadcnt 0x0
	v_alignbit_b32 v13, v13, v12, 31
	s_delay_alu instid0(VALU_DEP_1)
	v_and_b32_e32 v13, 7, v13
.LBB6_542:
	s_wait_xcnt 0x0
	s_or_b32 exec_lo, exec_lo, s14
	s_delay_alu instid0(SALU_CYCLE_1)
	s_and_b32 s10, s10, exec_lo
	s_and_not1_saveexec_b32 s11, s11
	s_cbranch_execz .LBB6_161
.LBB6_543:
	v_cmp_ne_u32_e64 s0, 10, v7
	s_and_not1_b32 s10, s10, exec_lo
	s_mov_b32 s3, exec_lo
	s_and_b32 s0, s0, exec_lo
	s_delay_alu instid0(SALU_CYCLE_1) | instskip(SKIP_2) | instid1(SALU_CYCLE_1)
	s_or_b32 s10, s10, s0
	s_or_b32 exec_lo, exec_lo, s11
	s_and_saveexec_b32 s0, s10
	s_xor_b32 s0, exec_lo, s0
	s_cbranch_execz .LBB6_162
.LBB6_544:
                                        ; implicit-def: $vgpr13
	s_and_saveexec_b32 s10, s2
	s_delay_alu instid0(SALU_CYCLE_1)
	s_xor_b32 s10, exec_lo, s10
	s_cbranch_execz .LBB6_550
; %bb.545:
                                        ; implicit-def: $vgpr13
	s_and_saveexec_b32 s11, vcc_lo
	s_delay_alu instid0(SALU_CYCLE_1)
	s_xor_b32 s11, exec_lo, s11
	s_cbranch_execz .LBB6_547
; %bb.546:
	s_wait_loadcnt 0x0
	v_bfe_u32 v13, v12, v9, 3
.LBB6_547:
	s_and_not1_saveexec_b32 s11, s11
	s_cbranch_execz .LBB6_549
; %bb.548:
	s_wait_loadcnt 0x0
	v_bfe_u32 v13, v12, v6, 3
.LBB6_549:
	s_or_b32 exec_lo, exec_lo, s11
.LBB6_550:
	s_and_not1_saveexec_b32 s10, s10
	s_cbranch_execz .LBB6_552
; %bb.551:
	s_wait_loadcnt 0x0
	v_bfe_u32 v13, v12, v8, 3
.LBB6_552:
	s_or_b32 exec_lo, exec_lo, s10
	s_delay_alu instid0(SALU_CYCLE_1)
	s_and_not1_b32 s3, s3, exec_lo
	s_or_b32 exec_lo, exec_lo, s0
	s_and_saveexec_b32 s0, s3
	s_cbranch_execnz .LBB6_163
	s_branch .LBB6_164
.LBB6_553:
	s_mov_b32 s10, -1
	s_mov_b32 s14, exec_lo
                                        ; implicit-def: $vgpr13
	v_cmpx_eq_u32_e32 21, v7
	s_cbranch_execz .LBB6_555
; %bb.554:
	global_load_b32 v13, v[2:3], off offset:4
	s_xor_b32 s10, exec_lo, -1
	s_wait_loadcnt 0x0
	v_alignbit_b32 v13, v13, v12, 31
	s_delay_alu instid0(VALU_DEP_1)
	v_and_b32_e32 v13, 7, v13
.LBB6_555:
	s_wait_xcnt 0x0
	s_or_b32 exec_lo, exec_lo, s14
	s_delay_alu instid0(SALU_CYCLE_1)
	s_and_b32 s10, s10, exec_lo
	s_and_not1_saveexec_b32 s11, s11
	s_cbranch_execz .LBB6_166
.LBB6_556:
	v_cmp_ne_u32_e64 s0, 10, v7
	s_and_not1_b32 s10, s10, exec_lo
	s_mov_b32 s3, exec_lo
	s_and_b32 s0, s0, exec_lo
	s_delay_alu instid0(SALU_CYCLE_1) | instskip(SKIP_2) | instid1(SALU_CYCLE_1)
	s_or_b32 s10, s10, s0
	s_or_b32 exec_lo, exec_lo, s11
	s_and_saveexec_b32 s0, s10
	s_xor_b32 s0, exec_lo, s0
	s_cbranch_execz .LBB6_167
.LBB6_557:
                                        ; implicit-def: $vgpr13
	s_and_saveexec_b32 s10, s2
	s_delay_alu instid0(SALU_CYCLE_1)
	s_xor_b32 s10, exec_lo, s10
	s_cbranch_execz .LBB6_563
; %bb.558:
                                        ; implicit-def: $vgpr13
	s_and_saveexec_b32 s11, vcc_lo
	s_delay_alu instid0(SALU_CYCLE_1)
	s_xor_b32 s11, exec_lo, s11
	s_cbranch_execz .LBB6_560
; %bb.559:
	s_wait_loadcnt 0x0
	v_bfe_u32 v13, v12, v9, 3
.LBB6_560:
	s_and_not1_saveexec_b32 s11, s11
	s_cbranch_execz .LBB6_562
; %bb.561:
	s_wait_loadcnt 0x0
	v_bfe_u32 v13, v12, v6, 3
.LBB6_562:
	s_or_b32 exec_lo, exec_lo, s11
.LBB6_563:
	s_and_not1_saveexec_b32 s10, s10
	s_cbranch_execz .LBB6_565
; %bb.564:
	s_wait_loadcnt 0x0
	v_bfe_u32 v13, v12, v8, 3
.LBB6_565:
	s_or_b32 exec_lo, exec_lo, s10
	s_delay_alu instid0(SALU_CYCLE_1)
	s_and_not1_b32 s3, s3, exec_lo
	s_or_b32 exec_lo, exec_lo, s0
	s_and_saveexec_b32 s0, s3
	s_cbranch_execnz .LBB6_168
	s_branch .LBB6_169
.LBB6_566:
	s_mov_b32 s4, -1
	s_mov_b32 s6, exec_lo
                                        ; implicit-def: $vgpr11
	v_cmpx_eq_u32_e32 21, v7
	s_cbranch_execz .LBB6_568
; %bb.567:
	global_load_b32 v7, v[2:3], off offset:4
	s_xor_b32 s4, exec_lo, -1
	s_wait_loadcnt 0x0
	v_alignbit_b32 v7, v7, v10, 31
	s_delay_alu instid0(VALU_DEP_1)
	v_and_b32_e32 v11, 7, v7
.LBB6_568:
	s_wait_xcnt 0x0
	s_or_b32 exec_lo, exec_lo, s6
	s_delay_alu instid0(SALU_CYCLE_1)
	s_and_b32 s4, s4, exec_lo
                                        ; implicit-def: $vgpr7
	s_and_not1_saveexec_b32 s5, s5
	s_cbranch_execz .LBB6_171
.LBB6_569:
	v_cmp_ne_u32_e64 s0, 10, v7
	s_and_not1_b32 s4, s4, exec_lo
	s_mov_b32 s3, exec_lo
	s_and_b32 s0, s0, exec_lo
	s_delay_alu instid0(SALU_CYCLE_1) | instskip(SKIP_2) | instid1(SALU_CYCLE_1)
	s_or_b32 s4, s4, s0
	s_or_b32 exec_lo, exec_lo, s5
	s_and_saveexec_b32 s0, s4
	s_xor_b32 s0, exec_lo, s0
	s_cbranch_execz .LBB6_172
.LBB6_570:
                                        ; implicit-def: $vgpr11
	s_and_saveexec_b32 s4, s2
	s_delay_alu instid0(SALU_CYCLE_1)
	s_xor_b32 s2, exec_lo, s4
	s_cbranch_execz .LBB6_576
; %bb.571:
                                        ; implicit-def: $vgpr11
	s_and_saveexec_b32 s4, vcc_lo
	s_delay_alu instid0(SALU_CYCLE_1)
	s_xor_b32 s4, exec_lo, s4
	s_cbranch_execz .LBB6_573
; %bb.572:
	s_wait_loadcnt 0x0
	v_bfe_u32 v11, v10, v9, 3
                                        ; implicit-def: $vgpr6
.LBB6_573:
	s_and_not1_saveexec_b32 s4, s4
	s_cbranch_execz .LBB6_575
; %bb.574:
	s_wait_loadcnt 0x0
	v_bfe_u32 v11, v10, v6, 3
.LBB6_575:
	s_or_b32 exec_lo, exec_lo, s4
                                        ; implicit-def: $vgpr8
.LBB6_576:
	s_and_not1_saveexec_b32 s2, s2
	s_cbranch_execz .LBB6_578
; %bb.577:
	s_wait_loadcnt 0x0
	v_bfe_u32 v11, v10, v8, 3
.LBB6_578:
	s_or_b32 exec_lo, exec_lo, s2
	s_delay_alu instid0(SALU_CYCLE_1)
	s_and_not1_b32 s3, s3, exec_lo
	s_or_b32 exec_lo, exec_lo, s0
	s_and_saveexec_b32 s0, s3
	s_cbranch_execnz .LBB6_173
	s_branch .LBB6_174
	.section	.rodata,"a",@progbits
	.p2align	6, 0x0
	.amdhsa_kernel _ZN4vllm4gptq28reconstruct_gptq_3bit_kernelEPKjPK6__halfS2_PKiiiibPS3_
		.amdhsa_group_segment_fixed_size 0
		.amdhsa_private_segment_fixed_size 0
		.amdhsa_kernarg_size 56
		.amdhsa_user_sgpr_count 2
		.amdhsa_user_sgpr_dispatch_ptr 0
		.amdhsa_user_sgpr_queue_ptr 0
		.amdhsa_user_sgpr_kernarg_segment_ptr 1
		.amdhsa_user_sgpr_dispatch_id 0
		.amdhsa_user_sgpr_kernarg_preload_length 0
		.amdhsa_user_sgpr_kernarg_preload_offset 0
		.amdhsa_user_sgpr_private_segment_size 0
		.amdhsa_wavefront_size32 1
		.amdhsa_uses_dynamic_stack 0
		.amdhsa_enable_private_segment 0
		.amdhsa_system_sgpr_workgroup_id_x 1
		.amdhsa_system_sgpr_workgroup_id_y 1
		.amdhsa_system_sgpr_workgroup_id_z 0
		.amdhsa_system_sgpr_workgroup_info 0
		.amdhsa_system_vgpr_workitem_id 0
		.amdhsa_next_free_vgpr 16
		.amdhsa_next_free_sgpr 19
		.amdhsa_named_barrier_count 0
		.amdhsa_reserve_vcc 1
		.amdhsa_float_round_mode_32 0
		.amdhsa_float_round_mode_16_64 0
		.amdhsa_float_denorm_mode_32 3
		.amdhsa_float_denorm_mode_16_64 3
		.amdhsa_fp16_overflow 0
		.amdhsa_memory_ordered 1
		.amdhsa_forward_progress 1
		.amdhsa_inst_pref_size 127
		.amdhsa_round_robin_scheduling 0
		.amdhsa_exception_fp_ieee_invalid_op 0
		.amdhsa_exception_fp_denorm_src 0
		.amdhsa_exception_fp_ieee_div_zero 0
		.amdhsa_exception_fp_ieee_overflow 0
		.amdhsa_exception_fp_ieee_underflow 0
		.amdhsa_exception_fp_ieee_inexact 0
		.amdhsa_exception_int_div_zero 0
	.end_amdhsa_kernel
	.text
.Lfunc_end6:
	.size	_ZN4vllm4gptq28reconstruct_gptq_3bit_kernelEPKjPK6__halfS2_PKiiiibPS3_, .Lfunc_end6-_ZN4vllm4gptq28reconstruct_gptq_3bit_kernelEPKjPK6__halfS2_PKiiiibPS3_
                                        ; -- End function
	.set _ZN4vllm4gptq28reconstruct_gptq_3bit_kernelEPKjPK6__halfS2_PKiiiibPS3_.num_vgpr, 16
	.set _ZN4vllm4gptq28reconstruct_gptq_3bit_kernelEPKjPK6__halfS2_PKiiiibPS3_.num_agpr, 0
	.set _ZN4vllm4gptq28reconstruct_gptq_3bit_kernelEPKjPK6__halfS2_PKiiiibPS3_.numbered_sgpr, 19
	.set _ZN4vllm4gptq28reconstruct_gptq_3bit_kernelEPKjPK6__halfS2_PKiiiibPS3_.num_named_barrier, 0
	.set _ZN4vllm4gptq28reconstruct_gptq_3bit_kernelEPKjPK6__halfS2_PKiiiibPS3_.private_seg_size, 0
	.set _ZN4vllm4gptq28reconstruct_gptq_3bit_kernelEPKjPK6__halfS2_PKiiiibPS3_.uses_vcc, 1
	.set _ZN4vllm4gptq28reconstruct_gptq_3bit_kernelEPKjPK6__halfS2_PKiiiibPS3_.uses_flat_scratch, 0
	.set _ZN4vllm4gptq28reconstruct_gptq_3bit_kernelEPKjPK6__halfS2_PKiiiibPS3_.has_dyn_sized_stack, 0
	.set _ZN4vllm4gptq28reconstruct_gptq_3bit_kernelEPKjPK6__halfS2_PKiiiibPS3_.has_recursion, 0
	.set _ZN4vllm4gptq28reconstruct_gptq_3bit_kernelEPKjPK6__halfS2_PKiiiibPS3_.has_indirect_call, 0
	.section	.AMDGPU.csdata,"",@progbits
; Kernel info:
; codeLenInByte = 16252
; TotalNumSgprs: 21
; NumVgprs: 16
; ScratchSize: 0
; MemoryBound: 0
; FloatMode: 240
; IeeeMode: 1
; LDSByteSize: 0 bytes/workgroup (compile time only)
; SGPRBlocks: 0
; VGPRBlocks: 0
; NumSGPRsForWavesPerEU: 21
; NumVGPRsForWavesPerEU: 16
; NamedBarCnt: 0
; Occupancy: 16
; WaveLimiterHint : 1
; COMPUTE_PGM_RSRC2:SCRATCH_EN: 0
; COMPUTE_PGM_RSRC2:USER_SGPR: 2
; COMPUTE_PGM_RSRC2:TRAP_HANDLER: 0
; COMPUTE_PGM_RSRC2:TGID_X_EN: 1
; COMPUTE_PGM_RSRC2:TGID_Y_EN: 1
; COMPUTE_PGM_RSRC2:TGID_Z_EN: 0
; COMPUTE_PGM_RSRC2:TIDIG_COMP_CNT: 0
	.text
	.protected	_ZN4vllm4gptq19shuffle_4bit_kernelEPjii ; -- Begin function _ZN4vllm4gptq19shuffle_4bit_kernelEPjii
	.globl	_ZN4vllm4gptq19shuffle_4bit_kernelEPjii
	.p2align	8
	.type	_ZN4vllm4gptq19shuffle_4bit_kernelEPjii,@function
_ZN4vllm4gptq19shuffle_4bit_kernelEPjii: ; @_ZN4vllm4gptq19shuffle_4bit_kernelEPjii
; %bb.0:
	s_load_b64 s[2:3], s[0:1], 0x8
	s_bfe_u32 s4, ttmp6, 0x4000c
	s_and_b32 s5, ttmp6, 15
	s_add_co_i32 s4, s4, 1
	s_getreg_b32 s6, hwreg(HW_REG_IB_STS2, 6, 4)
	s_mul_i32 s4, ttmp9, s4
	s_delay_alu instid0(SALU_CYCLE_1) | instskip(SKIP_2) | instid1(SALU_CYCLE_1)
	s_add_co_i32 s5, s5, s4
	s_cmp_eq_u32 s6, 0
	s_cselect_b32 s4, ttmp9, s5
	v_lshl_add_u32 v0, s4, 5, v0
	s_mov_b32 s4, 0
	s_wait_kmcnt 0x0
	s_delay_alu instid0(VALU_DEP_1) | instskip(SKIP_2) | instid1(SALU_CYCLE_1)
	v_cmp_gt_u32_e32 vcc_lo, s3, v0
	s_cmp_gt_i32 s2, 0
	s_cselect_b32 s5, -1, 0
	s_and_b32 s5, vcc_lo, s5
	s_delay_alu instid0(SALU_CYCLE_1)
	s_and_saveexec_b32 s6, s5
	s_cbranch_execz .LBB7_3
; %bb.1:
	s_load_b64 s[0:1], s[0:1], 0x0
	v_mov_b32_e32 v1, 0
	s_wait_kmcnt 0x0
	s_delay_alu instid0(VALU_DEP_1) | instskip(SKIP_2) | instid1(SALU_CYCLE_1)
	v_lshl_add_u64 v[0:1], v[0:1], 2, s[0:1]
	s_ashr_i32 s1, s3, 31
	s_mov_b32 s0, s3
	s_lshl_b64 s[0:1], s[0:1], 2
.LBB7_2:                                ; =>This Inner Loop Header: Depth=1
	global_load_b32 v2, v[0:1], off
	s_add_co_i32 s4, s4, 8
	s_delay_alu instid0(SALU_CYCLE_1) | instskip(SKIP_4) | instid1(VALU_DEP_3)
	s_cmp_lt_i32 s4, s2
	s_wait_loadcnt 0x0
	v_dual_lshrrev_b32 v3, 8, v2 :: v_dual_lshrrev_b32 v4, 12, v2
	v_dual_lshrrev_b32 v5, 4, v2 :: v_dual_lshlrev_b32 v6, 4, v2
	v_and_b32_e32 v7, 0xf000000f, v2
	v_and_b32_e32 v3, 0xf00, v3
	s_delay_alu instid0(VALU_DEP_4) | instskip(SKIP_3) | instid1(VALU_DEP_4)
	v_and_b32_e32 v4, 0xf000, v4
	v_dual_lshlrev_b32 v8, 12, v2 :: v_dual_lshlrev_b32 v2, 8, v2
	v_and_b32_e32 v5, 0xf0, v5
	v_and_b32_e32 v6, 0xf000000, v6
	v_or3_b32 v3, v7, v4, v3
	s_delay_alu instid0(VALU_DEP_4) | instskip(SKIP_1) | instid1(VALU_DEP_3)
	v_and_b32_e32 v4, 0xf0000, v8
	v_and_b32_e32 v2, 0xf00000, v2
	v_or3_b32 v3, v3, v6, v5
	s_delay_alu instid0(VALU_DEP_1)
	v_or3_b32 v2, v3, v2, v4
	global_store_b32 v[0:1], v2, off
	s_wait_xcnt 0x0
	v_add_nc_u64_e32 v[0:1], s[0:1], v[0:1]
	s_cbranch_scc1 .LBB7_2
.LBB7_3:
	s_endpgm
	.section	.rodata,"a",@progbits
	.p2align	6, 0x0
	.amdhsa_kernel _ZN4vllm4gptq19shuffle_4bit_kernelEPjii
		.amdhsa_group_segment_fixed_size 0
		.amdhsa_private_segment_fixed_size 0
		.amdhsa_kernarg_size 16
		.amdhsa_user_sgpr_count 2
		.amdhsa_user_sgpr_dispatch_ptr 0
		.amdhsa_user_sgpr_queue_ptr 0
		.amdhsa_user_sgpr_kernarg_segment_ptr 1
		.amdhsa_user_sgpr_dispatch_id 0
		.amdhsa_user_sgpr_kernarg_preload_length 0
		.amdhsa_user_sgpr_kernarg_preload_offset 0
		.amdhsa_user_sgpr_private_segment_size 0
		.amdhsa_wavefront_size32 1
		.amdhsa_uses_dynamic_stack 0
		.amdhsa_enable_private_segment 0
		.amdhsa_system_sgpr_workgroup_id_x 1
		.amdhsa_system_sgpr_workgroup_id_y 0
		.amdhsa_system_sgpr_workgroup_id_z 0
		.amdhsa_system_sgpr_workgroup_info 0
		.amdhsa_system_vgpr_workitem_id 0
		.amdhsa_next_free_vgpr 9
		.amdhsa_next_free_sgpr 7
		.amdhsa_named_barrier_count 0
		.amdhsa_reserve_vcc 1
		.amdhsa_float_round_mode_32 0
		.amdhsa_float_round_mode_16_64 0
		.amdhsa_float_denorm_mode_32 3
		.amdhsa_float_denorm_mode_16_64 3
		.amdhsa_fp16_overflow 0
		.amdhsa_memory_ordered 1
		.amdhsa_forward_progress 1
		.amdhsa_inst_pref_size 3
		.amdhsa_round_robin_scheduling 0
		.amdhsa_exception_fp_ieee_invalid_op 0
		.amdhsa_exception_fp_denorm_src 0
		.amdhsa_exception_fp_ieee_div_zero 0
		.amdhsa_exception_fp_ieee_overflow 0
		.amdhsa_exception_fp_ieee_underflow 0
		.amdhsa_exception_fp_ieee_inexact 0
		.amdhsa_exception_int_div_zero 0
	.end_amdhsa_kernel
	.text
.Lfunc_end7:
	.size	_ZN4vllm4gptq19shuffle_4bit_kernelEPjii, .Lfunc_end7-_ZN4vllm4gptq19shuffle_4bit_kernelEPjii
                                        ; -- End function
	.set _ZN4vllm4gptq19shuffle_4bit_kernelEPjii.num_vgpr, 9
	.set _ZN4vllm4gptq19shuffle_4bit_kernelEPjii.num_agpr, 0
	.set _ZN4vllm4gptq19shuffle_4bit_kernelEPjii.numbered_sgpr, 7
	.set _ZN4vllm4gptq19shuffle_4bit_kernelEPjii.num_named_barrier, 0
	.set _ZN4vllm4gptq19shuffle_4bit_kernelEPjii.private_seg_size, 0
	.set _ZN4vllm4gptq19shuffle_4bit_kernelEPjii.uses_vcc, 1
	.set _ZN4vllm4gptq19shuffle_4bit_kernelEPjii.uses_flat_scratch, 0
	.set _ZN4vllm4gptq19shuffle_4bit_kernelEPjii.has_dyn_sized_stack, 0
	.set _ZN4vllm4gptq19shuffle_4bit_kernelEPjii.has_recursion, 0
	.set _ZN4vllm4gptq19shuffle_4bit_kernelEPjii.has_indirect_call, 0
	.section	.AMDGPU.csdata,"",@progbits
; Kernel info:
; codeLenInByte = 320
; TotalNumSgprs: 9
; NumVgprs: 9
; ScratchSize: 0
; MemoryBound: 0
; FloatMode: 240
; IeeeMode: 1
; LDSByteSize: 0 bytes/workgroup (compile time only)
; SGPRBlocks: 0
; VGPRBlocks: 0
; NumSGPRsForWavesPerEU: 9
; NumVGPRsForWavesPerEU: 9
; NamedBarCnt: 0
; Occupancy: 16
; WaveLimiterHint : 0
; COMPUTE_PGM_RSRC2:SCRATCH_EN: 0
; COMPUTE_PGM_RSRC2:USER_SGPR: 2
; COMPUTE_PGM_RSRC2:TRAP_HANDLER: 0
; COMPUTE_PGM_RSRC2:TGID_X_EN: 1
; COMPUTE_PGM_RSRC2:TGID_Y_EN: 0
; COMPUTE_PGM_RSRC2:TGID_Z_EN: 0
; COMPUTE_PGM_RSRC2:TIDIG_COMP_CNT: 0
	.text
	.protected	_ZN4vllm4gptq19shuffle_8bit_kernelEPjii ; -- Begin function _ZN4vllm4gptq19shuffle_8bit_kernelEPjii
	.globl	_ZN4vllm4gptq19shuffle_8bit_kernelEPjii
	.p2align	8
	.type	_ZN4vllm4gptq19shuffle_8bit_kernelEPjii,@function
_ZN4vllm4gptq19shuffle_8bit_kernelEPjii: ; @_ZN4vllm4gptq19shuffle_8bit_kernelEPjii
; %bb.0:
	s_endpgm
	.section	.rodata,"a",@progbits
	.p2align	6, 0x0
	.amdhsa_kernel _ZN4vllm4gptq19shuffle_8bit_kernelEPjii
		.amdhsa_group_segment_fixed_size 0
		.amdhsa_private_segment_fixed_size 0
		.amdhsa_kernarg_size 16
		.amdhsa_user_sgpr_count 2
		.amdhsa_user_sgpr_dispatch_ptr 0
		.amdhsa_user_sgpr_queue_ptr 0
		.amdhsa_user_sgpr_kernarg_segment_ptr 1
		.amdhsa_user_sgpr_dispatch_id 0
		.amdhsa_user_sgpr_kernarg_preload_length 0
		.amdhsa_user_sgpr_kernarg_preload_offset 0
		.amdhsa_user_sgpr_private_segment_size 0
		.amdhsa_wavefront_size32 1
		.amdhsa_uses_dynamic_stack 0
		.amdhsa_enable_private_segment 0
		.amdhsa_system_sgpr_workgroup_id_x 1
		.amdhsa_system_sgpr_workgroup_id_y 0
		.amdhsa_system_sgpr_workgroup_id_z 0
		.amdhsa_system_sgpr_workgroup_info 0
		.amdhsa_system_vgpr_workitem_id 0
		.amdhsa_next_free_vgpr 1
		.amdhsa_next_free_sgpr 1
		.amdhsa_named_barrier_count 0
		.amdhsa_reserve_vcc 0
		.amdhsa_float_round_mode_32 0
		.amdhsa_float_round_mode_16_64 0
		.amdhsa_float_denorm_mode_32 3
		.amdhsa_float_denorm_mode_16_64 3
		.amdhsa_fp16_overflow 0
		.amdhsa_memory_ordered 1
		.amdhsa_forward_progress 1
		.amdhsa_inst_pref_size 1
		.amdhsa_round_robin_scheduling 0
		.amdhsa_exception_fp_ieee_invalid_op 0
		.amdhsa_exception_fp_denorm_src 0
		.amdhsa_exception_fp_ieee_div_zero 0
		.amdhsa_exception_fp_ieee_overflow 0
		.amdhsa_exception_fp_ieee_underflow 0
		.amdhsa_exception_fp_ieee_inexact 0
		.amdhsa_exception_int_div_zero 0
	.end_amdhsa_kernel
	.text
.Lfunc_end8:
	.size	_ZN4vllm4gptq19shuffle_8bit_kernelEPjii, .Lfunc_end8-_ZN4vllm4gptq19shuffle_8bit_kernelEPjii
                                        ; -- End function
	.set _ZN4vllm4gptq19shuffle_8bit_kernelEPjii.num_vgpr, 0
	.set _ZN4vllm4gptq19shuffle_8bit_kernelEPjii.num_agpr, 0
	.set _ZN4vllm4gptq19shuffle_8bit_kernelEPjii.numbered_sgpr, 0
	.set _ZN4vllm4gptq19shuffle_8bit_kernelEPjii.num_named_barrier, 0
	.set _ZN4vllm4gptq19shuffle_8bit_kernelEPjii.private_seg_size, 0
	.set _ZN4vllm4gptq19shuffle_8bit_kernelEPjii.uses_vcc, 0
	.set _ZN4vllm4gptq19shuffle_8bit_kernelEPjii.uses_flat_scratch, 0
	.set _ZN4vllm4gptq19shuffle_8bit_kernelEPjii.has_dyn_sized_stack, 0
	.set _ZN4vllm4gptq19shuffle_8bit_kernelEPjii.has_recursion, 0
	.set _ZN4vllm4gptq19shuffle_8bit_kernelEPjii.has_indirect_call, 0
	.section	.AMDGPU.csdata,"",@progbits
; Kernel info:
; codeLenInByte = 4
; TotalNumSgprs: 0
; NumVgprs: 0
; ScratchSize: 0
; MemoryBound: 0
; FloatMode: 240
; IeeeMode: 1
; LDSByteSize: 0 bytes/workgroup (compile time only)
; SGPRBlocks: 0
; VGPRBlocks: 0
; NumSGPRsForWavesPerEU: 1
; NumVGPRsForWavesPerEU: 1
; NamedBarCnt: 0
; Occupancy: 16
; WaveLimiterHint : 0
; COMPUTE_PGM_RSRC2:SCRATCH_EN: 0
; COMPUTE_PGM_RSRC2:USER_SGPR: 2
; COMPUTE_PGM_RSRC2:TRAP_HANDLER: 0
; COMPUTE_PGM_RSRC2:TGID_X_EN: 1
; COMPUTE_PGM_RSRC2:TGID_Y_EN: 0
; COMPUTE_PGM_RSRC2:TGID_Z_EN: 0
; COMPUTE_PGM_RSRC2:TIDIG_COMP_CNT: 0
	.text
	.protected	_ZN4vllm4gptq19shuffle_2bit_kernelEPjii ; -- Begin function _ZN4vllm4gptq19shuffle_2bit_kernelEPjii
	.globl	_ZN4vllm4gptq19shuffle_2bit_kernelEPjii
	.p2align	8
	.type	_ZN4vllm4gptq19shuffle_2bit_kernelEPjii,@function
_ZN4vllm4gptq19shuffle_2bit_kernelEPjii: ; @_ZN4vllm4gptq19shuffle_2bit_kernelEPjii
; %bb.0:
	s_load_b64 s[2:3], s[0:1], 0x8
	s_bfe_u32 s4, ttmp6, 0x4000c
	s_and_b32 s5, ttmp6, 15
	s_add_co_i32 s4, s4, 1
	s_getreg_b32 s6, hwreg(HW_REG_IB_STS2, 6, 4)
	s_mul_i32 s4, ttmp9, s4
	s_delay_alu instid0(SALU_CYCLE_1) | instskip(SKIP_2) | instid1(SALU_CYCLE_1)
	s_add_co_i32 s5, s5, s4
	s_cmp_eq_u32 s6, 0
	s_cselect_b32 s4, ttmp9, s5
	v_lshl_add_u32 v0, s4, 5, v0
	s_mov_b32 s4, 0
	s_wait_kmcnt 0x0
	s_delay_alu instid0(VALU_DEP_1) | instskip(SKIP_2) | instid1(SALU_CYCLE_1)
	v_cmp_gt_u32_e32 vcc_lo, s3, v0
	s_cmp_gt_i32 s2, 0
	s_cselect_b32 s5, -1, 0
	s_and_b32 s5, vcc_lo, s5
	s_delay_alu instid0(SALU_CYCLE_1)
	s_and_saveexec_b32 s6, s5
	s_cbranch_execz .LBB9_3
; %bb.1:
	s_load_b64 s[0:1], s[0:1], 0x0
	v_mov_b32_e32 v1, 0
	s_wait_kmcnt 0x0
	s_delay_alu instid0(VALU_DEP_1) | instskip(SKIP_2) | instid1(SALU_CYCLE_1)
	v_lshl_add_u64 v[0:1], v[0:1], 2, s[0:1]
	s_ashr_i32 s1, s3, 31
	s_mov_b32 s0, s3
	s_lshl_b64 s[0:1], s[0:1], 2
.LBB9_2:                                ; =>This Inner Loop Header: Depth=1
	global_load_b32 v2, v[0:1], off
	s_add_co_i32 s4, s4, 16
	s_delay_alu instid0(SALU_CYCLE_1) | instskip(SKIP_4) | instid1(VALU_DEP_3)
	s_cmp_lt_i32 s4, s2
	s_wait_loadcnt 0x0
	v_dual_lshrrev_b32 v3, 12, v2 :: v_dual_lshrrev_b32 v4, 14, v2
	v_dual_lshrrev_b32 v5, 10, v2 :: v_dual_lshlrev_b32 v6, 2, v2
	v_and_b32_e32 v7, 0xc0000003, v2
	v_and_b32_e32 v3, 0x3000, v3
	s_delay_alu instid0(VALU_DEP_4) | instskip(SKIP_3) | instid1(VALU_DEP_4)
	v_and_b32_e32 v4, 0xc000, v4
	v_dual_lshrrev_b32 v8, 8, v2 :: v_dual_lshlrev_b32 v9, 4, v2
	v_and_b32_e32 v5, 0xc00, v5
	v_and_b32_e32 v6, 0x30000000, v6
	v_or3_b32 v3, v7, v4, v3
	v_dual_lshrrev_b32 v4, 6, v2 :: v_dual_lshlrev_b32 v7, 6, v2
	v_and_b32_e32 v8, 0x300, v8
	v_and_b32_e32 v9, 0xc000000, v9
	s_delay_alu instid0(VALU_DEP_4) | instskip(SKIP_3) | instid1(VALU_DEP_4)
	v_or3_b32 v3, v3, v6, v5
	v_dual_lshrrev_b32 v5, 4, v2 :: v_dual_lshlrev_b32 v6, 8, v2
	v_and_b32_e32 v4, 0xc0, v4
	v_and_b32_e32 v7, 0x3000000, v7
	v_or3_b32 v3, v3, v9, v8
	v_dual_lshrrev_b32 v8, 2, v2 :: v_dual_lshlrev_b32 v9, 10, v2
	v_and_b32_e32 v5, 48, v5
	v_and_b32_e32 v6, 0xc00000, v6
	s_delay_alu instid0(VALU_DEP_4) | instskip(SKIP_3) | instid1(VALU_DEP_4)
	v_or3_b32 v3, v3, v7, v4
	v_dual_lshlrev_b32 v4, 14, v2 :: v_dual_lshlrev_b32 v2, 12, v2
	v_and_b32_e32 v7, 12, v8
	v_and_b32_e32 v8, 0x300000, v9
	v_or3_b32 v3, v3, v6, v5
	s_delay_alu instid0(VALU_DEP_4) | instskip(SKIP_1) | instid1(VALU_DEP_3)
	v_and_b32_e32 v4, 0x30000, v4
	v_and_b32_e32 v2, 0xc0000, v2
	v_or3_b32 v3, v3, v8, v7
	s_delay_alu instid0(VALU_DEP_1)
	v_or3_b32 v2, v3, v2, v4
	global_store_b32 v[0:1], v2, off
	s_wait_xcnt 0x0
	v_add_nc_u64_e32 v[0:1], s[0:1], v[0:1]
	s_cbranch_scc1 .LBB9_2
.LBB9_3:
	s_endpgm
	.section	.rodata,"a",@progbits
	.p2align	6, 0x0
	.amdhsa_kernel _ZN4vllm4gptq19shuffle_2bit_kernelEPjii
		.amdhsa_group_segment_fixed_size 0
		.amdhsa_private_segment_fixed_size 0
		.amdhsa_kernarg_size 16
		.amdhsa_user_sgpr_count 2
		.amdhsa_user_sgpr_dispatch_ptr 0
		.amdhsa_user_sgpr_queue_ptr 0
		.amdhsa_user_sgpr_kernarg_segment_ptr 1
		.amdhsa_user_sgpr_dispatch_id 0
		.amdhsa_user_sgpr_kernarg_preload_length 0
		.amdhsa_user_sgpr_kernarg_preload_offset 0
		.amdhsa_user_sgpr_private_segment_size 0
		.amdhsa_wavefront_size32 1
		.amdhsa_uses_dynamic_stack 0
		.amdhsa_enable_private_segment 0
		.amdhsa_system_sgpr_workgroup_id_x 1
		.amdhsa_system_sgpr_workgroup_id_y 0
		.amdhsa_system_sgpr_workgroup_id_z 0
		.amdhsa_system_sgpr_workgroup_info 0
		.amdhsa_system_vgpr_workitem_id 0
		.amdhsa_next_free_vgpr 10
		.amdhsa_next_free_sgpr 7
		.amdhsa_named_barrier_count 0
		.amdhsa_reserve_vcc 1
		.amdhsa_float_round_mode_32 0
		.amdhsa_float_round_mode_16_64 0
		.amdhsa_float_denorm_mode_32 3
		.amdhsa_float_denorm_mode_16_64 3
		.amdhsa_fp16_overflow 0
		.amdhsa_memory_ordered 1
		.amdhsa_forward_progress 1
		.amdhsa_inst_pref_size 4
		.amdhsa_round_robin_scheduling 0
		.amdhsa_exception_fp_ieee_invalid_op 0
		.amdhsa_exception_fp_denorm_src 0
		.amdhsa_exception_fp_ieee_div_zero 0
		.amdhsa_exception_fp_ieee_overflow 0
		.amdhsa_exception_fp_ieee_underflow 0
		.amdhsa_exception_fp_ieee_inexact 0
		.amdhsa_exception_int_div_zero 0
	.end_amdhsa_kernel
	.text
.Lfunc_end9:
	.size	_ZN4vllm4gptq19shuffle_2bit_kernelEPjii, .Lfunc_end9-_ZN4vllm4gptq19shuffle_2bit_kernelEPjii
                                        ; -- End function
	.set _ZN4vllm4gptq19shuffle_2bit_kernelEPjii.num_vgpr, 10
	.set _ZN4vllm4gptq19shuffle_2bit_kernelEPjii.num_agpr, 0
	.set _ZN4vllm4gptq19shuffle_2bit_kernelEPjii.numbered_sgpr, 7
	.set _ZN4vllm4gptq19shuffle_2bit_kernelEPjii.num_named_barrier, 0
	.set _ZN4vllm4gptq19shuffle_2bit_kernelEPjii.private_seg_size, 0
	.set _ZN4vllm4gptq19shuffle_2bit_kernelEPjii.uses_vcc, 1
	.set _ZN4vllm4gptq19shuffle_2bit_kernelEPjii.uses_flat_scratch, 0
	.set _ZN4vllm4gptq19shuffle_2bit_kernelEPjii.has_dyn_sized_stack, 0
	.set _ZN4vllm4gptq19shuffle_2bit_kernelEPjii.has_recursion, 0
	.set _ZN4vllm4gptq19shuffle_2bit_kernelEPjii.has_indirect_call, 0
	.section	.AMDGPU.csdata,"",@progbits
; Kernel info:
; codeLenInByte = 464
; TotalNumSgprs: 9
; NumVgprs: 10
; ScratchSize: 0
; MemoryBound: 0
; FloatMode: 240
; IeeeMode: 1
; LDSByteSize: 0 bytes/workgroup (compile time only)
; SGPRBlocks: 0
; VGPRBlocks: 0
; NumSGPRsForWavesPerEU: 9
; NumVGPRsForWavesPerEU: 10
; NamedBarCnt: 0
; Occupancy: 16
; WaveLimiterHint : 0
; COMPUTE_PGM_RSRC2:SCRATCH_EN: 0
; COMPUTE_PGM_RSRC2:USER_SGPR: 2
; COMPUTE_PGM_RSRC2:TRAP_HANDLER: 0
; COMPUTE_PGM_RSRC2:TGID_X_EN: 1
; COMPUTE_PGM_RSRC2:TGID_Y_EN: 0
; COMPUTE_PGM_RSRC2:TGID_Z_EN: 0
; COMPUTE_PGM_RSRC2:TIDIG_COMP_CNT: 0
	.text
	.protected	_ZN4vllm4gptq19shuffle_3bit_kernelEPjii ; -- Begin function _ZN4vllm4gptq19shuffle_3bit_kernelEPjii
	.globl	_ZN4vllm4gptq19shuffle_3bit_kernelEPjii
	.p2align	8
	.type	_ZN4vllm4gptq19shuffle_3bit_kernelEPjii,@function
_ZN4vllm4gptq19shuffle_3bit_kernelEPjii: ; @_ZN4vllm4gptq19shuffle_3bit_kernelEPjii
; %bb.0:
	s_load_b64 s[2:3], s[0:1], 0x8
	s_bfe_u32 s4, ttmp6, 0x4000c
	s_and_b32 s5, ttmp6, 15
	s_add_co_i32 s4, s4, 1
	s_getreg_b32 s6, hwreg(HW_REG_IB_STS2, 6, 4)
	s_mul_i32 s4, ttmp9, s4
	s_mov_b32 s8, 0
	s_add_co_i32 s5, s5, s4
	s_cmp_eq_u32 s6, 0
	s_cselect_b32 s4, ttmp9, s5
	s_delay_alu instid0(SALU_CYCLE_1) | instskip(SKIP_1) | instid1(VALU_DEP_1)
	v_lshl_add_u32 v0, s4, 5, v0
	s_wait_kmcnt 0x0
	v_cmp_gt_u32_e32 vcc_lo, s3, v0
	s_cmp_gt_i32 s2, 0
	s_cselect_b32 s4, -1, 0
	s_delay_alu instid0(SALU_CYCLE_1) | instskip(NEXT) | instid1(SALU_CYCLE_1)
	s_and_b32 s4, vcc_lo, s4
	s_and_saveexec_b32 s5, s4
	s_cbranch_execz .LBB10_3
; %bb.1:
	s_load_b64 s[0:1], s[0:1], 0x0
	v_mov_b32_e32 v1, 0
	s_ashr_i32 s7, s3, 31
	s_mov_b32 s6, s3
	s_delay_alu instid0(SALU_CYCLE_1)
	s_lshl_b64 s[4:5], s[6:7], 3
	s_wait_kmcnt 0x0
	v_lshl_add_u64 v[0:1], v[0:1], 2, s[0:1]
	s_lshl_b64 s[0:1], s[6:7], 2
	s_mul_u64 s[6:7], s[6:7], 12
.LBB10_2:                               ; =>This Inner Loop Header: Depth=1
	s_wait_xcnt 0x1
	s_delay_alu instid0(VALU_DEP_1)
	v_add_nc_u64_e32 v[2:3], s[0:1], v[0:1]
	global_load_b32 v6, v[0:1], off
	s_wait_xcnt 0x1
	v_add_nc_u64_e32 v[4:5], s[4:5], v[0:1]
	s_add_co_i32 s8, s8, 32
	s_clause 0x1
	global_load_b32 v7, v[2:3], off
	global_load_b32 v8, v[4:5], off
	s_cmp_lt_i32 s8, s2
	s_wait_loadcnt 0x2
	v_dual_lshlrev_b32 v10, 13, v6 :: v_dual_bitop2_b32 v9, 7, v6 bitop3:0x40
	v_dual_lshrrev_b32 v11, 3, v6 :: v_dual_lshlrev_b32 v12, 10, v6
	v_dual_lshrrev_b32 v13, 6, v6 :: v_dual_lshlrev_b32 v14, 7, v6
	;; [unrolled: 1-line block ×4, first 2 shown]
	v_and_or_b32 v9, 0x70000, v10, v9
	v_and_b32_e32 v10, 56, v11
	v_and_b32_e32 v11, 0x380000, v12
	s_wait_loadcnt 0x1
	v_alignbit_b32 v6, v7, v6, 30
	v_and_b32_e32 v12, 0x1c0, v13
	v_and_b32_e32 v13, 0x1c00000, v14
	;; [unrolled: 1-line block ×6, first 2 shown]
	s_wait_loadcnt 0x0
	v_alignbit_b32 v18, v8, v7, 28
	v_dual_lshrrev_b32 v7, 11, v8 :: v_dual_lshrrev_b32 v19, 12, v8
	v_dual_lshrrev_b32 v20, 13, v8 :: v_dual_lshlrev_b32 v21, 2, v8
	v_lshlrev_b32_e32 v22, 1, v8
	v_or3_b32 v9, v9, v10, v11
	v_dual_lshlrev_b32 v11, 13, v6 :: v_dual_bitop2_b32 v10, 7, v6 bitop3:0x40
	v_and_b32_e32 v8, 0x80000000, v8
	v_dual_lshrrev_b32 v23, 3, v6 :: v_dual_lshlrev_b32 v24, 10, v6
	v_dual_lshrrev_b32 v27, 9, v6 :: v_dual_lshlrev_b32 v28, 4, v6
	v_dual_lshlrev_b32 v31, 13, v18 :: v_dual_bitop2_b32 v30, 7, v18 bitop3:0x40
	v_and_b32_e32 v19, 0x8000, v19
	v_and_b32_e32 v11, 0x70000, v11
	v_and_or_b32 v10, 0x80000000, v22, v10
	v_dual_lshrrev_b32 v25, 6, v6 :: v_dual_lshlrev_b32 v26, 7, v6
	v_dual_lshrrev_b32 v29, 12, v6 :: v_dual_lshlrev_b32 v6, 1, v6
	;; [unrolled: 1-line block ×3, first 2 shown]
	v_and_or_b32 v8, 0x8000, v20, v8
	v_or3_b32 v9, v9, v12, v13
	v_and_b32_e32 v13, 0x380000, v24
	v_and_b32_e32 v24, 0xe00, v27
	v_and_b32_e32 v27, 0x70000, v31
	v_and_b32_e32 v12, 56, v23
	v_or3_b32 v10, v10, v19, v11
	v_dual_lshrrev_b32 v34, 6, v18 :: v_dual_lshlrev_b32 v35, 7, v18
	v_and_b32_e32 v20, 0x1c0, v25
	v_and_b32_e32 v23, 0x1c00000, v26
	;; [unrolled: 1-line block ×6, first 2 shown]
	v_or3_b32 v8, v8, v30, v27
	v_or3_b32 v9, v9, v14, v15
	v_or3_b32 v10, v10, v12, v13
	v_dual_lshrrev_b32 v36, 9, v18 :: v_dual_lshlrev_b32 v37, 4, v18
	v_and_b32_e32 v22, 0x1c0, v34
	v_and_b32_e32 v31, 0x1c00000, v35
	v_or3_b32 v8, v8, v28, v29
	v_and_b32_e32 v7, 0x8000, v7
	v_and_b32_e32 v21, 0x80000000, v21
	v_or3_b32 v9, v9, v16, v17
	v_or3_b32 v10, v10, v20, v23
	v_dual_lshrrev_b32 v38, 12, v18 :: v_dual_lshlrev_b32 v18, 1, v18
	v_and_b32_e32 v32, 0xe00, v36
	v_and_b32_e32 v33, 0xe000000, v37
	v_or3_b32 v8, v8, v22, v31
	v_or3_b32 v7, v9, v21, v7
	v_and_b32_e32 v6, 0x70000000, v6
	v_or3_b32 v9, v10, v24, v25
	v_and_b32_e32 v11, 0x7000, v38
	v_and_b32_e32 v12, 0x70000000, v18
	v_or3_b32 v8, v8, v32, v33
	global_store_b32 v[0:1], v7, off
	s_wait_xcnt 0x0
	v_add_nc_u64_e32 v[0:1], s[6:7], v[0:1]
	v_or3_b32 v6, v9, v26, v6
	v_or3_b32 v7, v8, v11, v12
	s_clause 0x1
	global_store_b32 v[2:3], v6, off
	global_store_b32 v[4:5], v7, off
	s_cbranch_scc1 .LBB10_2
.LBB10_3:
	s_endpgm
	.section	.rodata,"a",@progbits
	.p2align	6, 0x0
	.amdhsa_kernel _ZN4vllm4gptq19shuffle_3bit_kernelEPjii
		.amdhsa_group_segment_fixed_size 0
		.amdhsa_private_segment_fixed_size 0
		.amdhsa_kernarg_size 16
		.amdhsa_user_sgpr_count 2
		.amdhsa_user_sgpr_dispatch_ptr 0
		.amdhsa_user_sgpr_queue_ptr 0
		.amdhsa_user_sgpr_kernarg_segment_ptr 1
		.amdhsa_user_sgpr_dispatch_id 0
		.amdhsa_user_sgpr_kernarg_preload_length 0
		.amdhsa_user_sgpr_kernarg_preload_offset 0
		.amdhsa_user_sgpr_private_segment_size 0
		.amdhsa_wavefront_size32 1
		.amdhsa_uses_dynamic_stack 0
		.amdhsa_enable_private_segment 0
		.amdhsa_system_sgpr_workgroup_id_x 1
		.amdhsa_system_sgpr_workgroup_id_y 0
		.amdhsa_system_sgpr_workgroup_id_z 0
		.amdhsa_system_sgpr_workgroup_info 0
		.amdhsa_system_vgpr_workitem_id 0
		.amdhsa_next_free_vgpr 39
		.amdhsa_next_free_sgpr 9
		.amdhsa_named_barrier_count 0
		.amdhsa_reserve_vcc 1
		.amdhsa_float_round_mode_32 0
		.amdhsa_float_round_mode_16_64 0
		.amdhsa_float_denorm_mode_32 3
		.amdhsa_float_denorm_mode_16_64 3
		.amdhsa_fp16_overflow 0
		.amdhsa_memory_ordered 1
		.amdhsa_forward_progress 1
		.amdhsa_inst_pref_size 7
		.amdhsa_round_robin_scheduling 0
		.amdhsa_exception_fp_ieee_invalid_op 0
		.amdhsa_exception_fp_denorm_src 0
		.amdhsa_exception_fp_ieee_div_zero 0
		.amdhsa_exception_fp_ieee_overflow 0
		.amdhsa_exception_fp_ieee_underflow 0
		.amdhsa_exception_fp_ieee_inexact 0
		.amdhsa_exception_int_div_zero 0
	.end_amdhsa_kernel
	.text
.Lfunc_end10:
	.size	_ZN4vllm4gptq19shuffle_3bit_kernelEPjii, .Lfunc_end10-_ZN4vllm4gptq19shuffle_3bit_kernelEPjii
                                        ; -- End function
	.set _ZN4vllm4gptq19shuffle_3bit_kernelEPjii.num_vgpr, 39
	.set _ZN4vllm4gptq19shuffle_3bit_kernelEPjii.num_agpr, 0
	.set _ZN4vllm4gptq19shuffle_3bit_kernelEPjii.numbered_sgpr, 9
	.set _ZN4vllm4gptq19shuffle_3bit_kernelEPjii.num_named_barrier, 0
	.set _ZN4vllm4gptq19shuffle_3bit_kernelEPjii.private_seg_size, 0
	.set _ZN4vllm4gptq19shuffle_3bit_kernelEPjii.uses_vcc, 1
	.set _ZN4vllm4gptq19shuffle_3bit_kernelEPjii.uses_flat_scratch, 0
	.set _ZN4vllm4gptq19shuffle_3bit_kernelEPjii.has_dyn_sized_stack, 0
	.set _ZN4vllm4gptq19shuffle_3bit_kernelEPjii.has_recursion, 0
	.set _ZN4vllm4gptq19shuffle_3bit_kernelEPjii.has_indirect_call, 0
	.section	.AMDGPU.csdata,"",@progbits
; Kernel info:
; codeLenInByte = 884
; TotalNumSgprs: 11
; NumVgprs: 39
; ScratchSize: 0
; MemoryBound: 0
; FloatMode: 240
; IeeeMode: 1
; LDSByteSize: 0 bytes/workgroup (compile time only)
; SGPRBlocks: 0
; VGPRBlocks: 2
; NumSGPRsForWavesPerEU: 11
; NumVGPRsForWavesPerEU: 39
; NamedBarCnt: 0
; Occupancy: 16
; WaveLimiterHint : 0
; COMPUTE_PGM_RSRC2:SCRATCH_EN: 0
; COMPUTE_PGM_RSRC2:USER_SGPR: 2
; COMPUTE_PGM_RSRC2:TRAP_HANDLER: 0
; COMPUTE_PGM_RSRC2:TGID_X_EN: 1
; COMPUTE_PGM_RSRC2:TGID_Y_EN: 0
; COMPUTE_PGM_RSRC2:TGID_Z_EN: 0
; COMPUTE_PGM_RSRC2:TIDIG_COMP_CNT: 0
	.text
	.protected	_ZN4vllm4gptq27make_sequential_4bit_kernelEPKjPjPKii ; -- Begin function _ZN4vllm4gptq27make_sequential_4bit_kernelEPKjPjPKii
	.globl	_ZN4vllm4gptq27make_sequential_4bit_kernelEPKjPjPKii
	.p2align	8
	.type	_ZN4vllm4gptq27make_sequential_4bit_kernelEPKjPjPKii,@function
_ZN4vllm4gptq27make_sequential_4bit_kernelEPKjPjPKii: ; @_ZN4vllm4gptq27make_sequential_4bit_kernelEPKjPjPKii
; %bb.0:
	s_load_b32 s2, s[0:1], 0x18
	s_bfe_u32 s3, ttmp6, 0x4000c
	s_and_b32 s4, ttmp6, 15
	s_add_co_i32 s5, s3, 1
	s_getreg_b32 s3, hwreg(HW_REG_IB_STS2, 6, 4)
	s_mul_i32 s5, ttmp9, s5
	s_delay_alu instid0(SALU_CYCLE_1) | instskip(SKIP_4) | instid1(SALU_CYCLE_1)
	s_add_co_i32 s4, s4, s5
	s_wait_kmcnt 0x0
	s_ashr_i32 s2, s2, 1
	s_cmp_eq_u32 s3, 0
	s_cselect_b32 s4, ttmp9, s4
	v_lshl_add_u32 v0, s4, 5, v0
	s_mov_b32 s4, exec_lo
	s_delay_alu instid0(VALU_DEP_1)
	v_cmpx_gt_u32_e64 s2, v0
	s_cbranch_execz .LBB11_2
; %bb.1:
	s_load_b64 s[4:5], s[0:1], 0x10
	s_bfe_u32 s6, ttmp6, 0x40010
	s_bfe_u32 s7, ttmp6, 0x40004
	s_add_co_i32 s6, s6, 1
	s_delay_alu instid0(SALU_CYCLE_1) | instskip(NEXT) | instid1(SALU_CYCLE_1)
	s_mul_i32 s6, ttmp7, s6
	s_add_co_i32 s7, s7, s6
	s_cmp_eq_u32 s3, 0
	s_cselect_b32 s3, ttmp7, s7
	s_delay_alu instid0(SALU_CYCLE_1) | instskip(NEXT) | instid1(SALU_CYCLE_1)
	s_lshl_b32 s6, s3, 3
	s_ashr_i32 s7, s6, 31
	s_delay_alu instid0(SALU_CYCLE_1)
	s_lshl_b64 s[6:7], s[6:7], 2
	s_wait_kmcnt 0x0
	s_add_nc_u64 s[16:17], s[4:5], s[6:7]
	s_load_b256 s[4:11], s[16:17], 0x0
	s_load_b128 s[12:15], s[0:1], 0x0
	s_wait_kmcnt 0x0
	s_ashr_i32 s0, s4, 3
	s_ashr_i32 s17, s7, 3
	;; [unrolled: 1-line block ×3, first 2 shown]
	v_mad_u32 v1, s0, s2, v0
	s_ashr_i32 s16, s6, 3
	v_mad_u32 v18, s17, s2, v0
	s_ashr_i32 s18, s8, 3
	;; [unrolled: 2-line block ×5, first 2 shown]
	v_mad_u32 v22, s21, s2, v0
	v_mad_u32 v23, s19, s2, v0
	;; [unrolled: 1-line block ×3, first 2 shown]
	s_clause 0x7
	global_load_b64 v[2:3], v1, s[12:13] scale_offset
	global_load_b64 v[4:5], v18, s[12:13] scale_offset
	;; [unrolled: 1-line block ×8, first 2 shown]
	s_lshl_b32 s0, s4, 2
	s_lshl_b32 s1, s5, 2
	s_and_b32 s0, s0, 28
	s_and_b32 s1, s1, 28
	s_wait_xcnt 0x6
	v_mad_u32 v18, s2, s3, v0
	s_lshl_b32 s2, s6, 2
	s_lshl_b32 s3, s7, 2
	;; [unrolled: 1-line block ×5, first 2 shown]
	s_and_b32 s2, s2, 28
	s_and_b32 s3, s3, 28
	;; [unrolled: 1-line block ×5, first 2 shown]
	s_lshl_b32 s7, s11, 2
	s_delay_alu instid0(SALU_CYCLE_1)
	s_and_b32 s7, s7, 28
	s_wait_loadcnt 0x7
	v_lshrrev_b64 v[0:1], s0, v[2:3]
	s_wait_loadcnt 0x6
	v_lshrrev_b64 v[4:5], s3, v[4:5]
	;; [unrolled: 2-line block ×8, first 2 shown]
	v_and_b32_e32 v16, 15, v1
	v_and_b32_e32 v17, 15, v0
	v_lshlrev_b64_e32 v[0:1], 4, v[2:3]
	v_lshlrev_b64_e32 v[2:3], 8, v[6:7]
	v_lshlrev_b64_e32 v[4:5], 12, v[4:5]
	v_lshlrev_b64_e32 v[6:7], 16, v[8:9]
	v_lshlrev_b64_e32 v[8:9], 20, v[10:11]
	v_lshlrev_b64_e32 v[10:11], 24, v[14:15]
	v_lshlrev_b64_e32 v[12:13], 28, v[12:13]
	v_and_b32_e32 v1, 0xf0, v1
	v_and_b32_e32 v0, 0xf0, v0
	v_and_b32_e32 v3, 0xf00, v3
	v_and_b32_e32 v2, 0xf00, v2
	v_and_b32_e32 v5, 0xf000, v5
	v_and_b32_e32 v4, 0xf000, v4
	v_or_b32_e32 v1, v1, v16
	v_or_b32_e32 v0, v0, v17
	v_and_b32_e32 v7, 0xf0000, v7
	v_and_b32_e32 v6, 0xf0000, v6
	;; [unrolled: 1-line block ×4, first 2 shown]
	v_or3_b32 v1, v3, v1, v5
	v_or3_b32 v0, v2, v0, v4
	v_and_b32_e32 v2, 0xf000000, v11
	v_and_b32_e32 v3, 0xf000000, v10
	;; [unrolled: 1-line block ×3, first 2 shown]
	v_or3_b32 v1, v7, v1, v9
	v_or3_b32 v0, v6, v0, v8
	s_delay_alu instid0(VALU_DEP_2) | instskip(NEXT) | instid1(VALU_DEP_2)
	v_or3_b32 v1, v2, v1, v4
	v_or3_b32 v0, v3, v0, v12
	global_store_b64 v18, v[0:1], s[14:15] scale_offset
.LBB11_2:
	s_endpgm
	.section	.rodata,"a",@progbits
	.p2align	6, 0x0
	.amdhsa_kernel _ZN4vllm4gptq27make_sequential_4bit_kernelEPKjPjPKii
		.amdhsa_group_segment_fixed_size 0
		.amdhsa_private_segment_fixed_size 0
		.amdhsa_kernarg_size 28
		.amdhsa_user_sgpr_count 2
		.amdhsa_user_sgpr_dispatch_ptr 0
		.amdhsa_user_sgpr_queue_ptr 0
		.amdhsa_user_sgpr_kernarg_segment_ptr 1
		.amdhsa_user_sgpr_dispatch_id 0
		.amdhsa_user_sgpr_kernarg_preload_length 0
		.amdhsa_user_sgpr_kernarg_preload_offset 0
		.amdhsa_user_sgpr_private_segment_size 0
		.amdhsa_wavefront_size32 1
		.amdhsa_uses_dynamic_stack 0
		.amdhsa_enable_private_segment 0
		.amdhsa_system_sgpr_workgroup_id_x 1
		.amdhsa_system_sgpr_workgroup_id_y 1
		.amdhsa_system_sgpr_workgroup_id_z 0
		.amdhsa_system_sgpr_workgroup_info 0
		.amdhsa_system_vgpr_workitem_id 0
		.amdhsa_next_free_vgpr 25
		.amdhsa_next_free_sgpr 22
		.amdhsa_named_barrier_count 0
		.amdhsa_reserve_vcc 0
		.amdhsa_float_round_mode_32 0
		.amdhsa_float_round_mode_16_64 0
		.amdhsa_float_denorm_mode_32 3
		.amdhsa_float_denorm_mode_16_64 3
		.amdhsa_fp16_overflow 0
		.amdhsa_memory_ordered 1
		.amdhsa_forward_progress 1
		.amdhsa_inst_pref_size 6
		.amdhsa_round_robin_scheduling 0
		.amdhsa_exception_fp_ieee_invalid_op 0
		.amdhsa_exception_fp_denorm_src 0
		.amdhsa_exception_fp_ieee_div_zero 0
		.amdhsa_exception_fp_ieee_overflow 0
		.amdhsa_exception_fp_ieee_underflow 0
		.amdhsa_exception_fp_ieee_inexact 0
		.amdhsa_exception_int_div_zero 0
	.end_amdhsa_kernel
	.text
.Lfunc_end11:
	.size	_ZN4vllm4gptq27make_sequential_4bit_kernelEPKjPjPKii, .Lfunc_end11-_ZN4vllm4gptq27make_sequential_4bit_kernelEPKjPjPKii
                                        ; -- End function
	.set _ZN4vllm4gptq27make_sequential_4bit_kernelEPKjPjPKii.num_vgpr, 25
	.set _ZN4vllm4gptq27make_sequential_4bit_kernelEPKjPjPKii.num_agpr, 0
	.set _ZN4vllm4gptq27make_sequential_4bit_kernelEPKjPjPKii.numbered_sgpr, 22
	.set _ZN4vllm4gptq27make_sequential_4bit_kernelEPKjPjPKii.num_named_barrier, 0
	.set _ZN4vllm4gptq27make_sequential_4bit_kernelEPKjPjPKii.private_seg_size, 0
	.set _ZN4vllm4gptq27make_sequential_4bit_kernelEPKjPjPKii.uses_vcc, 0
	.set _ZN4vllm4gptq27make_sequential_4bit_kernelEPKjPjPKii.uses_flat_scratch, 0
	.set _ZN4vllm4gptq27make_sequential_4bit_kernelEPKjPjPKii.has_dyn_sized_stack, 0
	.set _ZN4vllm4gptq27make_sequential_4bit_kernelEPKjPjPKii.has_recursion, 0
	.set _ZN4vllm4gptq27make_sequential_4bit_kernelEPKjPjPKii.has_indirect_call, 0
	.section	.AMDGPU.csdata,"",@progbits
; Kernel info:
; codeLenInByte = 768
; TotalNumSgprs: 22
; NumVgprs: 25
; ScratchSize: 0
; MemoryBound: 0
; FloatMode: 240
; IeeeMode: 1
; LDSByteSize: 0 bytes/workgroup (compile time only)
; SGPRBlocks: 0
; VGPRBlocks: 1
; NumSGPRsForWavesPerEU: 22
; NumVGPRsForWavesPerEU: 25
; NamedBarCnt: 0
; Occupancy: 16
; WaveLimiterHint : 0
; COMPUTE_PGM_RSRC2:SCRATCH_EN: 0
; COMPUTE_PGM_RSRC2:USER_SGPR: 2
; COMPUTE_PGM_RSRC2:TRAP_HANDLER: 0
; COMPUTE_PGM_RSRC2:TGID_X_EN: 1
; COMPUTE_PGM_RSRC2:TGID_Y_EN: 1
; COMPUTE_PGM_RSRC2:TGID_Z_EN: 0
; COMPUTE_PGM_RSRC2:TIDIG_COMP_CNT: 0
	.text
	.protected	_ZN4vllm4gptq27make_sequential_2bit_kernelEPKjPjPKii ; -- Begin function _ZN4vllm4gptq27make_sequential_2bit_kernelEPKjPjPKii
	.globl	_ZN4vllm4gptq27make_sequential_2bit_kernelEPKjPjPKii
	.p2align	8
	.type	_ZN4vllm4gptq27make_sequential_2bit_kernelEPKjPjPKii,@function
_ZN4vllm4gptq27make_sequential_2bit_kernelEPKjPjPKii: ; @_ZN4vllm4gptq27make_sequential_2bit_kernelEPKjPjPKii
; %bb.0:
	s_load_b32 s2, s[0:1], 0x18
	s_bfe_u32 s3, ttmp6, 0x4000c
	s_and_b32 s4, ttmp6, 15
	s_add_co_i32 s5, s3, 1
	s_getreg_b32 s3, hwreg(HW_REG_IB_STS2, 6, 4)
	s_mul_i32 s5, ttmp9, s5
	s_delay_alu instid0(SALU_CYCLE_1) | instskip(SKIP_4) | instid1(SALU_CYCLE_1)
	s_add_co_i32 s4, s4, s5
	s_wait_kmcnt 0x0
	s_ashr_i32 s2, s2, 1
	s_cmp_eq_u32 s3, 0
	s_cselect_b32 s4, ttmp9, s4
	v_lshl_add_u32 v0, s4, 5, v0
	s_mov_b32 s4, exec_lo
	s_delay_alu instid0(VALU_DEP_1)
	v_cmpx_gt_u32_e64 s2, v0
	s_cbranch_execz .LBB12_2
; %bb.1:
	s_load_b64 s[4:5], s[0:1], 0x10
	s_bfe_u32 s6, ttmp6, 0x40010
	s_bfe_u32 s7, ttmp6, 0x40004
	s_add_co_i32 s6, s6, 1
	s_delay_alu instid0(SALU_CYCLE_1) | instskip(NEXT) | instid1(SALU_CYCLE_1)
	s_mul_i32 s6, ttmp7, s6
	s_add_co_i32 s7, s7, s6
	s_cmp_eq_u32 s3, 0
	s_cselect_b32 s3, ttmp7, s7
	s_delay_alu instid0(SALU_CYCLE_1) | instskip(NEXT) | instid1(SALU_CYCLE_1)
	s_lshl_b32 s6, s3, 4
	s_ashr_i32 s7, s6, 31
	s_delay_alu instid0(SALU_CYCLE_1)
	s_lshl_b64 s[6:7], s[6:7], 2
	s_wait_kmcnt 0x0
	s_add_nc_u64 s[24:25], s[4:5], s[6:7]
	s_load_b512 s[4:19], s[24:25], 0x0
	s_load_b128 s[20:23], s[0:1], 0x0
	s_wait_kmcnt 0x0
	s_ashr_i32 s0, s4, 4
	s_ashr_i32 s24, s6, 4
	s_ashr_i32 s25, s7, 4
	v_mad_u32 v10, s0, s2, v0
	s_ashr_i32 s1, s5, 4
	v_mad_u32 v12, s24, s2, v0
	v_mad_u32 v11, s25, s2, v0
	;; [unrolled: 1-line block ×3, first 2 shown]
	s_ashr_i32 s26, s8, 4
	s_ashr_i32 s29, s11, 4
	;; [unrolled: 1-line block ×3, first 2 shown]
	v_mad_u32 v35, s26, s2, v0
	s_ashr_i32 s28, s10, 4
	v_mad_u32 v36, s29, s2, v0
	s_ashr_i32 s30, s12, 4
	;; [unrolled: 2-line block ×4, first 2 shown]
	v_mad_u32 v39, s30, s2, v0
	s_clause 0x3
	global_load_b64 v[2:3], v10, s[20:21] scale_offset
	global_load_b64 v[4:5], v12, s[20:21] scale_offset
	;; [unrolled: 1-line block ×4, first 2 shown]
	s_ashr_i32 s33, s14, 4
	v_mad_u32 v40, s34, s2, v0
	s_ashr_i32 s35, s16, 4
	v_mad_u32 v38, s31, s2, v0
	;; [unrolled: 2-line block ×5, first 2 shown]
	v_mad_u32 v42, s36, s2, v0
	s_wait_xcnt 0x0
	v_mad_u32 v1, s37, s2, v0
	s_clause 0xb
	global_load_b64 v[10:11], v35, s[20:21] scale_offset
	global_load_b64 v[12:13], v36, s[20:21] scale_offset
	;; [unrolled: 1-line block ×12, first 2 shown]
	s_lshl_b32 s0, s4, 1
	s_lshl_b32 s1, s5, 1
	s_and_b32 s0, s0, 30
	s_and_b32 s1, s1, 30
	s_wait_xcnt 0x9
	v_mad_u32 v34, s2, s3, v0
	s_lshl_b32 s2, s6, 1
	s_lshl_b32 s3, s7, 1
	;; [unrolled: 1-line block ×11, first 2 shown]
	s_and_b32 s2, s2, 30
	s_and_b32 s3, s3, 30
	;; [unrolled: 1-line block ×11, first 2 shown]
	s_lshl_b32 s7, s11, 1
	s_lshl_b32 s11, s15, 1
	s_and_b32 s7, s7, 30
	s_and_b32 s11, s11, 30
	s_lshl_b32 s15, s19, 1
	s_delay_alu instid0(SALU_CYCLE_1)
	s_and_b32 s15, s15, 30
	s_wait_loadcnt 0xf
	s_wait_xcnt 0x0
	v_lshrrev_b64 v[0:1], s0, v[2:3]
	s_wait_loadcnt 0xe
	v_lshrrev_b64 v[4:5], s2, v[4:5]
	s_wait_loadcnt 0xd
	;; [unrolled: 2-line block ×12, first 2 shown]
	v_lshrrev_b64 v[24:25], s12, v[26:27]
	v_lshlrev_b64_e32 v[12:13], 14, v[12:13]
	s_wait_loadcnt 0x1
	v_lshrrev_b64 v[26:27], s13, v[30:31]
	s_wait_loadcnt 0x0
	v_lshrrev_b64 v[30:31], s14, v[32:33]
	v_and_b32_e32 v32, 3, v1
	v_and_b32_e32 v33, 3, v0
	v_lshlrev_b64_e32 v[0:1], 2, v[2:3]
	v_lshlrev_b64_e32 v[2:3], 4, v[4:5]
	;; [unrolled: 1-line block ×7, first 2 shown]
	v_and_b32_e32 v1, 12, v1
	v_and_b32_e32 v0, 12, v0
	;; [unrolled: 1-line block ×6, first 2 shown]
	v_or_b32_e32 v1, v1, v32
	v_or_b32_e32 v0, v0, v33
	v_and_b32_e32 v7, 0x300, v7
	v_and_b32_e32 v6, 0x300, v6
	;; [unrolled: 1-line block ×4, first 2 shown]
	v_or3_b32 v1, v3, v1, v5
	v_or3_b32 v0, v2, v0, v4
	v_lshlrev_b64_e32 v[16:17], 18, v[18:19]
	v_and_b32_e32 v11, 0x3000, v11
	v_and_b32_e32 v10, 0x3000, v10
	v_and_b32_e32 v13, 0xc000, v13
	v_and_b32_e32 v12, 0xc000, v12
	v_or3_b32 v1, v7, v1, v9
	v_or3_b32 v0, v6, v0, v8
	v_lshlrev_b64_e32 v[18:19], 20, v[22:23]
	v_lshlrev_b64_e32 v[20:21], 22, v[20:21]
	v_and_b32_e32 v2, 0x30000, v15
	v_and_b32_e32 v3, 0x30000, v14
	v_and_b32_e32 v4, 0xc0000, v17
	v_and_b32_e32 v5, 0xc0000, v16
	v_or3_b32 v1, v11, v1, v13
	v_or3_b32 v0, v10, v0, v12
	v_lshrrev_b64 v[28:29], s15, v[28:29]
	v_lshlrev_b64_e32 v[22:23], 24, v[24:25]
	v_lshlrev_b64_e32 v[24:25], 26, v[26:27]
	v_and_b32_e32 v6, 0x300000, v19
	v_and_b32_e32 v7, 0x300000, v18
	;; [unrolled: 1-line block ×4, first 2 shown]
	v_or3_b32 v1, v2, v1, v4
	v_or3_b32 v0, v3, v0, v5
	v_lshlrev_b64_e32 v[26:27], 28, v[30:31]
	v_lshlrev_b64_e32 v[28:29], 30, v[28:29]
	v_and_b32_e32 v10, 0x3000000, v23
	v_and_b32_e32 v2, 0x3000000, v22
	;; [unrolled: 1-line block ×4, first 2 shown]
	v_or3_b32 v1, v6, v1, v8
	v_or3_b32 v0, v7, v0, v9
	v_and_b32_e32 v5, 0x30000000, v27
	v_and_b32_e32 v6, 0x30000000, v26
	v_and_b32_e32 v7, -2.0, v29
	v_or3_b32 v1, v10, v1, v3
	v_or3_b32 v0, v2, v0, v4
	s_delay_alu instid0(VALU_DEP_2) | instskip(NEXT) | instid1(VALU_DEP_2)
	v_or3_b32 v1, v5, v1, v7
	v_or3_b32 v0, v6, v0, v28
	global_store_b64 v34, v[0:1], s[22:23] scale_offset
.LBB12_2:
	s_endpgm
	.section	.rodata,"a",@progbits
	.p2align	6, 0x0
	.amdhsa_kernel _ZN4vllm4gptq27make_sequential_2bit_kernelEPKjPjPKii
		.amdhsa_group_segment_fixed_size 0
		.amdhsa_private_segment_fixed_size 0
		.amdhsa_kernarg_size 28
		.amdhsa_user_sgpr_count 2
		.amdhsa_user_sgpr_dispatch_ptr 0
		.amdhsa_user_sgpr_queue_ptr 0
		.amdhsa_user_sgpr_kernarg_segment_ptr 1
		.amdhsa_user_sgpr_dispatch_id 0
		.amdhsa_user_sgpr_kernarg_preload_length 0
		.amdhsa_user_sgpr_kernarg_preload_offset 0
		.amdhsa_user_sgpr_private_segment_size 0
		.amdhsa_wavefront_size32 1
		.amdhsa_uses_dynamic_stack 0
		.amdhsa_enable_private_segment 0
		.amdhsa_system_sgpr_workgroup_id_x 1
		.amdhsa_system_sgpr_workgroup_id_y 1
		.amdhsa_system_sgpr_workgroup_id_z 0
		.amdhsa_system_sgpr_workgroup_info 0
		.amdhsa_system_vgpr_workitem_id 0
		.amdhsa_next_free_vgpr 45
		.amdhsa_next_free_sgpr 39
		.amdhsa_named_barrier_count 0
		.amdhsa_reserve_vcc 0
		.amdhsa_float_round_mode_32 0
		.amdhsa_float_round_mode_16_64 0
		.amdhsa_float_denorm_mode_32 3
		.amdhsa_float_denorm_mode_16_64 3
		.amdhsa_fp16_overflow 0
		.amdhsa_memory_ordered 1
		.amdhsa_forward_progress 1
		.amdhsa_inst_pref_size 11
		.amdhsa_round_robin_scheduling 0
		.amdhsa_exception_fp_ieee_invalid_op 0
		.amdhsa_exception_fp_denorm_src 0
		.amdhsa_exception_fp_ieee_div_zero 0
		.amdhsa_exception_fp_ieee_overflow 0
		.amdhsa_exception_fp_ieee_underflow 0
		.amdhsa_exception_fp_ieee_inexact 0
		.amdhsa_exception_int_div_zero 0
	.end_amdhsa_kernel
	.text
.Lfunc_end12:
	.size	_ZN4vllm4gptq27make_sequential_2bit_kernelEPKjPjPKii, .Lfunc_end12-_ZN4vllm4gptq27make_sequential_2bit_kernelEPKjPjPKii
                                        ; -- End function
	.set _ZN4vllm4gptq27make_sequential_2bit_kernelEPKjPjPKii.num_vgpr, 45
	.set _ZN4vllm4gptq27make_sequential_2bit_kernelEPKjPjPKii.num_agpr, 0
	.set _ZN4vllm4gptq27make_sequential_2bit_kernelEPKjPjPKii.numbered_sgpr, 39
	.set _ZN4vllm4gptq27make_sequential_2bit_kernelEPKjPjPKii.num_named_barrier, 0
	.set _ZN4vllm4gptq27make_sequential_2bit_kernelEPKjPjPKii.private_seg_size, 0
	.set _ZN4vllm4gptq27make_sequential_2bit_kernelEPKjPjPKii.uses_vcc, 0
	.set _ZN4vllm4gptq27make_sequential_2bit_kernelEPKjPjPKii.uses_flat_scratch, 0
	.set _ZN4vllm4gptq27make_sequential_2bit_kernelEPKjPjPKii.has_dyn_sized_stack, 0
	.set _ZN4vllm4gptq27make_sequential_2bit_kernelEPKjPjPKii.has_recursion, 0
	.set _ZN4vllm4gptq27make_sequential_2bit_kernelEPKjPjPKii.has_indirect_call, 0
	.section	.AMDGPU.csdata,"",@progbits
; Kernel info:
; codeLenInByte = 1332
; TotalNumSgprs: 39
; NumVgprs: 45
; ScratchSize: 0
; MemoryBound: 0
; FloatMode: 240
; IeeeMode: 1
; LDSByteSize: 0 bytes/workgroup (compile time only)
; SGPRBlocks: 0
; VGPRBlocks: 2
; NumSGPRsForWavesPerEU: 39
; NumVGPRsForWavesPerEU: 45
; NamedBarCnt: 0
; Occupancy: 16
; WaveLimiterHint : 0
; COMPUTE_PGM_RSRC2:SCRATCH_EN: 0
; COMPUTE_PGM_RSRC2:USER_SGPR: 2
; COMPUTE_PGM_RSRC2:TRAP_HANDLER: 0
; COMPUTE_PGM_RSRC2:TGID_X_EN: 1
; COMPUTE_PGM_RSRC2:TGID_Y_EN: 1
; COMPUTE_PGM_RSRC2:TGID_Z_EN: 0
; COMPUTE_PGM_RSRC2:TIDIG_COMP_CNT: 0
	.text
	.protected	_ZN4vllm4gptq27make_sequential_3bit_kernelEPKjPjPKii ; -- Begin function _ZN4vllm4gptq27make_sequential_3bit_kernelEPKjPjPKii
	.globl	_ZN4vllm4gptq27make_sequential_3bit_kernelEPKjPjPKii
	.p2align	8
	.type	_ZN4vllm4gptq27make_sequential_3bit_kernelEPKjPjPKii,@function
_ZN4vllm4gptq27make_sequential_3bit_kernelEPKjPjPKii: ; @_ZN4vllm4gptq27make_sequential_3bit_kernelEPKjPjPKii
; %bb.0:
	s_load_b32 s8, s[0:1], 0x18
	s_bfe_u32 s2, ttmp6, 0x4000c
	s_and_b32 s3, ttmp6, 15
	s_add_co_i32 s2, s2, 1
	s_getreg_b32 s9, hwreg(HW_REG_IB_STS2, 6, 4)
	s_mul_i32 s2, ttmp9, s2
	s_delay_alu instid0(SALU_CYCLE_1) | instskip(SKIP_2) | instid1(SALU_CYCLE_1)
	s_add_co_i32 s3, s3, s2
	s_cmp_eq_u32 s9, 0
	s_cselect_b32 s2, ttmp9, s3
	v_lshl_add_u32 v2, s2, 5, v0
	s_mov_b32 s2, exec_lo
	s_wait_kmcnt 0x0
	s_delay_alu instid0(VALU_DEP_1)
	v_cmpx_gt_u32_e64 s8, v2
	s_cbranch_execz .LBB13_801
; %bb.1:
	s_clause 0x1
	s_load_b128 s[4:7], s[0:1], 0x0
	s_load_b64 s[2:3], s[0:1], 0x10
	s_wait_xcnt 0x0
	s_bfe_u32 s0, ttmp6, 0x40010
	s_bfe_u32 s1, ttmp6, 0x40004
	s_add_co_i32 s0, s0, 1
	s_delay_alu instid0(SALU_CYCLE_1) | instskip(NEXT) | instid1(SALU_CYCLE_1)
	s_mul_i32 s0, ttmp7, s0
	s_add_co_i32 s1, s1, s0
	s_cmp_eq_u32 s9, 0
	s_cselect_b32 s9, ttmp7, s1
	s_delay_alu instid0(SALU_CYCLE_1) | instskip(SKIP_4) | instid1(SALU_CYCLE_1)
	s_lshl_b32 s0, s9, 5
	s_wait_kmcnt 0x0
	s_load_b32 s10, s[2:3], s0 offset:0x0 scale_offset
	s_wait_kmcnt 0x0
	s_ashr_i32 s1, s10, 31
	s_lshr_b32 s1, s1, 27
	s_delay_alu instid0(SALU_CYCLE_1)
	s_add_co_i32 s12, s10, s1
	s_mov_b32 s1, 0
	s_and_b32 s11, s12, 0xffffffe0
	s_ashr_i32 s13, s12, 5
	s_sub_co_i32 s11, s10, s11
	s_mul_i32 s13, s13, 3
	s_cmp_lt_i32 s11, 21
	s_cbranch_scc1 .LBB13_4
; %bb.2:
	s_cmp_eq_u32 s11, 21
	s_cbranch_scc0 .LBB13_5
; %bb.3:
	s_add_co_i32 s10, s13, 1
	s_mov_b32 s12, 0
	s_branch .LBB13_6
.LBB13_4:
	s_mov_b32 s12, s1
                                        ; implicit-def: $sgpr10
	s_cbranch_execnz .LBB13_7
	s_branch .LBB13_8
.LBB13_5:
	s_mov_b32 s12, -1
                                        ; implicit-def: $sgpr10
.LBB13_6:
	s_branch .LBB13_8
.LBB13_7:
	s_cmp_lg_u32 s11, 10
	s_mov_b32 s10, s13
	s_cselect_b32 s12, -1, 0
.LBB13_8:
	s_delay_alu instid0(SALU_CYCLE_1)
	s_and_not1_b32 vcc_lo, exec_lo, s12
	s_lshl_b64 s[0:1], s[0:1], 2
                                        ; implicit-def: $sgpr12
	s_cbranch_vccnz .LBB13_15
; %bb.9:
	s_cmp_lt_i32 s11, 22
	s_mul_i32 s14, s11, 3
	s_cbranch_scc0 .LBB13_13
; %bb.10:
	s_cmp_lt_i32 s11, 11
	s_mov_b32 s12, s14
	s_mov_b32 s10, s13
	s_cbranch_scc1 .LBB13_12
; %bb.11:
	s_sub_co_i32 s12, s14, 32
	s_add_co_i32 s10, s13, 1
.LBB13_12:
	s_cbranch_execz .LBB13_14
	s_branch .LBB13_15
.LBB13_13:
                                        ; implicit-def: $sgpr12
                                        ; implicit-def: $sgpr10
.LBB13_14:
	s_sub_co_i32 s12, s14, 64
	s_add_co_i32 s10, s13, 2
.LBB13_15:
	s_delay_alu instid0(SALU_CYCLE_1)
	v_mad_u32 v0, s10, s8, v2
	s_add_nc_u64 s[0:1], s[2:3], s[0:1]
	s_cmp_lt_i32 s11, 21
	s_mov_b32 s2, 0
	global_load_b32 v0, v0, s[4:5] scale_offset
	s_cbranch_scc1 .LBB13_18
; %bb.16:
	s_cmp_eq_u32 s11, 21
	s_cbranch_scc0 .LBB13_19
; %bb.17:
	s_add_co_i32 s3, s10, 1
	s_delay_alu instid0(SALU_CYCLE_1) | instskip(SKIP_4) | instid1(VALU_DEP_1)
	v_mad_u32 v1, s3, s8, v2
	s_mov_b32 s3, 0
	global_load_b32 v1, v1, s[4:5] scale_offset
	s_wait_loadcnt 0x0
	v_alignbit_b32 v1, v1, v0, 31
	v_and_b32_e32 v3, 7, v1
	s_branch .LBB13_20
.LBB13_18:
	s_mov_b32 s3, 0
                                        ; implicit-def: $vgpr3
	s_cbranch_execnz .LBB13_21
	s_branch .LBB13_22
.LBB13_19:
	s_mov_b32 s3, -1
                                        ; implicit-def: $vgpr3
.LBB13_20:
	s_branch .LBB13_22
.LBB13_21:
	s_cmp_lg_u32 s11, 10
	s_mov_b32 s2, -1
	s_cselect_b32 s3, -1, 0
.LBB13_22:
	s_delay_alu instid0(SALU_CYCLE_1)
	s_and_not1_b32 vcc_lo, exec_lo, s3
	s_cbranch_vccz .LBB13_28
; %bb.23:
	s_and_not1_b32 vcc_lo, exec_lo, s2
	s_cbranch_vccnz .LBB13_25
.LBB13_24:
	s_add_co_i32 s2, s10, 1
	s_delay_alu instid0(SALU_CYCLE_1) | instskip(SKIP_3) | instid1(VALU_DEP_1)
	v_mad_u32 v1, s2, s8, v2
	global_load_b32 v1, v1, s[4:5] scale_offset
	s_wait_loadcnt 0x0
	v_alignbit_b32 v0, v1, v0, 30
	v_and_b32_e32 v3, 7, v0
.LBB13_25:
	s_load_b32 s2, s[0:1], 0x4
	s_wait_kmcnt 0x0
	s_ashr_i32 s3, s2, 31
	s_delay_alu instid0(SALU_CYCLE_1) | instskip(NEXT) | instid1(SALU_CYCLE_1)
	s_lshr_b32 s3, s3, 27
	s_add_co_i32 s10, s2, s3
	s_delay_alu instid0(SALU_CYCLE_1)
	s_and_b32 s3, s10, 0xffffffe0
	s_ashr_i32 s11, s10, 5
	s_sub_co_i32 s3, s2, s3
	s_mul_i32 s11, s11, 3
	s_cmp_lt_i32 s3, 21
	s_cbranch_scc1 .LBB13_29
; %bb.26:
	s_cmp_eq_u32 s3, 21
	s_cbranch_scc0 .LBB13_30
; %bb.27:
	s_add_co_i32 s2, s11, 1
	s_mov_b32 s10, 0
	s_branch .LBB13_31
.LBB13_28:
	v_mov_b32_e32 v1, 0
	s_wait_loadcnt 0x0
	s_delay_alu instid0(VALU_DEP_1) | instskip(NEXT) | instid1(VALU_DEP_1)
	v_lshrrev_b64 v[4:5], s12, v[0:1]
	v_and_b32_e32 v3, 7, v4
	s_cbranch_execz .LBB13_24
	s_branch .LBB13_25
.LBB13_29:
	s_mov_b32 s10, 0
                                        ; implicit-def: $sgpr2
	s_cbranch_execnz .LBB13_32
	s_branch .LBB13_33
.LBB13_30:
	s_mov_b32 s10, -1
                                        ; implicit-def: $sgpr2
.LBB13_31:
	s_branch .LBB13_33
.LBB13_32:
	s_cmp_lg_u32 s3, 10
	s_mov_b32 s2, s11
	s_cselect_b32 s10, -1, 0
.LBB13_33:
	s_delay_alu instid0(SALU_CYCLE_1)
	s_and_not1_b32 vcc_lo, exec_lo, s10
	s_mov_b32 s10, 0
	s_cbranch_vccnz .LBB13_40
; %bb.34:
	s_cmp_gt_i32 s3, 21
	s_mul_i32 s12, s3, 3
	s_cbranch_scc1 .LBB13_38
; %bb.35:
	s_cmp_lt_i32 s3, 11
	s_mov_b32 s10, s12
	s_mov_b32 s2, s11
	s_cbranch_scc1 .LBB13_37
; %bb.36:
	s_sub_co_i32 s10, s12, 32
	s_add_co_i32 s2, s11, 1
.LBB13_37:
	s_cbranch_execz .LBB13_39
	s_branch .LBB13_40
.LBB13_38:
                                        ; implicit-def: $sgpr10
                                        ; implicit-def: $sgpr2
.LBB13_39:
	s_sub_co_i32 s10, s12, 64
	s_add_co_i32 s2, s11, 2
.LBB13_40:
	s_wait_loadcnt 0x0
	v_mad_u32 v0, s2, s8, v2
	s_cmp_lt_i32 s3, 21
	s_mov_b32 s11, 0
	global_load_b32 v0, v0, s[4:5] scale_offset
	s_cbranch_scc1 .LBB13_43
; %bb.41:
	s_cmp_eq_u32 s3, 21
	s_cbranch_scc0 .LBB13_44
; %bb.42:
	s_add_co_i32 s12, s2, 1
	s_delay_alu instid0(SALU_CYCLE_1) | instskip(SKIP_4) | instid1(VALU_DEP_1)
	v_mad_u32 v1, s12, s8, v2
	s_mov_b32 s12, 0
	global_load_b32 v1, v1, s[4:5] scale_offset
	s_wait_loadcnt 0x0
	v_alignbit_b32 v1, v1, v0, 31
	v_and_b32_e32 v4, 7, v1
	s_branch .LBB13_45
.LBB13_43:
	s_mov_b32 s12, 0
                                        ; implicit-def: $vgpr4
	s_cbranch_execnz .LBB13_46
	s_branch .LBB13_47
.LBB13_44:
	s_mov_b32 s12, -1
                                        ; implicit-def: $vgpr4
.LBB13_45:
	s_branch .LBB13_47
.LBB13_46:
	s_cmp_lg_u32 s3, 10
	s_mov_b32 s11, -1
	s_cselect_b32 s12, -1, 0
.LBB13_47:
	s_delay_alu instid0(SALU_CYCLE_1)
	s_and_not1_b32 vcc_lo, exec_lo, s12
	s_cbranch_vccz .LBB13_53
; %bb.48:
	s_and_not1_b32 vcc_lo, exec_lo, s11
	s_cbranch_vccnz .LBB13_50
.LBB13_49:
	s_add_co_i32 s2, s2, 1
	s_delay_alu instid0(SALU_CYCLE_1) | instskip(SKIP_3) | instid1(VALU_DEP_1)
	v_mad_u32 v1, s2, s8, v2
	global_load_b32 v1, v1, s[4:5] scale_offset
	s_wait_loadcnt 0x0
	v_alignbit_b32 v0, v1, v0, 30
	v_and_b32_e32 v4, 7, v0
.LBB13_50:
	s_load_b32 s2, s[0:1], 0x8
	s_wait_kmcnt 0x0
	s_ashr_i32 s3, s2, 31
	s_delay_alu instid0(SALU_CYCLE_1) | instskip(NEXT) | instid1(SALU_CYCLE_1)
	s_lshr_b32 s3, s3, 27
	s_add_co_i32 s10, s2, s3
	s_delay_alu instid0(SALU_CYCLE_1)
	s_and_b32 s3, s10, 0xffffffe0
	s_ashr_i32 s11, s10, 5
	s_sub_co_i32 s3, s2, s3
	s_mul_i32 s11, s11, 3
	s_cmp_lt_i32 s3, 21
	s_cbranch_scc1 .LBB13_54
; %bb.51:
	s_cmp_eq_u32 s3, 21
	s_cbranch_scc0 .LBB13_55
; %bb.52:
	s_add_co_i32 s2, s11, 1
	s_mov_b32 s10, 0
	s_branch .LBB13_56
.LBB13_53:
	v_mov_b32_e32 v1, 0
	s_wait_loadcnt 0x0
	s_delay_alu instid0(VALU_DEP_1) | instskip(NEXT) | instid1(VALU_DEP_1)
	v_lshrrev_b64 v[4:5], s10, v[0:1]
	v_and_b32_e32 v4, 7, v4
	s_cbranch_execz .LBB13_49
	s_branch .LBB13_50
.LBB13_54:
	s_mov_b32 s10, 0
                                        ; implicit-def: $sgpr2
	s_cbranch_execnz .LBB13_57
	s_branch .LBB13_58
.LBB13_55:
	s_mov_b32 s10, -1
                                        ; implicit-def: $sgpr2
.LBB13_56:
	s_branch .LBB13_58
.LBB13_57:
	s_cmp_lg_u32 s3, 10
	s_mov_b32 s2, s11
	s_cselect_b32 s10, -1, 0
.LBB13_58:
	s_delay_alu instid0(SALU_CYCLE_1)
	s_and_not1_b32 vcc_lo, exec_lo, s10
	s_mov_b32 s10, 3
	s_cbranch_vccnz .LBB13_65
; %bb.59:
	s_cmp_gt_i32 s3, 21
	s_mul_i32 s12, s3, 3
	s_cbranch_scc1 .LBB13_63
; %bb.60:
	s_cmp_lt_i32 s3, 11
	s_mov_b32 s10, s12
	s_mov_b32 s2, s11
	s_cbranch_scc1 .LBB13_62
; %bb.61:
	s_sub_co_i32 s10, s12, 32
	s_add_co_i32 s2, s11, 1
.LBB13_62:
	s_cbranch_execz .LBB13_64
	s_branch .LBB13_65
.LBB13_63:
                                        ; implicit-def: $sgpr10
                                        ; implicit-def: $sgpr2
.LBB13_64:
	s_sub_co_i32 s10, s12, 64
	s_add_co_i32 s2, s11, 2
.LBB13_65:
	s_wait_loadcnt 0x0
	v_mad_u32 v0, s2, s8, v2
	s_cmp_lt_i32 s3, 21
	s_mov_b32 s11, 0
	global_load_b32 v0, v0, s[4:5] scale_offset
	s_cbranch_scc1 .LBB13_68
; %bb.66:
	s_cmp_eq_u32 s3, 21
	s_cbranch_scc0 .LBB13_69
; %bb.67:
	s_add_co_i32 s12, s2, 1
	s_delay_alu instid0(SALU_CYCLE_1) | instskip(SKIP_4) | instid1(VALU_DEP_1)
	v_mad_u32 v1, s12, s8, v2
	s_mov_b32 s12, 0
	global_load_b32 v1, v1, s[4:5] scale_offset
	s_wait_loadcnt 0x0
	v_alignbit_b32 v1, v1, v0, 31
	v_and_b32_e32 v5, 7, v1
	s_branch .LBB13_70
.LBB13_68:
	s_mov_b32 s12, 0
                                        ; implicit-def: $vgpr5
	s_cbranch_execnz .LBB13_71
	s_branch .LBB13_72
.LBB13_69:
	s_mov_b32 s12, -1
                                        ; implicit-def: $vgpr5
.LBB13_70:
	s_branch .LBB13_72
.LBB13_71:
	s_cmp_lg_u32 s3, 10
	s_mov_b32 s11, -1
	s_cselect_b32 s12, -1, 0
.LBB13_72:
	s_delay_alu instid0(SALU_CYCLE_1)
	s_and_not1_b32 vcc_lo, exec_lo, s12
	s_cbranch_vccz .LBB13_78
; %bb.73:
	s_and_not1_b32 vcc_lo, exec_lo, s11
	s_cbranch_vccnz .LBB13_75
.LBB13_74:
	s_add_co_i32 s2, s2, 1
	s_delay_alu instid0(SALU_CYCLE_1) | instskip(SKIP_3) | instid1(VALU_DEP_1)
	v_mad_u32 v1, s2, s8, v2
	global_load_b32 v1, v1, s[4:5] scale_offset
	s_wait_loadcnt 0x0
	v_alignbit_b32 v0, v1, v0, 30
	v_and_b32_e32 v5, 7, v0
.LBB13_75:
	s_load_b32 s2, s[0:1], 0xc
	s_wait_kmcnt 0x0
	s_ashr_i32 s3, s2, 31
	s_delay_alu instid0(SALU_CYCLE_1) | instskip(NEXT) | instid1(SALU_CYCLE_1)
	s_lshr_b32 s3, s3, 27
	s_add_co_i32 s10, s2, s3
	s_delay_alu instid0(SALU_CYCLE_1)
	s_and_b32 s3, s10, 0xffffffe0
	s_ashr_i32 s11, s10, 5
	s_sub_co_i32 s3, s2, s3
	s_mul_i32 s11, s11, 3
	s_cmp_lt_i32 s3, 21
	s_cbranch_scc1 .LBB13_79
; %bb.76:
	s_cmp_eq_u32 s3, 21
	s_cbranch_scc0 .LBB13_80
; %bb.77:
	s_add_co_i32 s2, s11, 1
	s_mov_b32 s10, 0
	s_branch .LBB13_81
.LBB13_78:
	v_mov_b32_e32 v1, 0
	s_wait_loadcnt 0x0
	s_delay_alu instid0(VALU_DEP_1) | instskip(NEXT) | instid1(VALU_DEP_1)
	v_lshrrev_b64 v[6:7], s10, v[0:1]
	v_and_b32_e32 v5, 7, v6
	s_cbranch_execz .LBB13_74
	s_branch .LBB13_75
.LBB13_79:
	s_mov_b32 s10, 0
                                        ; implicit-def: $sgpr2
	s_cbranch_execnz .LBB13_82
	s_branch .LBB13_83
.LBB13_80:
	s_mov_b32 s10, -1
                                        ; implicit-def: $sgpr2
.LBB13_81:
	s_branch .LBB13_83
.LBB13_82:
	s_cmp_lg_u32 s3, 10
	s_mov_b32 s2, s11
	s_cselect_b32 s10, -1, 0
.LBB13_83:
	s_delay_alu instid0(SALU_CYCLE_1)
	s_and_not1_b32 vcc_lo, exec_lo, s10
	s_mov_b32 s10, 6
	s_cbranch_vccnz .LBB13_90
; %bb.84:
	s_cmp_gt_i32 s3, 21
	s_mul_i32 s12, s3, 3
	s_cbranch_scc1 .LBB13_88
; %bb.85:
	s_cmp_lt_i32 s3, 11
	s_mov_b32 s10, s12
	s_mov_b32 s2, s11
	s_cbranch_scc1 .LBB13_87
; %bb.86:
	s_sub_co_i32 s10, s12, 32
	s_add_co_i32 s2, s11, 1
.LBB13_87:
	s_cbranch_execz .LBB13_89
	s_branch .LBB13_90
.LBB13_88:
                                        ; implicit-def: $sgpr10
                                        ; implicit-def: $sgpr2
.LBB13_89:
	s_sub_co_i32 s10, s12, 64
	s_add_co_i32 s2, s11, 2
.LBB13_90:
	s_wait_loadcnt 0x0
	v_mad_u32 v0, s2, s8, v2
	s_cmp_lt_i32 s3, 21
	s_mov_b32 s11, 0
	global_load_b32 v0, v0, s[4:5] scale_offset
	s_cbranch_scc1 .LBB13_93
; %bb.91:
	s_cmp_eq_u32 s3, 21
	s_cbranch_scc0 .LBB13_94
; %bb.92:
	s_add_co_i32 s12, s2, 1
	s_delay_alu instid0(SALU_CYCLE_1) | instskip(SKIP_4) | instid1(VALU_DEP_1)
	v_mad_u32 v1, s12, s8, v2
	s_mov_b32 s12, 0
	global_load_b32 v1, v1, s[4:5] scale_offset
	s_wait_loadcnt 0x0
	v_alignbit_b32 v1, v1, v0, 31
	v_and_b32_e32 v6, 7, v1
	s_branch .LBB13_95
.LBB13_93:
	s_mov_b32 s12, 0
                                        ; implicit-def: $vgpr6
	s_cbranch_execnz .LBB13_96
	s_branch .LBB13_97
.LBB13_94:
	s_mov_b32 s12, -1
                                        ; implicit-def: $vgpr6
.LBB13_95:
	s_branch .LBB13_97
.LBB13_96:
	s_cmp_lg_u32 s3, 10
	s_mov_b32 s11, -1
	s_cselect_b32 s12, -1, 0
.LBB13_97:
	s_delay_alu instid0(SALU_CYCLE_1)
	s_and_not1_b32 vcc_lo, exec_lo, s12
	s_cbranch_vccz .LBB13_103
; %bb.98:
	s_and_not1_b32 vcc_lo, exec_lo, s11
	s_cbranch_vccnz .LBB13_100
.LBB13_99:
	s_add_co_i32 s2, s2, 1
	s_delay_alu instid0(SALU_CYCLE_1) | instskip(SKIP_3) | instid1(VALU_DEP_1)
	v_mad_u32 v1, s2, s8, v2
	global_load_b32 v1, v1, s[4:5] scale_offset
	s_wait_loadcnt 0x0
	v_alignbit_b32 v0, v1, v0, 30
	v_and_b32_e32 v6, 7, v0
.LBB13_100:
	s_load_b32 s2, s[0:1], 0x10
	s_wait_kmcnt 0x0
	s_ashr_i32 s3, s2, 31
	s_delay_alu instid0(SALU_CYCLE_1) | instskip(NEXT) | instid1(SALU_CYCLE_1)
	s_lshr_b32 s3, s3, 27
	s_add_co_i32 s10, s2, s3
	s_delay_alu instid0(SALU_CYCLE_1)
	s_and_b32 s3, s10, 0xffffffe0
	s_ashr_i32 s11, s10, 5
	s_sub_co_i32 s3, s2, s3
	s_mul_i32 s11, s11, 3
	s_cmp_lt_i32 s3, 21
	s_cbranch_scc1 .LBB13_104
; %bb.101:
	s_cmp_eq_u32 s3, 21
	s_cbranch_scc0 .LBB13_105
; %bb.102:
	s_add_co_i32 s2, s11, 1
	s_mov_b32 s10, 0
	s_branch .LBB13_106
.LBB13_103:
	v_mov_b32_e32 v1, 0
	s_wait_loadcnt 0x0
	s_delay_alu instid0(VALU_DEP_1) | instskip(NEXT) | instid1(VALU_DEP_1)
	v_lshrrev_b64 v[6:7], s10, v[0:1]
	v_and_b32_e32 v6, 7, v6
	s_cbranch_execz .LBB13_99
	s_branch .LBB13_100
.LBB13_104:
	s_mov_b32 s10, 0
                                        ; implicit-def: $sgpr2
	s_cbranch_execnz .LBB13_107
	s_branch .LBB13_108
.LBB13_105:
	s_mov_b32 s10, -1
                                        ; implicit-def: $sgpr2
.LBB13_106:
	s_branch .LBB13_108
.LBB13_107:
	s_cmp_lg_u32 s3, 10
	s_mov_b32 s2, s11
	s_cselect_b32 s10, -1, 0
.LBB13_108:
	s_delay_alu instid0(SALU_CYCLE_1)
	s_and_not1_b32 vcc_lo, exec_lo, s10
	s_mov_b32 s10, 9
	s_cbranch_vccnz .LBB13_115
; %bb.109:
	s_cmp_gt_i32 s3, 21
	s_mul_i32 s12, s3, 3
	s_cbranch_scc1 .LBB13_113
; %bb.110:
	s_cmp_lt_i32 s3, 11
	s_mov_b32 s10, s12
	s_mov_b32 s2, s11
	s_cbranch_scc1 .LBB13_112
; %bb.111:
	s_sub_co_i32 s10, s12, 32
	s_add_co_i32 s2, s11, 1
.LBB13_112:
	s_cbranch_execz .LBB13_114
	s_branch .LBB13_115
.LBB13_113:
                                        ; implicit-def: $sgpr10
                                        ; implicit-def: $sgpr2
.LBB13_114:
	s_sub_co_i32 s10, s12, 64
	s_add_co_i32 s2, s11, 2
.LBB13_115:
	s_wait_loadcnt 0x0
	v_mad_u32 v0, s2, s8, v2
	s_cmp_lt_i32 s3, 21
	s_mov_b32 s11, 0
	global_load_b32 v0, v0, s[4:5] scale_offset
	s_cbranch_scc1 .LBB13_118
; %bb.116:
	s_cmp_eq_u32 s3, 21
	s_cbranch_scc0 .LBB13_119
; %bb.117:
	s_add_co_i32 s12, s2, 1
	s_delay_alu instid0(SALU_CYCLE_1) | instskip(SKIP_4) | instid1(VALU_DEP_1)
	v_mad_u32 v1, s12, s8, v2
	s_mov_b32 s12, 0
	global_load_b32 v1, v1, s[4:5] scale_offset
	s_wait_loadcnt 0x0
	v_alignbit_b32 v1, v1, v0, 31
	v_and_b32_e32 v7, 7, v1
	s_branch .LBB13_120
.LBB13_118:
	s_mov_b32 s12, 0
                                        ; implicit-def: $vgpr7
	s_cbranch_execnz .LBB13_121
	s_branch .LBB13_122
.LBB13_119:
	s_mov_b32 s12, -1
                                        ; implicit-def: $vgpr7
.LBB13_120:
	s_branch .LBB13_122
.LBB13_121:
	s_cmp_lg_u32 s3, 10
	s_mov_b32 s11, -1
	s_cselect_b32 s12, -1, 0
.LBB13_122:
	s_delay_alu instid0(SALU_CYCLE_1)
	s_and_not1_b32 vcc_lo, exec_lo, s12
	s_cbranch_vccz .LBB13_128
; %bb.123:
	s_and_not1_b32 vcc_lo, exec_lo, s11
	s_cbranch_vccnz .LBB13_125
.LBB13_124:
	s_add_co_i32 s2, s2, 1
	s_delay_alu instid0(SALU_CYCLE_1) | instskip(SKIP_3) | instid1(VALU_DEP_1)
	v_mad_u32 v1, s2, s8, v2
	global_load_b32 v1, v1, s[4:5] scale_offset
	s_wait_loadcnt 0x0
	v_alignbit_b32 v0, v1, v0, 30
	v_and_b32_e32 v7, 7, v0
.LBB13_125:
	s_load_b32 s2, s[0:1], 0x14
	s_wait_kmcnt 0x0
	s_ashr_i32 s3, s2, 31
	s_delay_alu instid0(SALU_CYCLE_1) | instskip(NEXT) | instid1(SALU_CYCLE_1)
	s_lshr_b32 s3, s3, 27
	s_add_co_i32 s10, s2, s3
	s_delay_alu instid0(SALU_CYCLE_1)
	s_and_b32 s3, s10, 0xffffffe0
	s_ashr_i32 s11, s10, 5
	s_sub_co_i32 s3, s2, s3
	s_mul_i32 s11, s11, 3
	s_cmp_lt_i32 s3, 21
	s_cbranch_scc1 .LBB13_129
; %bb.126:
	s_cmp_eq_u32 s3, 21
	s_cbranch_scc0 .LBB13_130
; %bb.127:
	s_add_co_i32 s2, s11, 1
	s_mov_b32 s10, 0
	s_branch .LBB13_131
.LBB13_128:
	v_mov_b32_e32 v1, 0
	s_wait_loadcnt 0x0
	s_delay_alu instid0(VALU_DEP_1) | instskip(NEXT) | instid1(VALU_DEP_1)
	v_lshrrev_b64 v[8:9], s10, v[0:1]
	v_and_b32_e32 v7, 7, v8
	s_cbranch_execz .LBB13_124
	s_branch .LBB13_125
.LBB13_129:
	s_mov_b32 s10, 0
                                        ; implicit-def: $sgpr2
	s_cbranch_execnz .LBB13_132
	s_branch .LBB13_133
.LBB13_130:
	s_mov_b32 s10, -1
                                        ; implicit-def: $sgpr2
.LBB13_131:
	s_branch .LBB13_133
.LBB13_132:
	s_cmp_lg_u32 s3, 10
	s_mov_b32 s2, s11
	s_cselect_b32 s10, -1, 0
.LBB13_133:
	s_delay_alu instid0(SALU_CYCLE_1)
	s_and_not1_b32 vcc_lo, exec_lo, s10
	s_mov_b32 s10, 12
	s_cbranch_vccnz .LBB13_140
; %bb.134:
	s_cmp_gt_i32 s3, 21
	s_mul_i32 s12, s3, 3
	s_cbranch_scc1 .LBB13_138
; %bb.135:
	s_cmp_lt_i32 s3, 11
	s_mov_b32 s10, s12
	s_mov_b32 s2, s11
	s_cbranch_scc1 .LBB13_137
; %bb.136:
	s_sub_co_i32 s10, s12, 32
	s_add_co_i32 s2, s11, 1
.LBB13_137:
	s_cbranch_execz .LBB13_139
	s_branch .LBB13_140
.LBB13_138:
                                        ; implicit-def: $sgpr10
                                        ; implicit-def: $sgpr2
.LBB13_139:
	s_sub_co_i32 s10, s12, 64
	s_add_co_i32 s2, s11, 2
.LBB13_140:
	s_wait_loadcnt 0x0
	v_mad_u32 v0, s2, s8, v2
	s_cmp_lt_i32 s3, 21
	s_mov_b32 s11, 0
	global_load_b32 v0, v0, s[4:5] scale_offset
	s_cbranch_scc1 .LBB13_143
; %bb.141:
	s_cmp_eq_u32 s3, 21
	s_cbranch_scc0 .LBB13_144
; %bb.142:
	s_add_co_i32 s12, s2, 1
	s_delay_alu instid0(SALU_CYCLE_1) | instskip(SKIP_4) | instid1(VALU_DEP_1)
	v_mad_u32 v1, s12, s8, v2
	s_mov_b32 s12, 0
	global_load_b32 v1, v1, s[4:5] scale_offset
	s_wait_loadcnt 0x0
	v_alignbit_b32 v1, v1, v0, 31
	v_and_b32_e32 v8, 7, v1
	s_branch .LBB13_145
.LBB13_143:
	s_mov_b32 s12, 0
                                        ; implicit-def: $vgpr8
	s_cbranch_execnz .LBB13_146
	s_branch .LBB13_147
.LBB13_144:
	s_mov_b32 s12, -1
                                        ; implicit-def: $vgpr8
.LBB13_145:
	s_branch .LBB13_147
.LBB13_146:
	s_cmp_lg_u32 s3, 10
	s_mov_b32 s11, -1
	s_cselect_b32 s12, -1, 0
.LBB13_147:
	s_delay_alu instid0(SALU_CYCLE_1)
	s_and_not1_b32 vcc_lo, exec_lo, s12
	s_cbranch_vccz .LBB13_153
; %bb.148:
	s_and_not1_b32 vcc_lo, exec_lo, s11
	s_cbranch_vccnz .LBB13_150
.LBB13_149:
	s_add_co_i32 s2, s2, 1
	s_delay_alu instid0(SALU_CYCLE_1) | instskip(SKIP_3) | instid1(VALU_DEP_1)
	v_mad_u32 v1, s2, s8, v2
	global_load_b32 v1, v1, s[4:5] scale_offset
	s_wait_loadcnt 0x0
	v_alignbit_b32 v0, v1, v0, 30
	v_and_b32_e32 v8, 7, v0
.LBB13_150:
	s_load_b32 s2, s[0:1], 0x18
	s_wait_kmcnt 0x0
	s_ashr_i32 s3, s2, 31
	s_delay_alu instid0(SALU_CYCLE_1) | instskip(NEXT) | instid1(SALU_CYCLE_1)
	s_lshr_b32 s3, s3, 27
	s_add_co_i32 s10, s2, s3
	s_delay_alu instid0(SALU_CYCLE_1)
	s_and_b32 s3, s10, 0xffffffe0
	s_ashr_i32 s11, s10, 5
	s_sub_co_i32 s3, s2, s3
	s_mul_i32 s11, s11, 3
	s_cmp_lt_i32 s3, 21
	s_cbranch_scc1 .LBB13_154
; %bb.151:
	s_cmp_eq_u32 s3, 21
	s_cbranch_scc0 .LBB13_155
; %bb.152:
	s_add_co_i32 s2, s11, 1
	s_mov_b32 s10, 0
	s_branch .LBB13_156
.LBB13_153:
	v_mov_b32_e32 v1, 0
	s_wait_loadcnt 0x0
	s_delay_alu instid0(VALU_DEP_1) | instskip(NEXT) | instid1(VALU_DEP_1)
	v_lshrrev_b64 v[8:9], s10, v[0:1]
	v_and_b32_e32 v8, 7, v8
	s_cbranch_execz .LBB13_149
	s_branch .LBB13_150
.LBB13_154:
	s_mov_b32 s10, 0
                                        ; implicit-def: $sgpr2
	s_cbranch_execnz .LBB13_157
	s_branch .LBB13_158
.LBB13_155:
	s_mov_b32 s10, -1
                                        ; implicit-def: $sgpr2
.LBB13_156:
	s_branch .LBB13_158
.LBB13_157:
	s_cmp_lg_u32 s3, 10
	s_mov_b32 s2, s11
	s_cselect_b32 s10, -1, 0
.LBB13_158:
	s_delay_alu instid0(SALU_CYCLE_1)
	s_and_not1_b32 vcc_lo, exec_lo, s10
	s_mov_b32 s10, 15
	s_cbranch_vccnz .LBB13_165
; %bb.159:
	s_cmp_gt_i32 s3, 21
	s_mul_i32 s12, s3, 3
	s_cbranch_scc1 .LBB13_163
; %bb.160:
	s_cmp_lt_i32 s3, 11
	s_mov_b32 s10, s12
	s_mov_b32 s2, s11
	s_cbranch_scc1 .LBB13_162
; %bb.161:
	s_sub_co_i32 s10, s12, 32
	s_add_co_i32 s2, s11, 1
.LBB13_162:
	s_cbranch_execz .LBB13_164
	s_branch .LBB13_165
.LBB13_163:
                                        ; implicit-def: $sgpr10
                                        ; implicit-def: $sgpr2
.LBB13_164:
	s_sub_co_i32 s10, s12, 64
	s_add_co_i32 s2, s11, 2
.LBB13_165:
	s_wait_loadcnt 0x0
	v_mad_u32 v0, s2, s8, v2
	s_cmp_lt_i32 s3, 21
	s_mov_b32 s11, 0
	global_load_b32 v0, v0, s[4:5] scale_offset
	s_cbranch_scc1 .LBB13_168
; %bb.166:
	s_cmp_eq_u32 s3, 21
	s_cbranch_scc0 .LBB13_169
; %bb.167:
	s_add_co_i32 s12, s2, 1
	s_delay_alu instid0(SALU_CYCLE_1) | instskip(SKIP_4) | instid1(VALU_DEP_1)
	v_mad_u32 v1, s12, s8, v2
	s_mov_b32 s12, 0
	global_load_b32 v1, v1, s[4:5] scale_offset
	s_wait_loadcnt 0x0
	v_alignbit_b32 v1, v1, v0, 31
	v_and_b32_e32 v9, 7, v1
	s_branch .LBB13_170
.LBB13_168:
	s_mov_b32 s12, 0
                                        ; implicit-def: $vgpr9
	s_cbranch_execnz .LBB13_171
	s_branch .LBB13_172
.LBB13_169:
	s_mov_b32 s12, -1
                                        ; implicit-def: $vgpr9
.LBB13_170:
	s_branch .LBB13_172
.LBB13_171:
	s_cmp_lg_u32 s3, 10
	s_mov_b32 s11, -1
	s_cselect_b32 s12, -1, 0
.LBB13_172:
	s_delay_alu instid0(SALU_CYCLE_1)
	s_and_not1_b32 vcc_lo, exec_lo, s12
	s_cbranch_vccz .LBB13_178
; %bb.173:
	s_and_not1_b32 vcc_lo, exec_lo, s11
	s_cbranch_vccnz .LBB13_175
.LBB13_174:
	s_add_co_i32 s2, s2, 1
	s_delay_alu instid0(SALU_CYCLE_1) | instskip(SKIP_3) | instid1(VALU_DEP_1)
	v_mad_u32 v1, s2, s8, v2
	global_load_b32 v1, v1, s[4:5] scale_offset
	s_wait_loadcnt 0x0
	v_alignbit_b32 v0, v1, v0, 30
	v_and_b32_e32 v9, 7, v0
.LBB13_175:
	s_load_b32 s2, s[0:1], 0x1c
	s_wait_kmcnt 0x0
	s_ashr_i32 s3, s2, 31
	s_delay_alu instid0(SALU_CYCLE_1) | instskip(NEXT) | instid1(SALU_CYCLE_1)
	s_lshr_b32 s3, s3, 27
	s_add_co_i32 s10, s2, s3
	s_delay_alu instid0(SALU_CYCLE_1)
	s_and_b32 s3, s10, 0xffffffe0
	s_ashr_i32 s11, s10, 5
	s_sub_co_i32 s3, s2, s3
	s_mul_i32 s11, s11, 3
	s_cmp_lt_i32 s3, 21
	s_cbranch_scc1 .LBB13_179
; %bb.176:
	s_cmp_eq_u32 s3, 21
	s_cbranch_scc0 .LBB13_180
; %bb.177:
	s_add_co_i32 s2, s11, 1
	s_mov_b32 s10, 0
	s_branch .LBB13_181
.LBB13_178:
	v_mov_b32_e32 v1, 0
	s_wait_loadcnt 0x0
	s_delay_alu instid0(VALU_DEP_1) | instskip(NEXT) | instid1(VALU_DEP_1)
	v_lshrrev_b64 v[10:11], s10, v[0:1]
	v_and_b32_e32 v9, 7, v10
	s_cbranch_execz .LBB13_174
	s_branch .LBB13_175
.LBB13_179:
	s_mov_b32 s10, 0
                                        ; implicit-def: $sgpr2
	s_cbranch_execnz .LBB13_182
	s_branch .LBB13_183
.LBB13_180:
	s_mov_b32 s10, -1
                                        ; implicit-def: $sgpr2
.LBB13_181:
	s_branch .LBB13_183
.LBB13_182:
	s_cmp_lg_u32 s3, 10
	s_mov_b32 s2, s11
	s_cselect_b32 s10, -1, 0
.LBB13_183:
	s_delay_alu instid0(SALU_CYCLE_1)
	s_and_not1_b32 vcc_lo, exec_lo, s10
	s_mov_b32 s10, 18
	s_cbranch_vccnz .LBB13_190
; %bb.184:
	s_cmp_gt_i32 s3, 21
	s_mul_i32 s12, s3, 3
	s_cbranch_scc1 .LBB13_188
; %bb.185:
	s_cmp_lt_i32 s3, 11
	s_mov_b32 s10, s12
	s_mov_b32 s2, s11
	s_cbranch_scc1 .LBB13_187
; %bb.186:
	s_sub_co_i32 s10, s12, 32
	s_add_co_i32 s2, s11, 1
.LBB13_187:
	s_cbranch_execz .LBB13_189
	s_branch .LBB13_190
.LBB13_188:
                                        ; implicit-def: $sgpr10
                                        ; implicit-def: $sgpr2
.LBB13_189:
	s_sub_co_i32 s10, s12, 64
	s_add_co_i32 s2, s11, 2
.LBB13_190:
	s_wait_loadcnt 0x0
	v_mad_u32 v0, s2, s8, v2
	s_cmp_lt_i32 s3, 21
	s_mov_b32 s11, 0
	global_load_b32 v0, v0, s[4:5] scale_offset
	s_cbranch_scc1 .LBB13_193
; %bb.191:
	s_cmp_eq_u32 s3, 21
	s_cbranch_scc0 .LBB13_194
; %bb.192:
	s_add_co_i32 s12, s2, 1
	s_delay_alu instid0(SALU_CYCLE_1) | instskip(SKIP_4) | instid1(VALU_DEP_1)
	v_mad_u32 v1, s12, s8, v2
	s_mov_b32 s12, 0
	global_load_b32 v1, v1, s[4:5] scale_offset
	s_wait_loadcnt 0x0
	v_alignbit_b32 v1, v1, v0, 31
	v_and_b32_e32 v10, 7, v1
	s_branch .LBB13_195
.LBB13_193:
	s_mov_b32 s12, 0
                                        ; implicit-def: $vgpr10
	s_cbranch_execnz .LBB13_196
	s_branch .LBB13_197
.LBB13_194:
	s_mov_b32 s12, -1
                                        ; implicit-def: $vgpr10
.LBB13_195:
	s_branch .LBB13_197
.LBB13_196:
	s_cmp_lg_u32 s3, 10
	s_mov_b32 s11, -1
	s_cselect_b32 s12, -1, 0
.LBB13_197:
	s_delay_alu instid0(SALU_CYCLE_1)
	s_and_not1_b32 vcc_lo, exec_lo, s12
	s_cbranch_vccz .LBB13_203
; %bb.198:
	s_and_not1_b32 vcc_lo, exec_lo, s11
	s_cbranch_vccnz .LBB13_200
.LBB13_199:
	s_add_co_i32 s2, s2, 1
	s_delay_alu instid0(SALU_CYCLE_1) | instskip(SKIP_3) | instid1(VALU_DEP_1)
	v_mad_u32 v1, s2, s8, v2
	global_load_b32 v1, v1, s[4:5] scale_offset
	s_wait_loadcnt 0x0
	v_alignbit_b32 v0, v1, v0, 30
	v_and_b32_e32 v10, 7, v0
.LBB13_200:
	s_load_b32 s2, s[0:1], 0x20
	s_wait_kmcnt 0x0
	s_ashr_i32 s3, s2, 31
	s_delay_alu instid0(SALU_CYCLE_1) | instskip(NEXT) | instid1(SALU_CYCLE_1)
	s_lshr_b32 s3, s3, 27
	s_add_co_i32 s10, s2, s3
	s_delay_alu instid0(SALU_CYCLE_1)
	s_and_b32 s3, s10, 0xffffffe0
	s_ashr_i32 s11, s10, 5
	s_sub_co_i32 s3, s2, s3
	s_mul_i32 s11, s11, 3
	s_cmp_lt_i32 s3, 21
	s_cbranch_scc1 .LBB13_204
; %bb.201:
	s_cmp_eq_u32 s3, 21
	s_cbranch_scc0 .LBB13_205
; %bb.202:
	s_add_co_i32 s2, s11, 1
	s_mov_b32 s10, 0
	s_branch .LBB13_206
.LBB13_203:
	v_mov_b32_e32 v1, 0
	s_wait_loadcnt 0x0
	s_delay_alu instid0(VALU_DEP_1) | instskip(NEXT) | instid1(VALU_DEP_1)
	v_lshrrev_b64 v[10:11], s10, v[0:1]
	v_and_b32_e32 v10, 7, v10
	s_cbranch_execz .LBB13_199
	s_branch .LBB13_200
.LBB13_204:
	s_mov_b32 s10, 0
                                        ; implicit-def: $sgpr2
	s_cbranch_execnz .LBB13_207
	s_branch .LBB13_208
.LBB13_205:
	s_mov_b32 s10, -1
                                        ; implicit-def: $sgpr2
.LBB13_206:
	s_branch .LBB13_208
.LBB13_207:
	s_cmp_lg_u32 s3, 10
	s_mov_b32 s2, s11
	s_cselect_b32 s10, -1, 0
.LBB13_208:
	s_delay_alu instid0(SALU_CYCLE_1)
	s_and_not1_b32 vcc_lo, exec_lo, s10
	s_mov_b32 s10, 21
	s_cbranch_vccnz .LBB13_215
; %bb.209:
	s_cmp_gt_i32 s3, 21
	s_mul_i32 s12, s3, 3
	s_cbranch_scc1 .LBB13_213
; %bb.210:
	s_cmp_lt_i32 s3, 11
	s_mov_b32 s10, s12
	s_mov_b32 s2, s11
	s_cbranch_scc1 .LBB13_212
; %bb.211:
	s_sub_co_i32 s10, s12, 32
	s_add_co_i32 s2, s11, 1
.LBB13_212:
	s_cbranch_execz .LBB13_214
	s_branch .LBB13_215
.LBB13_213:
                                        ; implicit-def: $sgpr10
                                        ; implicit-def: $sgpr2
.LBB13_214:
	s_sub_co_i32 s10, s12, 64
	s_add_co_i32 s2, s11, 2
.LBB13_215:
	s_wait_loadcnt 0x0
	v_mad_u32 v0, s2, s8, v2
	s_cmp_lt_i32 s3, 21
	s_mov_b32 s11, 0
	global_load_b32 v0, v0, s[4:5] scale_offset
	s_cbranch_scc1 .LBB13_218
; %bb.216:
	s_cmp_eq_u32 s3, 21
	s_cbranch_scc0 .LBB13_219
; %bb.217:
	s_add_co_i32 s12, s2, 1
	s_delay_alu instid0(SALU_CYCLE_1) | instskip(SKIP_4) | instid1(VALU_DEP_1)
	v_mad_u32 v1, s12, s8, v2
	s_mov_b32 s12, 0
	global_load_b32 v1, v1, s[4:5] scale_offset
	s_wait_loadcnt 0x0
	v_alignbit_b32 v1, v1, v0, 31
	v_and_b32_e32 v11, 7, v1
	s_branch .LBB13_220
.LBB13_218:
	s_mov_b32 s12, 0
                                        ; implicit-def: $vgpr11
	s_cbranch_execnz .LBB13_221
	s_branch .LBB13_222
.LBB13_219:
	s_mov_b32 s12, -1
                                        ; implicit-def: $vgpr11
.LBB13_220:
	s_branch .LBB13_222
.LBB13_221:
	s_cmp_lg_u32 s3, 10
	s_mov_b32 s11, -1
	s_cselect_b32 s12, -1, 0
.LBB13_222:
	s_delay_alu instid0(SALU_CYCLE_1)
	s_and_not1_b32 vcc_lo, exec_lo, s12
	s_cbranch_vccz .LBB13_228
; %bb.223:
	s_and_not1_b32 vcc_lo, exec_lo, s11
	s_cbranch_vccnz .LBB13_225
.LBB13_224:
	s_add_co_i32 s2, s2, 1
	s_delay_alu instid0(SALU_CYCLE_1) | instskip(SKIP_3) | instid1(VALU_DEP_1)
	v_mad_u32 v1, s2, s8, v2
	global_load_b32 v1, v1, s[4:5] scale_offset
	s_wait_loadcnt 0x0
	v_alignbit_b32 v0, v1, v0, 30
	v_and_b32_e32 v11, 7, v0
.LBB13_225:
	s_load_b32 s2, s[0:1], 0x24
	s_wait_kmcnt 0x0
	s_ashr_i32 s3, s2, 31
	s_delay_alu instid0(SALU_CYCLE_1) | instskip(NEXT) | instid1(SALU_CYCLE_1)
	s_lshr_b32 s3, s3, 27
	s_add_co_i32 s10, s2, s3
	s_delay_alu instid0(SALU_CYCLE_1)
	s_and_b32 s3, s10, 0xffffffe0
	s_ashr_i32 s11, s10, 5
	s_sub_co_i32 s3, s2, s3
	s_mul_i32 s11, s11, 3
	s_cmp_lt_i32 s3, 21
	s_cbranch_scc1 .LBB13_229
; %bb.226:
	s_cmp_eq_u32 s3, 21
	s_cbranch_scc0 .LBB13_230
; %bb.227:
	s_add_co_i32 s2, s11, 1
	s_mov_b32 s10, 0
	s_branch .LBB13_231
.LBB13_228:
	v_mov_b32_e32 v1, 0
	s_wait_loadcnt 0x0
	s_delay_alu instid0(VALU_DEP_1) | instskip(NEXT) | instid1(VALU_DEP_1)
	v_lshrrev_b64 v[12:13], s10, v[0:1]
	v_and_b32_e32 v11, 7, v12
	s_cbranch_execz .LBB13_224
	s_branch .LBB13_225
.LBB13_229:
	s_mov_b32 s10, 0
                                        ; implicit-def: $sgpr2
	s_cbranch_execnz .LBB13_232
	s_branch .LBB13_233
.LBB13_230:
	s_mov_b32 s10, -1
                                        ; implicit-def: $sgpr2
.LBB13_231:
	s_branch .LBB13_233
.LBB13_232:
	s_cmp_lg_u32 s3, 10
	s_mov_b32 s2, s11
	s_cselect_b32 s10, -1, 0
.LBB13_233:
	s_delay_alu instid0(SALU_CYCLE_1)
	s_and_not1_b32 vcc_lo, exec_lo, s10
	s_mov_b32 s10, 24
	s_cbranch_vccnz .LBB13_240
; %bb.234:
	s_cmp_gt_i32 s3, 21
	s_mul_i32 s12, s3, 3
	s_cbranch_scc1 .LBB13_238
; %bb.235:
	s_cmp_lt_i32 s3, 11
	s_mov_b32 s10, s12
	s_mov_b32 s2, s11
	s_cbranch_scc1 .LBB13_237
; %bb.236:
	s_sub_co_i32 s10, s12, 32
	s_add_co_i32 s2, s11, 1
.LBB13_237:
	s_cbranch_execz .LBB13_239
	s_branch .LBB13_240
.LBB13_238:
                                        ; implicit-def: $sgpr10
                                        ; implicit-def: $sgpr2
.LBB13_239:
	s_sub_co_i32 s10, s12, 64
	s_add_co_i32 s2, s11, 2
.LBB13_240:
	s_wait_loadcnt 0x0
	v_mad_u32 v0, s2, s8, v2
	s_cmp_lt_i32 s3, 21
	s_mov_b32 s11, 0
	global_load_b32 v0, v0, s[4:5] scale_offset
	s_cbranch_scc1 .LBB13_243
; %bb.241:
	s_cmp_eq_u32 s3, 21
	s_cbranch_scc0 .LBB13_244
; %bb.242:
	s_add_co_i32 s12, s2, 1
	s_delay_alu instid0(SALU_CYCLE_1) | instskip(SKIP_4) | instid1(VALU_DEP_1)
	v_mad_u32 v1, s12, s8, v2
	s_mov_b32 s12, 0
	global_load_b32 v1, v1, s[4:5] scale_offset
	s_wait_loadcnt 0x0
	v_alignbit_b32 v1, v1, v0, 31
	v_and_b32_e32 v12, 7, v1
	s_branch .LBB13_245
.LBB13_243:
	s_mov_b32 s12, 0
                                        ; implicit-def: $vgpr12
	s_cbranch_execnz .LBB13_246
	s_branch .LBB13_247
.LBB13_244:
	s_mov_b32 s12, -1
                                        ; implicit-def: $vgpr12
.LBB13_245:
	s_branch .LBB13_247
.LBB13_246:
	s_cmp_lg_u32 s3, 10
	s_mov_b32 s11, -1
	s_cselect_b32 s12, -1, 0
.LBB13_247:
	s_delay_alu instid0(SALU_CYCLE_1)
	s_and_not1_b32 vcc_lo, exec_lo, s12
	s_cbranch_vccz .LBB13_253
; %bb.248:
	s_and_not1_b32 vcc_lo, exec_lo, s11
	s_cbranch_vccnz .LBB13_250
.LBB13_249:
	s_add_co_i32 s2, s2, 1
	s_delay_alu instid0(SALU_CYCLE_1) | instskip(SKIP_3) | instid1(VALU_DEP_1)
	v_mad_u32 v1, s2, s8, v2
	global_load_b32 v1, v1, s[4:5] scale_offset
	s_wait_loadcnt 0x0
	v_alignbit_b32 v0, v1, v0, 30
	v_and_b32_e32 v12, 7, v0
.LBB13_250:
	s_load_b32 s2, s[0:1], 0x28
	s_wait_kmcnt 0x0
	s_ashr_i32 s3, s2, 31
	s_delay_alu instid0(SALU_CYCLE_1) | instskip(NEXT) | instid1(SALU_CYCLE_1)
	s_lshr_b32 s3, s3, 27
	s_add_co_i32 s3, s2, s3
	s_delay_alu instid0(SALU_CYCLE_1)
	s_and_b32 s10, s3, 0xffffffe0
	s_ashr_i32 s11, s3, 5
	s_sub_co_i32 s10, s2, s10
	s_mul_i32 s11, s11, 3
	s_cmp_lt_i32 s10, 21
	s_cbranch_scc1 .LBB13_254
; %bb.251:
	s_cmp_eq_u32 s10, 21
	s_cbranch_scc0 .LBB13_255
; %bb.252:
	s_add_co_i32 s3, s11, 1
	s_mov_b32 s2, 0
	s_branch .LBB13_256
.LBB13_253:
	v_mov_b32_e32 v1, 0
	s_wait_loadcnt 0x0
	s_delay_alu instid0(VALU_DEP_1) | instskip(NEXT) | instid1(VALU_DEP_1)
	v_lshrrev_b64 v[12:13], s10, v[0:1]
	v_and_b32_e32 v12, 7, v12
	s_cbranch_execz .LBB13_249
	s_branch .LBB13_250
.LBB13_254:
	s_mov_b32 s2, 0
                                        ; implicit-def: $sgpr3
	s_cbranch_execnz .LBB13_257
	s_branch .LBB13_258
.LBB13_255:
	s_mov_b32 s2, -1
                                        ; implicit-def: $sgpr3
.LBB13_256:
	s_branch .LBB13_258
.LBB13_257:
	s_cmp_lg_u32 s10, 10
	s_mov_b32 s3, s11
	s_cselect_b32 s2, -1, 0
.LBB13_258:
	s_delay_alu instid0(SALU_CYCLE_1)
	s_and_not1_b32 vcc_lo, exec_lo, s2
	s_mov_b32 s2, 27
	s_cbranch_vccnz .LBB13_265
; %bb.259:
	s_cmp_gt_i32 s10, 21
	s_mul_i32 s12, s10, 3
	s_cbranch_scc1 .LBB13_263
; %bb.260:
	s_cmp_lt_i32 s10, 11
	s_mov_b32 s2, s12
	s_mov_b32 s3, s11
	s_cbranch_scc1 .LBB13_262
; %bb.261:
	s_sub_co_i32 s2, s12, 32
	s_add_co_i32 s3, s11, 1
.LBB13_262:
	s_cbranch_execz .LBB13_264
	s_branch .LBB13_265
.LBB13_263:
                                        ; implicit-def: $sgpr2
                                        ; implicit-def: $sgpr3
.LBB13_264:
	s_sub_co_i32 s2, s12, 64
	s_add_co_i32 s3, s11, 2
.LBB13_265:
	s_wait_loadcnt 0x0
	v_mad_u32 v0, s3, s8, v2
	s_cmp_lt_i32 s10, 21
	s_mov_b32 s11, 0
	global_load_b32 v0, v0, s[4:5] scale_offset
	s_cbranch_scc1 .LBB13_268
; %bb.266:
	s_cmp_eq_u32 s10, 21
	s_cbranch_scc0 .LBB13_269
; %bb.267:
	s_add_co_i32 s12, s3, 1
	s_delay_alu instid0(SALU_CYCLE_1) | instskip(SKIP_4) | instid1(VALU_DEP_1)
	v_mad_u32 v1, s12, s8, v2
	s_mov_b32 s12, 0
	global_load_b32 v1, v1, s[4:5] scale_offset
	s_wait_loadcnt 0x0
	v_alignbit_b32 v1, v1, v0, 31
	v_and_b32_e32 v13, 7, v1
	s_branch .LBB13_270
.LBB13_268:
	s_mov_b32 s12, 0
                                        ; implicit-def: $vgpr13
	s_cbranch_execnz .LBB13_271
	s_branch .LBB13_272
.LBB13_269:
	s_mov_b32 s12, -1
                                        ; implicit-def: $vgpr13
.LBB13_270:
	s_branch .LBB13_272
.LBB13_271:
	s_cmp_lg_u32 s10, 10
	s_mov_b32 s11, -1
	s_cselect_b32 s12, -1, 0
.LBB13_272:
	s_delay_alu instid0(SALU_CYCLE_1)
	s_and_not1_b32 vcc_lo, exec_lo, s12
	s_cbranch_vccz .LBB13_278
; %bb.273:
	s_and_not1_b32 vcc_lo, exec_lo, s11
	s_cbranch_vccnz .LBB13_275
.LBB13_274:
	s_add_co_i32 s3, s3, 1
	s_delay_alu instid0(SALU_CYCLE_1) | instskip(SKIP_3) | instid1(VALU_DEP_1)
	v_mad_u32 v1, s3, s8, v2
	global_load_b32 v1, v1, s[4:5] scale_offset
	s_wait_loadcnt 0x0
	v_alignbit_b32 v0, v1, v0, 30
	v_and_b32_e32 v13, 7, v0
.LBB13_275:
	s_load_b32 s3, s[0:1], 0x2c
	s_wait_kmcnt 0x0
	s_ashr_i32 s10, s3, 31
	s_delay_alu instid0(SALU_CYCLE_1) | instskip(NEXT) | instid1(SALU_CYCLE_1)
	s_lshr_b32 s10, s10, 27
	s_add_co_i32 s11, s3, s10
	s_delay_alu instid0(SALU_CYCLE_1)
	s_and_b32 s10, s11, 0xffffffe0
	s_ashr_i32 s11, s11, 5
	s_sub_co_i32 s10, s3, s10
	s_mul_i32 s11, s11, 3
	s_cmp_lt_i32 s10, 21
	s_cbranch_scc1 .LBB13_279
; %bb.276:
	s_cmp_eq_u32 s10, 21
	s_cbranch_scc0 .LBB13_280
; %bb.277:
	s_add_co_i32 s3, s11, 1
	s_mov_b32 s12, 0
	s_branch .LBB13_281
.LBB13_278:
	v_mov_b32_e32 v1, 0
	s_wait_loadcnt 0x0
	s_delay_alu instid0(VALU_DEP_1) | instskip(NEXT) | instid1(VALU_DEP_1)
	v_lshrrev_b64 v[14:15], s2, v[0:1]
	v_and_b32_e32 v13, 7, v14
	s_cbranch_execz .LBB13_274
	s_branch .LBB13_275
.LBB13_279:
	s_mov_b32 s12, 0
                                        ; implicit-def: $sgpr3
	s_cbranch_execnz .LBB13_282
	s_branch .LBB13_283
.LBB13_280:
	s_mov_b32 s12, -1
                                        ; implicit-def: $sgpr3
.LBB13_281:
	s_branch .LBB13_283
.LBB13_282:
	s_cmp_lg_u32 s10, 10
	s_mov_b32 s3, s11
	s_cselect_b32 s12, -1, 0
.LBB13_283:
	s_delay_alu instid0(SALU_CYCLE_1)
	s_and_not1_b32 vcc_lo, exec_lo, s12
	s_cbranch_vccnz .LBB13_290
; %bb.284:
	s_cmp_gt_i32 s10, 21
	s_mul_i32 s12, s10, 3
	s_cbranch_scc1 .LBB13_288
; %bb.285:
	s_cmp_lt_i32 s10, 11
	s_mov_b32 s2, s12
	s_mov_b32 s3, s11
	s_cbranch_scc1 .LBB13_287
; %bb.286:
	s_sub_co_i32 s2, s12, 32
	s_add_co_i32 s3, s11, 1
.LBB13_287:
	s_cbranch_execz .LBB13_289
	s_branch .LBB13_290
.LBB13_288:
                                        ; implicit-def: $sgpr2
                                        ; implicit-def: $sgpr3
.LBB13_289:
	s_sub_co_i32 s2, s12, 64
	s_add_co_i32 s3, s11, 2
.LBB13_290:
	s_wait_loadcnt 0x0
	v_mad_u32 v0, s3, s8, v2
	s_cmp_lt_i32 s10, 21
	s_mov_b32 s11, 0
	global_load_b32 v0, v0, s[4:5] scale_offset
	s_cbranch_scc1 .LBB13_293
; %bb.291:
	s_cmp_eq_u32 s10, 21
	s_cbranch_scc0 .LBB13_294
; %bb.292:
	s_add_co_i32 s12, s3, 1
	s_delay_alu instid0(SALU_CYCLE_1) | instskip(SKIP_4) | instid1(VALU_DEP_1)
	v_mad_u32 v1, s12, s8, v2
	s_mov_b32 s12, 0
	global_load_b32 v1, v1, s[4:5] scale_offset
	s_wait_loadcnt 0x0
	v_alignbit_b32 v1, v1, v0, 31
	v_and_b32_e32 v14, 7, v1
	s_branch .LBB13_295
.LBB13_293:
	s_mov_b32 s12, 0
                                        ; implicit-def: $vgpr14
	s_cbranch_execnz .LBB13_296
	s_branch .LBB13_297
.LBB13_294:
	s_mov_b32 s12, -1
                                        ; implicit-def: $vgpr14
.LBB13_295:
	s_branch .LBB13_297
.LBB13_296:
	s_cmp_lg_u32 s10, 10
	s_mov_b32 s11, -1
	s_cselect_b32 s12, -1, 0
.LBB13_297:
	s_delay_alu instid0(SALU_CYCLE_1)
	s_and_not1_b32 vcc_lo, exec_lo, s12
	s_cbranch_vccz .LBB13_303
; %bb.298:
	s_and_not1_b32 vcc_lo, exec_lo, s11
	s_cbranch_vccnz .LBB13_300
.LBB13_299:
	s_add_co_i32 s2, s3, 1
	s_delay_alu instid0(SALU_CYCLE_1) | instskip(SKIP_3) | instid1(VALU_DEP_1)
	v_mad_u32 v1, s2, s8, v2
	global_load_b32 v1, v1, s[4:5] scale_offset
	s_wait_loadcnt 0x0
	v_alignbit_b32 v0, v1, v0, 30
	v_and_b32_e32 v14, 7, v0
.LBB13_300:
	s_load_b32 s2, s[0:1], 0x30
	s_wait_kmcnt 0x0
	s_ashr_i32 s3, s2, 31
	s_delay_alu instid0(SALU_CYCLE_1) | instskip(NEXT) | instid1(SALU_CYCLE_1)
	s_lshr_b32 s3, s3, 27
	s_add_co_i32 s10, s2, s3
	s_delay_alu instid0(SALU_CYCLE_1)
	s_and_b32 s3, s10, 0xffffffe0
	s_ashr_i32 s11, s10, 5
	s_sub_co_i32 s3, s2, s3
	s_mul_i32 s11, s11, 3
	s_cmp_lt_i32 s3, 21
	s_cbranch_scc1 .LBB13_304
; %bb.301:
	s_cmp_eq_u32 s3, 21
	s_cbranch_scc0 .LBB13_305
; %bb.302:
	s_add_co_i32 s2, s11, 1
	s_mov_b32 s10, 0
	s_branch .LBB13_306
.LBB13_303:
	v_mov_b32_e32 v1, 0
	s_wait_loadcnt 0x0
	s_delay_alu instid0(VALU_DEP_1) | instskip(NEXT) | instid1(VALU_DEP_1)
	v_lshrrev_b64 v[14:15], s2, v[0:1]
	v_and_b32_e32 v14, 7, v14
	s_cbranch_execz .LBB13_299
	s_branch .LBB13_300
.LBB13_304:
	s_mov_b32 s10, 0
                                        ; implicit-def: $sgpr2
	s_cbranch_execnz .LBB13_307
	s_branch .LBB13_308
.LBB13_305:
	s_mov_b32 s10, -1
                                        ; implicit-def: $sgpr2
.LBB13_306:
	s_branch .LBB13_308
.LBB13_307:
	s_cmp_lg_u32 s3, 10
	s_mov_b32 s2, s11
	s_cselect_b32 s10, -1, 0
.LBB13_308:
	s_delay_alu instid0(SALU_CYCLE_1)
	s_and_not1_b32 vcc_lo, exec_lo, s10
	s_mov_b32 s10, 1
	s_cbranch_vccnz .LBB13_315
; %bb.309:
	s_cmp_gt_i32 s3, 21
	s_mul_i32 s12, s3, 3
	s_cbranch_scc1 .LBB13_313
; %bb.310:
	s_cmp_lt_i32 s3, 11
	s_mov_b32 s10, s12
	s_mov_b32 s2, s11
	s_cbranch_scc1 .LBB13_312
; %bb.311:
	s_sub_co_i32 s10, s12, 32
	s_add_co_i32 s2, s11, 1
.LBB13_312:
	s_cbranch_execz .LBB13_314
	s_branch .LBB13_315
.LBB13_313:
                                        ; implicit-def: $sgpr10
                                        ; implicit-def: $sgpr2
.LBB13_314:
	s_sub_co_i32 s10, s12, 64
	s_add_co_i32 s2, s11, 2
.LBB13_315:
	s_wait_loadcnt 0x0
	v_mad_u32 v0, s2, s8, v2
	s_cmp_lt_i32 s3, 21
	s_mov_b32 s11, 0
	global_load_b32 v0, v0, s[4:5] scale_offset
	s_cbranch_scc1 .LBB13_318
; %bb.316:
	s_cmp_eq_u32 s3, 21
	s_cbranch_scc0 .LBB13_319
; %bb.317:
	s_add_co_i32 s12, s2, 1
	s_delay_alu instid0(SALU_CYCLE_1) | instskip(SKIP_4) | instid1(VALU_DEP_1)
	v_mad_u32 v1, s12, s8, v2
	s_mov_b32 s12, 0
	global_load_b32 v1, v1, s[4:5] scale_offset
	s_wait_loadcnt 0x0
	v_alignbit_b32 v1, v1, v0, 31
	v_and_b32_e32 v15, 7, v1
	s_branch .LBB13_320
.LBB13_318:
	s_mov_b32 s12, 0
                                        ; implicit-def: $vgpr15
	s_cbranch_execnz .LBB13_321
	s_branch .LBB13_322
.LBB13_319:
	s_mov_b32 s12, -1
                                        ; implicit-def: $vgpr15
.LBB13_320:
	s_branch .LBB13_322
.LBB13_321:
	s_cmp_lg_u32 s3, 10
	s_mov_b32 s11, -1
	s_cselect_b32 s12, -1, 0
.LBB13_322:
	s_delay_alu instid0(SALU_CYCLE_1)
	s_and_not1_b32 vcc_lo, exec_lo, s12
	s_cbranch_vccz .LBB13_328
; %bb.323:
	s_and_not1_b32 vcc_lo, exec_lo, s11
	s_cbranch_vccnz .LBB13_325
.LBB13_324:
	s_add_co_i32 s2, s2, 1
	s_delay_alu instid0(SALU_CYCLE_1) | instskip(SKIP_3) | instid1(VALU_DEP_1)
	v_mad_u32 v1, s2, s8, v2
	global_load_b32 v1, v1, s[4:5] scale_offset
	s_wait_loadcnt 0x0
	v_alignbit_b32 v0, v1, v0, 30
	v_and_b32_e32 v15, 7, v0
.LBB13_325:
	s_load_b32 s2, s[0:1], 0x34
	s_wait_kmcnt 0x0
	s_ashr_i32 s3, s2, 31
	s_delay_alu instid0(SALU_CYCLE_1) | instskip(NEXT) | instid1(SALU_CYCLE_1)
	s_lshr_b32 s3, s3, 27
	s_add_co_i32 s10, s2, s3
	s_delay_alu instid0(SALU_CYCLE_1)
	s_and_b32 s3, s10, 0xffffffe0
	s_ashr_i32 s11, s10, 5
	s_sub_co_i32 s3, s2, s3
	s_mul_i32 s11, s11, 3
	s_cmp_lt_i32 s3, 21
	s_cbranch_scc1 .LBB13_329
; %bb.326:
	s_cmp_eq_u32 s3, 21
	s_cbranch_scc0 .LBB13_330
; %bb.327:
	s_add_co_i32 s2, s11, 1
	s_mov_b32 s10, 0
	s_branch .LBB13_331
.LBB13_328:
	v_mov_b32_e32 v1, 0
	s_wait_loadcnt 0x0
	s_delay_alu instid0(VALU_DEP_1) | instskip(NEXT) | instid1(VALU_DEP_1)
	v_lshrrev_b64 v[16:17], s10, v[0:1]
	v_and_b32_e32 v15, 7, v16
	s_cbranch_execz .LBB13_324
	s_branch .LBB13_325
.LBB13_329:
	s_mov_b32 s10, 0
                                        ; implicit-def: $sgpr2
	s_cbranch_execnz .LBB13_332
	s_branch .LBB13_333
.LBB13_330:
	s_mov_b32 s10, -1
                                        ; implicit-def: $sgpr2
.LBB13_331:
	s_branch .LBB13_333
.LBB13_332:
	s_cmp_lg_u32 s3, 10
	s_mov_b32 s2, s11
	s_cselect_b32 s10, -1, 0
.LBB13_333:
	s_delay_alu instid0(SALU_CYCLE_1)
	s_and_not1_b32 vcc_lo, exec_lo, s10
	s_mov_b32 s10, 4
	s_cbranch_vccnz .LBB13_340
; %bb.334:
	s_cmp_gt_i32 s3, 21
	s_mul_i32 s12, s3, 3
	s_cbranch_scc1 .LBB13_338
; %bb.335:
	s_cmp_lt_i32 s3, 11
	s_mov_b32 s10, s12
	s_mov_b32 s2, s11
	s_cbranch_scc1 .LBB13_337
; %bb.336:
	s_sub_co_i32 s10, s12, 32
	s_add_co_i32 s2, s11, 1
.LBB13_337:
	s_cbranch_execz .LBB13_339
	s_branch .LBB13_340
.LBB13_338:
                                        ; implicit-def: $sgpr10
                                        ; implicit-def: $sgpr2
.LBB13_339:
	s_sub_co_i32 s10, s12, 64
	s_add_co_i32 s2, s11, 2
.LBB13_340:
	s_wait_loadcnt 0x0
	v_mad_u32 v0, s2, s8, v2
	s_cmp_lt_i32 s3, 21
	s_mov_b32 s11, 0
	global_load_b32 v0, v0, s[4:5] scale_offset
	s_cbranch_scc1 .LBB13_343
; %bb.341:
	s_cmp_eq_u32 s3, 21
	s_cbranch_scc0 .LBB13_344
; %bb.342:
	s_add_co_i32 s12, s2, 1
	s_delay_alu instid0(SALU_CYCLE_1) | instskip(SKIP_4) | instid1(VALU_DEP_1)
	v_mad_u32 v1, s12, s8, v2
	s_mov_b32 s12, 0
	global_load_b32 v1, v1, s[4:5] scale_offset
	s_wait_loadcnt 0x0
	v_alignbit_b32 v1, v1, v0, 31
	v_and_b32_e32 v16, 7, v1
	s_branch .LBB13_345
.LBB13_343:
	s_mov_b32 s12, 0
                                        ; implicit-def: $vgpr16
	s_cbranch_execnz .LBB13_346
	s_branch .LBB13_347
.LBB13_344:
	s_mov_b32 s12, -1
                                        ; implicit-def: $vgpr16
.LBB13_345:
	s_branch .LBB13_347
.LBB13_346:
	s_cmp_lg_u32 s3, 10
	s_mov_b32 s11, -1
	s_cselect_b32 s12, -1, 0
.LBB13_347:
	s_delay_alu instid0(SALU_CYCLE_1)
	s_and_not1_b32 vcc_lo, exec_lo, s12
	s_cbranch_vccz .LBB13_353
; %bb.348:
	s_and_not1_b32 vcc_lo, exec_lo, s11
	s_cbranch_vccnz .LBB13_350
.LBB13_349:
	s_add_co_i32 s2, s2, 1
	s_delay_alu instid0(SALU_CYCLE_1) | instskip(SKIP_3) | instid1(VALU_DEP_1)
	v_mad_u32 v1, s2, s8, v2
	global_load_b32 v1, v1, s[4:5] scale_offset
	s_wait_loadcnt 0x0
	v_alignbit_b32 v0, v1, v0, 30
	v_and_b32_e32 v16, 7, v0
.LBB13_350:
	s_load_b32 s2, s[0:1], 0x38
	s_wait_kmcnt 0x0
	s_ashr_i32 s3, s2, 31
	s_delay_alu instid0(SALU_CYCLE_1) | instskip(NEXT) | instid1(SALU_CYCLE_1)
	s_lshr_b32 s3, s3, 27
	s_add_co_i32 s10, s2, s3
	s_delay_alu instid0(SALU_CYCLE_1)
	s_and_b32 s3, s10, 0xffffffe0
	s_ashr_i32 s11, s10, 5
	s_sub_co_i32 s3, s2, s3
	s_mul_i32 s11, s11, 3
	s_cmp_lt_i32 s3, 21
	s_cbranch_scc1 .LBB13_354
; %bb.351:
	s_cmp_eq_u32 s3, 21
	s_cbranch_scc0 .LBB13_355
; %bb.352:
	s_add_co_i32 s2, s11, 1
	s_mov_b32 s10, 0
	s_branch .LBB13_356
.LBB13_353:
	v_mov_b32_e32 v1, 0
	s_wait_loadcnt 0x0
	s_delay_alu instid0(VALU_DEP_1) | instskip(NEXT) | instid1(VALU_DEP_1)
	v_lshrrev_b64 v[16:17], s10, v[0:1]
	v_and_b32_e32 v16, 7, v16
	s_cbranch_execz .LBB13_349
	s_branch .LBB13_350
.LBB13_354:
	s_mov_b32 s10, 0
                                        ; implicit-def: $sgpr2
	s_cbranch_execnz .LBB13_357
	s_branch .LBB13_358
.LBB13_355:
	s_mov_b32 s10, -1
                                        ; implicit-def: $sgpr2
.LBB13_356:
	s_branch .LBB13_358
.LBB13_357:
	s_cmp_lg_u32 s3, 10
	s_mov_b32 s2, s11
	s_cselect_b32 s10, -1, 0
.LBB13_358:
	s_delay_alu instid0(SALU_CYCLE_1)
	s_and_not1_b32 vcc_lo, exec_lo, s10
	s_mov_b32 s10, 7
	s_cbranch_vccnz .LBB13_365
; %bb.359:
	s_cmp_gt_i32 s3, 21
	s_mul_i32 s12, s3, 3
	s_cbranch_scc1 .LBB13_363
; %bb.360:
	s_cmp_lt_i32 s3, 11
	s_mov_b32 s10, s12
	s_mov_b32 s2, s11
	s_cbranch_scc1 .LBB13_362
; %bb.361:
	s_sub_co_i32 s10, s12, 32
	s_add_co_i32 s2, s11, 1
.LBB13_362:
	s_cbranch_execz .LBB13_364
	s_branch .LBB13_365
.LBB13_363:
                                        ; implicit-def: $sgpr10
                                        ; implicit-def: $sgpr2
.LBB13_364:
	s_sub_co_i32 s10, s12, 64
	s_add_co_i32 s2, s11, 2
.LBB13_365:
	s_wait_loadcnt 0x0
	v_mad_u32 v0, s2, s8, v2
	s_cmp_lt_i32 s3, 21
	s_mov_b32 s11, 0
	global_load_b32 v0, v0, s[4:5] scale_offset
	s_cbranch_scc1 .LBB13_368
; %bb.366:
	s_cmp_eq_u32 s3, 21
	s_cbranch_scc0 .LBB13_369
; %bb.367:
	s_add_co_i32 s12, s2, 1
	s_delay_alu instid0(SALU_CYCLE_1) | instskip(SKIP_4) | instid1(VALU_DEP_1)
	v_mad_u32 v1, s12, s8, v2
	s_mov_b32 s12, 0
	global_load_b32 v1, v1, s[4:5] scale_offset
	s_wait_loadcnt 0x0
	v_alignbit_b32 v1, v1, v0, 31
	v_and_b32_e32 v17, 7, v1
	s_branch .LBB13_370
.LBB13_368:
	s_mov_b32 s12, 0
                                        ; implicit-def: $vgpr17
	s_cbranch_execnz .LBB13_371
	s_branch .LBB13_372
.LBB13_369:
	s_mov_b32 s12, -1
                                        ; implicit-def: $vgpr17
.LBB13_370:
	s_branch .LBB13_372
.LBB13_371:
	s_cmp_lg_u32 s3, 10
	s_mov_b32 s11, -1
	s_cselect_b32 s12, -1, 0
.LBB13_372:
	s_delay_alu instid0(SALU_CYCLE_1)
	s_and_not1_b32 vcc_lo, exec_lo, s12
	s_cbranch_vccz .LBB13_378
; %bb.373:
	s_and_not1_b32 vcc_lo, exec_lo, s11
	s_cbranch_vccnz .LBB13_375
.LBB13_374:
	s_add_co_i32 s2, s2, 1
	s_delay_alu instid0(SALU_CYCLE_1) | instskip(SKIP_3) | instid1(VALU_DEP_1)
	v_mad_u32 v1, s2, s8, v2
	global_load_b32 v1, v1, s[4:5] scale_offset
	s_wait_loadcnt 0x0
	v_alignbit_b32 v0, v1, v0, 30
	v_and_b32_e32 v17, 7, v0
.LBB13_375:
	s_load_b32 s2, s[0:1], 0x3c
	s_wait_kmcnt 0x0
	s_ashr_i32 s3, s2, 31
	s_delay_alu instid0(SALU_CYCLE_1) | instskip(NEXT) | instid1(SALU_CYCLE_1)
	s_lshr_b32 s3, s3, 27
	s_add_co_i32 s10, s2, s3
	s_delay_alu instid0(SALU_CYCLE_1)
	s_and_b32 s3, s10, 0xffffffe0
	s_ashr_i32 s11, s10, 5
	s_sub_co_i32 s3, s2, s3
	s_mul_i32 s11, s11, 3
	s_cmp_lt_i32 s3, 21
	s_cbranch_scc1 .LBB13_379
; %bb.376:
	s_cmp_eq_u32 s3, 21
	s_cbranch_scc0 .LBB13_380
; %bb.377:
	s_add_co_i32 s2, s11, 1
	s_mov_b32 s12, 0
	s_branch .LBB13_381
.LBB13_378:
	v_mov_b32_e32 v1, 0
	s_wait_loadcnt 0x0
	s_delay_alu instid0(VALU_DEP_1) | instskip(NEXT) | instid1(VALU_DEP_1)
	v_lshrrev_b64 v[18:19], s10, v[0:1]
	v_and_b32_e32 v17, 7, v18
	s_cbranch_execz .LBB13_374
	s_branch .LBB13_375
.LBB13_379:
	s_mov_b32 s12, 0
                                        ; implicit-def: $sgpr2
	s_mov_b32 s10, 10
	s_cbranch_execnz .LBB13_382
	s_branch .LBB13_383
.LBB13_380:
	s_mov_b32 s12, -1
                                        ; implicit-def: $sgpr2
.LBB13_381:
	s_mov_b32 s10, 10
	s_branch .LBB13_383
.LBB13_382:
	s_cmp_lg_u32 s3, 10
	s_mov_b32 s10, s3
	s_cselect_b32 s12, -1, 0
	s_mov_b32 s2, s11
.LBB13_383:
	s_and_not1_b32 vcc_lo, exec_lo, s12
	s_cbranch_vccnz .LBB13_390
; %bb.384:
	s_cmp_gt_i32 s3, 21
	s_mul_i32 s12, s3, 3
	s_cbranch_scc1 .LBB13_388
; %bb.385:
	s_cmp_lt_i32 s3, 11
	s_mov_b32 s10, s12
	s_mov_b32 s2, s11
	s_cbranch_scc1 .LBB13_387
; %bb.386:
	s_sub_co_i32 s10, s12, 32
	s_add_co_i32 s2, s11, 1
.LBB13_387:
	s_cbranch_execz .LBB13_389
	s_branch .LBB13_390
.LBB13_388:
                                        ; implicit-def: $sgpr10
                                        ; implicit-def: $sgpr2
.LBB13_389:
	s_sub_co_i32 s10, s12, 64
	s_add_co_i32 s2, s11, 2
.LBB13_390:
	s_wait_loadcnt 0x0
	v_mad_u32 v0, s2, s8, v2
	s_cmp_lt_i32 s3, 21
	s_mov_b32 s11, 0
	global_load_b32 v0, v0, s[4:5] scale_offset
	s_cbranch_scc1 .LBB13_393
; %bb.391:
	s_cmp_eq_u32 s3, 21
	s_cbranch_scc0 .LBB13_394
; %bb.392:
	s_add_co_i32 s12, s2, 1
	s_delay_alu instid0(SALU_CYCLE_1) | instskip(SKIP_4) | instid1(VALU_DEP_1)
	v_mad_u32 v1, s12, s8, v2
	s_mov_b32 s12, 0
	global_load_b32 v1, v1, s[4:5] scale_offset
	s_wait_loadcnt 0x0
	v_alignbit_b32 v1, v1, v0, 31
	v_and_b32_e32 v18, 7, v1
	s_branch .LBB13_395
.LBB13_393:
	s_mov_b32 s12, 0
                                        ; implicit-def: $vgpr18
	s_cbranch_execnz .LBB13_396
	s_branch .LBB13_397
.LBB13_394:
	s_mov_b32 s12, -1
                                        ; implicit-def: $vgpr18
.LBB13_395:
	s_branch .LBB13_397
.LBB13_396:
	s_cmp_lg_u32 s3, 10
	s_mov_b32 s11, -1
	s_cselect_b32 s12, -1, 0
.LBB13_397:
	s_delay_alu instid0(SALU_CYCLE_1)
	s_and_not1_b32 vcc_lo, exec_lo, s12
	s_cbranch_vccz .LBB13_403
; %bb.398:
	s_and_not1_b32 vcc_lo, exec_lo, s11
	s_cbranch_vccnz .LBB13_400
.LBB13_399:
	s_add_co_i32 s2, s2, 1
	s_delay_alu instid0(SALU_CYCLE_1) | instskip(SKIP_3) | instid1(VALU_DEP_1)
	v_mad_u32 v1, s2, s8, v2
	global_load_b32 v1, v1, s[4:5] scale_offset
	s_wait_loadcnt 0x0
	v_alignbit_b32 v0, v1, v0, 30
	v_and_b32_e32 v18, 7, v0
.LBB13_400:
	s_load_b32 s2, s[0:1], 0x40
	s_wait_kmcnt 0x0
	s_ashr_i32 s3, s2, 31
	s_delay_alu instid0(SALU_CYCLE_1) | instskip(NEXT) | instid1(SALU_CYCLE_1)
	s_lshr_b32 s3, s3, 27
	s_add_co_i32 s10, s2, s3
	s_delay_alu instid0(SALU_CYCLE_1)
	s_and_b32 s3, s10, 0xffffffe0
	s_ashr_i32 s11, s10, 5
	s_sub_co_i32 s3, s2, s3
	s_mul_i32 s11, s11, 3
	s_cmp_lt_i32 s3, 21
	s_cbranch_scc1 .LBB13_404
; %bb.401:
	s_cmp_eq_u32 s3, 21
	s_cbranch_scc0 .LBB13_405
; %bb.402:
	s_add_co_i32 s2, s11, 1
	s_mov_b32 s10, 0
	s_branch .LBB13_406
.LBB13_403:
	v_mov_b32_e32 v1, 0
	s_wait_loadcnt 0x0
	s_delay_alu instid0(VALU_DEP_1) | instskip(NEXT) | instid1(VALU_DEP_1)
	v_lshrrev_b64 v[18:19], s10, v[0:1]
	v_and_b32_e32 v18, 7, v18
	s_cbranch_execz .LBB13_399
	s_branch .LBB13_400
.LBB13_404:
	s_mov_b32 s10, 0
                                        ; implicit-def: $sgpr2
	s_cbranch_execnz .LBB13_407
	s_branch .LBB13_408
.LBB13_405:
	s_mov_b32 s10, -1
                                        ; implicit-def: $sgpr2
.LBB13_406:
	s_branch .LBB13_408
.LBB13_407:
	s_cmp_lg_u32 s3, 10
	s_mov_b32 s2, s11
	s_cselect_b32 s10, -1, 0
.LBB13_408:
	s_delay_alu instid0(SALU_CYCLE_1)
	s_and_not1_b32 vcc_lo, exec_lo, s10
	s_mov_b32 s10, 13
	s_cbranch_vccnz .LBB13_415
; %bb.409:
	s_cmp_gt_i32 s3, 21
	s_mul_i32 s12, s3, 3
	s_cbranch_scc1 .LBB13_413
; %bb.410:
	s_cmp_lt_i32 s3, 11
	s_mov_b32 s10, s12
	s_mov_b32 s2, s11
	s_cbranch_scc1 .LBB13_412
; %bb.411:
	s_sub_co_i32 s10, s12, 32
	s_add_co_i32 s2, s11, 1
.LBB13_412:
	s_cbranch_execz .LBB13_414
	s_branch .LBB13_415
.LBB13_413:
                                        ; implicit-def: $sgpr10
                                        ; implicit-def: $sgpr2
.LBB13_414:
	s_sub_co_i32 s10, s12, 64
	s_add_co_i32 s2, s11, 2
.LBB13_415:
	s_wait_loadcnt 0x0
	v_mad_u32 v0, s2, s8, v2
	s_cmp_lt_i32 s3, 21
	s_mov_b32 s11, 0
	global_load_b32 v0, v0, s[4:5] scale_offset
	s_cbranch_scc1 .LBB13_418
; %bb.416:
	s_cmp_eq_u32 s3, 21
	s_cbranch_scc0 .LBB13_419
; %bb.417:
	s_add_co_i32 s12, s2, 1
	s_delay_alu instid0(SALU_CYCLE_1) | instskip(SKIP_4) | instid1(VALU_DEP_1)
	v_mad_u32 v1, s12, s8, v2
	s_mov_b32 s12, 0
	global_load_b32 v1, v1, s[4:5] scale_offset
	s_wait_loadcnt 0x0
	v_alignbit_b32 v1, v1, v0, 31
	v_and_b32_e32 v19, 7, v1
	s_branch .LBB13_420
.LBB13_418:
	s_mov_b32 s12, 0
                                        ; implicit-def: $vgpr19
	s_cbranch_execnz .LBB13_421
	s_branch .LBB13_422
.LBB13_419:
	s_mov_b32 s12, -1
                                        ; implicit-def: $vgpr19
.LBB13_420:
	s_branch .LBB13_422
.LBB13_421:
	s_cmp_lg_u32 s3, 10
	s_mov_b32 s11, -1
	s_cselect_b32 s12, -1, 0
.LBB13_422:
	s_delay_alu instid0(SALU_CYCLE_1)
	s_and_not1_b32 vcc_lo, exec_lo, s12
	s_cbranch_vccz .LBB13_428
; %bb.423:
	s_and_not1_b32 vcc_lo, exec_lo, s11
	s_cbranch_vccnz .LBB13_425
.LBB13_424:
	s_add_co_i32 s2, s2, 1
	s_delay_alu instid0(SALU_CYCLE_1) | instskip(SKIP_3) | instid1(VALU_DEP_1)
	v_mad_u32 v1, s2, s8, v2
	global_load_b32 v1, v1, s[4:5] scale_offset
	s_wait_loadcnt 0x0
	v_alignbit_b32 v0, v1, v0, 30
	v_and_b32_e32 v19, 7, v0
.LBB13_425:
	s_load_b32 s2, s[0:1], 0x44
	s_wait_kmcnt 0x0
	s_ashr_i32 s3, s2, 31
	s_delay_alu instid0(SALU_CYCLE_1) | instskip(NEXT) | instid1(SALU_CYCLE_1)
	s_lshr_b32 s3, s3, 27
	s_add_co_i32 s10, s2, s3
	s_delay_alu instid0(SALU_CYCLE_1)
	s_and_b32 s3, s10, 0xffffffe0
	s_ashr_i32 s11, s10, 5
	s_sub_co_i32 s3, s2, s3
	s_mul_i32 s11, s11, 3
	s_cmp_lt_i32 s3, 21
	s_cbranch_scc1 .LBB13_429
; %bb.426:
	s_cmp_eq_u32 s3, 21
	s_cbranch_scc0 .LBB13_430
; %bb.427:
	s_add_co_i32 s2, s11, 1
	s_mov_b32 s10, 0
	s_branch .LBB13_431
.LBB13_428:
	v_mov_b32_e32 v1, 0
	s_wait_loadcnt 0x0
	s_delay_alu instid0(VALU_DEP_1) | instskip(NEXT) | instid1(VALU_DEP_1)
	v_lshrrev_b64 v[20:21], s10, v[0:1]
	v_and_b32_e32 v19, 7, v20
	s_cbranch_execz .LBB13_424
	s_branch .LBB13_425
.LBB13_429:
	s_mov_b32 s10, 0
                                        ; implicit-def: $sgpr2
	s_cbranch_execnz .LBB13_432
	s_branch .LBB13_433
.LBB13_430:
	s_mov_b32 s10, -1
                                        ; implicit-def: $sgpr2
.LBB13_431:
	s_branch .LBB13_433
.LBB13_432:
	s_cmp_lg_u32 s3, 10
	s_mov_b32 s2, s11
	s_cselect_b32 s10, -1, 0
.LBB13_433:
	s_delay_alu instid0(SALU_CYCLE_1)
	s_and_not1_b32 vcc_lo, exec_lo, s10
	s_mov_b32 s10, 16
	s_cbranch_vccnz .LBB13_440
; %bb.434:
	s_cmp_gt_i32 s3, 21
	s_mul_i32 s12, s3, 3
	s_cbranch_scc1 .LBB13_438
; %bb.435:
	s_cmp_lt_i32 s3, 11
	s_mov_b32 s10, s12
	s_mov_b32 s2, s11
	s_cbranch_scc1 .LBB13_437
; %bb.436:
	s_sub_co_i32 s10, s12, 32
	s_add_co_i32 s2, s11, 1
.LBB13_437:
	s_cbranch_execz .LBB13_439
	s_branch .LBB13_440
.LBB13_438:
                                        ; implicit-def: $sgpr10
                                        ; implicit-def: $sgpr2
.LBB13_439:
	s_sub_co_i32 s10, s12, 64
	s_add_co_i32 s2, s11, 2
.LBB13_440:
	s_wait_loadcnt 0x0
	v_mad_u32 v0, s2, s8, v2
	s_cmp_lt_i32 s3, 21
	s_mov_b32 s11, 0
	global_load_b32 v0, v0, s[4:5] scale_offset
	s_cbranch_scc1 .LBB13_443
; %bb.441:
	s_cmp_eq_u32 s3, 21
	s_cbranch_scc0 .LBB13_444
; %bb.442:
	s_add_co_i32 s12, s2, 1
	s_delay_alu instid0(SALU_CYCLE_1) | instskip(SKIP_4) | instid1(VALU_DEP_1)
	v_mad_u32 v1, s12, s8, v2
	s_mov_b32 s12, 0
	global_load_b32 v1, v1, s[4:5] scale_offset
	s_wait_loadcnt 0x0
	v_alignbit_b32 v1, v1, v0, 31
	v_and_b32_e32 v20, 7, v1
	s_branch .LBB13_445
.LBB13_443:
	s_mov_b32 s12, 0
                                        ; implicit-def: $vgpr20
	s_cbranch_execnz .LBB13_446
	s_branch .LBB13_447
.LBB13_444:
	s_mov_b32 s12, -1
                                        ; implicit-def: $vgpr20
.LBB13_445:
	s_branch .LBB13_447
.LBB13_446:
	s_cmp_lg_u32 s3, 10
	s_mov_b32 s11, -1
	s_cselect_b32 s12, -1, 0
.LBB13_447:
	s_delay_alu instid0(SALU_CYCLE_1)
	s_and_not1_b32 vcc_lo, exec_lo, s12
	s_cbranch_vccz .LBB13_453
; %bb.448:
	s_and_not1_b32 vcc_lo, exec_lo, s11
	s_cbranch_vccnz .LBB13_450
.LBB13_449:
	s_add_co_i32 s2, s2, 1
	s_delay_alu instid0(SALU_CYCLE_1) | instskip(SKIP_3) | instid1(VALU_DEP_1)
	v_mad_u32 v1, s2, s8, v2
	global_load_b32 v1, v1, s[4:5] scale_offset
	s_wait_loadcnt 0x0
	v_alignbit_b32 v0, v1, v0, 30
	v_and_b32_e32 v20, 7, v0
.LBB13_450:
	s_load_b32 s2, s[0:1], 0x48
	s_wait_kmcnt 0x0
	s_ashr_i32 s3, s2, 31
	s_delay_alu instid0(SALU_CYCLE_1) | instskip(NEXT) | instid1(SALU_CYCLE_1)
	s_lshr_b32 s3, s3, 27
	s_add_co_i32 s10, s2, s3
	s_delay_alu instid0(SALU_CYCLE_1)
	s_and_b32 s3, s10, 0xffffffe0
	s_ashr_i32 s11, s10, 5
	s_sub_co_i32 s3, s2, s3
	s_mul_i32 s11, s11, 3
	s_cmp_lt_i32 s3, 21
	s_cbranch_scc1 .LBB13_454
; %bb.451:
	s_cmp_eq_u32 s3, 21
	s_cbranch_scc0 .LBB13_455
; %bb.452:
	s_add_co_i32 s2, s11, 1
	s_mov_b32 s10, 0
	s_branch .LBB13_456
.LBB13_453:
	v_mov_b32_e32 v1, 0
	s_wait_loadcnt 0x0
	s_delay_alu instid0(VALU_DEP_1) | instskip(NEXT) | instid1(VALU_DEP_1)
	v_lshrrev_b64 v[20:21], s10, v[0:1]
	v_and_b32_e32 v20, 7, v20
	s_cbranch_execz .LBB13_449
	s_branch .LBB13_450
.LBB13_454:
	s_mov_b32 s10, 0
                                        ; implicit-def: $sgpr2
	s_cbranch_execnz .LBB13_457
	s_branch .LBB13_458
.LBB13_455:
	s_mov_b32 s10, -1
                                        ; implicit-def: $sgpr2
.LBB13_456:
	s_branch .LBB13_458
.LBB13_457:
	s_cmp_lg_u32 s3, 10
	s_mov_b32 s2, s11
	s_cselect_b32 s10, -1, 0
.LBB13_458:
	s_delay_alu instid0(SALU_CYCLE_1)
	s_and_not1_b32 vcc_lo, exec_lo, s10
	s_mov_b32 s10, 19
	s_cbranch_vccnz .LBB13_465
; %bb.459:
	s_cmp_gt_i32 s3, 21
	s_mul_i32 s12, s3, 3
	s_cbranch_scc1 .LBB13_463
; %bb.460:
	s_cmp_lt_i32 s3, 11
	s_mov_b32 s10, s12
	s_mov_b32 s2, s11
	s_cbranch_scc1 .LBB13_462
; %bb.461:
	s_sub_co_i32 s10, s12, 32
	s_add_co_i32 s2, s11, 1
.LBB13_462:
	s_cbranch_execz .LBB13_464
	s_branch .LBB13_465
.LBB13_463:
                                        ; implicit-def: $sgpr10
                                        ; implicit-def: $sgpr2
.LBB13_464:
	s_sub_co_i32 s10, s12, 64
	s_add_co_i32 s2, s11, 2
.LBB13_465:
	s_wait_loadcnt 0x0
	v_mad_u32 v0, s2, s8, v2
	s_cmp_lt_i32 s3, 21
	s_mov_b32 s11, 0
	global_load_b32 v0, v0, s[4:5] scale_offset
	s_cbranch_scc1 .LBB13_468
; %bb.466:
	s_cmp_eq_u32 s3, 21
	s_cbranch_scc0 .LBB13_469
; %bb.467:
	s_add_co_i32 s12, s2, 1
	s_delay_alu instid0(SALU_CYCLE_1) | instskip(SKIP_4) | instid1(VALU_DEP_1)
	v_mad_u32 v1, s12, s8, v2
	s_mov_b32 s12, 0
	global_load_b32 v1, v1, s[4:5] scale_offset
	s_wait_loadcnt 0x0
	v_alignbit_b32 v1, v1, v0, 31
	v_and_b32_e32 v21, 7, v1
	s_branch .LBB13_470
.LBB13_468:
	s_mov_b32 s12, 0
                                        ; implicit-def: $vgpr21
	s_cbranch_execnz .LBB13_471
	s_branch .LBB13_472
.LBB13_469:
	s_mov_b32 s12, -1
                                        ; implicit-def: $vgpr21
.LBB13_470:
	s_branch .LBB13_472
.LBB13_471:
	s_cmp_lg_u32 s3, 10
	s_mov_b32 s11, -1
	s_cselect_b32 s12, -1, 0
.LBB13_472:
	s_delay_alu instid0(SALU_CYCLE_1)
	s_and_not1_b32 vcc_lo, exec_lo, s12
	s_cbranch_vccz .LBB13_478
; %bb.473:
	s_and_not1_b32 vcc_lo, exec_lo, s11
	s_cbranch_vccnz .LBB13_475
.LBB13_474:
	s_add_co_i32 s2, s2, 1
	s_delay_alu instid0(SALU_CYCLE_1) | instskip(SKIP_3) | instid1(VALU_DEP_1)
	v_mad_u32 v1, s2, s8, v2
	global_load_b32 v1, v1, s[4:5] scale_offset
	s_wait_loadcnt 0x0
	v_alignbit_b32 v0, v1, v0, 30
	v_and_b32_e32 v21, 7, v0
.LBB13_475:
	s_load_b32 s2, s[0:1], 0x4c
	s_wait_kmcnt 0x0
	s_ashr_i32 s3, s2, 31
	s_delay_alu instid0(SALU_CYCLE_1) | instskip(NEXT) | instid1(SALU_CYCLE_1)
	s_lshr_b32 s3, s3, 27
	s_add_co_i32 s10, s2, s3
	s_delay_alu instid0(SALU_CYCLE_1)
	s_and_b32 s3, s10, 0xffffffe0
	s_ashr_i32 s11, s10, 5
	s_sub_co_i32 s3, s2, s3
	s_mul_i32 s11, s11, 3
	s_cmp_lt_i32 s3, 21
	s_cbranch_scc1 .LBB13_479
; %bb.476:
	s_cmp_eq_u32 s3, 21
	s_cbranch_scc0 .LBB13_480
; %bb.477:
	s_add_co_i32 s2, s11, 1
	s_mov_b32 s10, 0
	s_branch .LBB13_481
.LBB13_478:
	v_mov_b32_e32 v1, 0
	s_wait_loadcnt 0x0
	s_delay_alu instid0(VALU_DEP_1) | instskip(NEXT) | instid1(VALU_DEP_1)
	v_lshrrev_b64 v[22:23], s10, v[0:1]
	v_and_b32_e32 v21, 7, v22
	s_cbranch_execz .LBB13_474
	s_branch .LBB13_475
.LBB13_479:
	s_mov_b32 s10, 0
                                        ; implicit-def: $sgpr2
	s_cbranch_execnz .LBB13_482
	s_branch .LBB13_483
.LBB13_480:
	s_mov_b32 s10, -1
                                        ; implicit-def: $sgpr2
.LBB13_481:
	s_branch .LBB13_483
.LBB13_482:
	s_cmp_lg_u32 s3, 10
	s_mov_b32 s2, s11
	s_cselect_b32 s10, -1, 0
.LBB13_483:
	s_delay_alu instid0(SALU_CYCLE_1)
	s_and_not1_b32 vcc_lo, exec_lo, s10
	s_mov_b32 s10, 22
	s_cbranch_vccnz .LBB13_490
; %bb.484:
	s_cmp_gt_i32 s3, 21
	s_mul_i32 s12, s3, 3
	s_cbranch_scc1 .LBB13_488
; %bb.485:
	s_cmp_lt_i32 s3, 11
	s_mov_b32 s10, s12
	s_mov_b32 s2, s11
	s_cbranch_scc1 .LBB13_487
; %bb.486:
	s_sub_co_i32 s10, s12, 32
	s_add_co_i32 s2, s11, 1
.LBB13_487:
	s_cbranch_execz .LBB13_489
	s_branch .LBB13_490
.LBB13_488:
                                        ; implicit-def: $sgpr10
                                        ; implicit-def: $sgpr2
.LBB13_489:
	s_sub_co_i32 s10, s12, 64
	s_add_co_i32 s2, s11, 2
.LBB13_490:
	s_wait_loadcnt 0x0
	v_mad_u32 v0, s2, s8, v2
	s_cmp_lt_i32 s3, 21
	s_mov_b32 s11, 0
	global_load_b32 v0, v0, s[4:5] scale_offset
	s_cbranch_scc1 .LBB13_493
; %bb.491:
	s_cmp_eq_u32 s3, 21
	s_cbranch_scc0 .LBB13_494
; %bb.492:
	s_add_co_i32 s12, s2, 1
	s_delay_alu instid0(SALU_CYCLE_1) | instskip(SKIP_4) | instid1(VALU_DEP_1)
	v_mad_u32 v1, s12, s8, v2
	s_mov_b32 s12, 0
	global_load_b32 v1, v1, s[4:5] scale_offset
	s_wait_loadcnt 0x0
	v_alignbit_b32 v1, v1, v0, 31
	v_and_b32_e32 v22, 7, v1
	s_branch .LBB13_495
.LBB13_493:
	s_mov_b32 s12, 0
                                        ; implicit-def: $vgpr22
	s_cbranch_execnz .LBB13_496
	s_branch .LBB13_497
.LBB13_494:
	s_mov_b32 s12, -1
                                        ; implicit-def: $vgpr22
.LBB13_495:
	s_branch .LBB13_497
.LBB13_496:
	s_cmp_lg_u32 s3, 10
	s_mov_b32 s11, -1
	s_cselect_b32 s12, -1, 0
.LBB13_497:
	s_delay_alu instid0(SALU_CYCLE_1)
	s_and_not1_b32 vcc_lo, exec_lo, s12
	s_cbranch_vccz .LBB13_503
; %bb.498:
	s_and_not1_b32 vcc_lo, exec_lo, s11
	s_cbranch_vccnz .LBB13_500
.LBB13_499:
	s_add_co_i32 s2, s2, 1
	s_delay_alu instid0(SALU_CYCLE_1) | instskip(SKIP_3) | instid1(VALU_DEP_1)
	v_mad_u32 v1, s2, s8, v2
	global_load_b32 v1, v1, s[4:5] scale_offset
	s_wait_loadcnt 0x0
	v_alignbit_b32 v0, v1, v0, 30
	v_and_b32_e32 v22, 7, v0
.LBB13_500:
	s_load_b32 s2, s[0:1], 0x50
	s_wait_kmcnt 0x0
	s_ashr_i32 s3, s2, 31
	s_delay_alu instid0(SALU_CYCLE_1) | instskip(NEXT) | instid1(SALU_CYCLE_1)
	s_lshr_b32 s3, s3, 27
	s_add_co_i32 s10, s2, s3
	s_delay_alu instid0(SALU_CYCLE_1)
	s_and_b32 s3, s10, 0xffffffe0
	s_ashr_i32 s11, s10, 5
	s_sub_co_i32 s3, s2, s3
	s_mul_i32 s11, s11, 3
	s_cmp_lt_i32 s3, 21
	s_cbranch_scc1 .LBB13_504
; %bb.501:
	s_cmp_eq_u32 s3, 21
	s_cbranch_scc0 .LBB13_505
; %bb.502:
	s_add_co_i32 s2, s11, 1
	s_mov_b32 s10, 0
	s_branch .LBB13_506
.LBB13_503:
	v_mov_b32_e32 v1, 0
	s_wait_loadcnt 0x0
	s_delay_alu instid0(VALU_DEP_1) | instskip(NEXT) | instid1(VALU_DEP_1)
	v_lshrrev_b64 v[22:23], s10, v[0:1]
	v_and_b32_e32 v22, 7, v22
	s_cbranch_execz .LBB13_499
	s_branch .LBB13_500
.LBB13_504:
	s_mov_b32 s10, 0
                                        ; implicit-def: $sgpr2
	s_cbranch_execnz .LBB13_507
	s_branch .LBB13_508
.LBB13_505:
	s_mov_b32 s10, -1
                                        ; implicit-def: $sgpr2
.LBB13_506:
	s_branch .LBB13_508
.LBB13_507:
	s_cmp_lg_u32 s3, 10
	s_mov_b32 s2, s11
	s_cselect_b32 s10, -1, 0
.LBB13_508:
	s_delay_alu instid0(SALU_CYCLE_1)
	s_and_not1_b32 vcc_lo, exec_lo, s10
	s_mov_b32 s10, 25
	s_cbranch_vccnz .LBB13_515
; %bb.509:
	s_cmp_gt_i32 s3, 21
	s_mul_i32 s12, s3, 3
	s_cbranch_scc1 .LBB13_513
; %bb.510:
	s_cmp_lt_i32 s3, 11
	s_mov_b32 s10, s12
	s_mov_b32 s2, s11
	s_cbranch_scc1 .LBB13_512
; %bb.511:
	s_sub_co_i32 s10, s12, 32
	s_add_co_i32 s2, s11, 1
.LBB13_512:
	s_cbranch_execz .LBB13_514
	s_branch .LBB13_515
.LBB13_513:
                                        ; implicit-def: $sgpr10
                                        ; implicit-def: $sgpr2
.LBB13_514:
	s_sub_co_i32 s10, s12, 64
	s_add_co_i32 s2, s11, 2
.LBB13_515:
	s_wait_loadcnt 0x0
	v_mad_u32 v0, s2, s8, v2
	s_cmp_lt_i32 s3, 21
	s_mov_b32 s11, 0
	global_load_b32 v0, v0, s[4:5] scale_offset
	s_cbranch_scc1 .LBB13_518
; %bb.516:
	s_cmp_eq_u32 s3, 21
	s_cbranch_scc0 .LBB13_519
; %bb.517:
	s_add_co_i32 s12, s2, 1
	s_delay_alu instid0(SALU_CYCLE_1) | instskip(SKIP_4) | instid1(VALU_DEP_1)
	v_mad_u32 v1, s12, s8, v2
	s_mov_b32 s12, 0
	global_load_b32 v1, v1, s[4:5] scale_offset
	s_wait_loadcnt 0x0
	v_alignbit_b32 v1, v1, v0, 31
	v_and_b32_e32 v23, 7, v1
	s_branch .LBB13_520
.LBB13_518:
	s_mov_b32 s12, 0
                                        ; implicit-def: $vgpr23
	s_cbranch_execnz .LBB13_521
	s_branch .LBB13_522
.LBB13_519:
	s_mov_b32 s12, -1
                                        ; implicit-def: $vgpr23
.LBB13_520:
	s_branch .LBB13_522
.LBB13_521:
	s_cmp_lg_u32 s3, 10
	s_mov_b32 s11, -1
	s_cselect_b32 s12, -1, 0
.LBB13_522:
	s_delay_alu instid0(SALU_CYCLE_1)
	s_and_not1_b32 vcc_lo, exec_lo, s12
	s_cbranch_vccz .LBB13_528
; %bb.523:
	s_and_not1_b32 vcc_lo, exec_lo, s11
	s_cbranch_vccnz .LBB13_525
.LBB13_524:
	s_add_co_i32 s2, s2, 1
	s_delay_alu instid0(SALU_CYCLE_1) | instskip(SKIP_3) | instid1(VALU_DEP_1)
	v_mad_u32 v1, s2, s8, v2
	global_load_b32 v1, v1, s[4:5] scale_offset
	s_wait_loadcnt 0x0
	v_alignbit_b32 v0, v1, v0, 30
	v_and_b32_e32 v23, 7, v0
.LBB13_525:
	s_load_b32 s2, s[0:1], 0x54
	s_wait_kmcnt 0x0
	s_ashr_i32 s3, s2, 31
	s_delay_alu instid0(SALU_CYCLE_1) | instskip(NEXT) | instid1(SALU_CYCLE_1)
	s_lshr_b32 s3, s3, 27
	s_add_co_i32 s3, s2, s3
	s_delay_alu instid0(SALU_CYCLE_1)
	s_and_b32 s10, s3, 0xffffffe0
	s_ashr_i32 s11, s3, 5
	s_sub_co_i32 s10, s2, s10
	s_mul_i32 s11, s11, 3
	s_cmp_lt_i32 s10, 21
	s_cbranch_scc1 .LBB13_529
; %bb.526:
	s_cmp_eq_u32 s10, 21
	s_cbranch_scc0 .LBB13_530
; %bb.527:
	s_add_co_i32 s3, s11, 1
	s_mov_b32 s2, 0
	s_branch .LBB13_531
.LBB13_528:
	v_mov_b32_e32 v1, 0
	s_wait_loadcnt 0x0
	s_delay_alu instid0(VALU_DEP_1) | instskip(NEXT) | instid1(VALU_DEP_1)
	v_lshrrev_b64 v[24:25], s10, v[0:1]
	v_and_b32_e32 v23, 7, v24
	s_cbranch_execz .LBB13_524
	s_branch .LBB13_525
.LBB13_529:
	s_mov_b32 s2, 0
                                        ; implicit-def: $sgpr3
	s_cbranch_execnz .LBB13_532
	s_branch .LBB13_533
.LBB13_530:
	s_mov_b32 s2, -1
                                        ; implicit-def: $sgpr3
.LBB13_531:
	s_branch .LBB13_533
.LBB13_532:
	s_cmp_lg_u32 s10, 10
	s_mov_b32 s3, s11
	s_cselect_b32 s2, -1, 0
.LBB13_533:
	s_delay_alu instid0(SALU_CYCLE_1)
	s_and_not1_b32 vcc_lo, exec_lo, s2
	s_mov_b32 s2, 28
	s_cbranch_vccnz .LBB13_540
; %bb.534:
	s_cmp_gt_i32 s10, 21
	s_mul_i32 s12, s10, 3
	s_cbranch_scc1 .LBB13_538
; %bb.535:
	s_cmp_lt_i32 s10, 11
	s_mov_b32 s2, s12
	s_mov_b32 s3, s11
	s_cbranch_scc1 .LBB13_537
; %bb.536:
	s_sub_co_i32 s2, s12, 32
	s_add_co_i32 s3, s11, 1
.LBB13_537:
	s_cbranch_execz .LBB13_539
	s_branch .LBB13_540
.LBB13_538:
                                        ; implicit-def: $sgpr2
                                        ; implicit-def: $sgpr3
.LBB13_539:
	s_sub_co_i32 s2, s12, 64
	s_add_co_i32 s3, s11, 2
.LBB13_540:
	s_wait_loadcnt 0x0
	v_mad_u32 v0, s3, s8, v2
	s_cmp_lt_i32 s10, 21
	s_mov_b32 s11, 0
	global_load_b32 v0, v0, s[4:5] scale_offset
	s_cbranch_scc1 .LBB13_543
; %bb.541:
	s_cmp_eq_u32 s10, 21
	s_cbranch_scc0 .LBB13_544
; %bb.542:
	s_add_co_i32 s12, s3, 1
	s_delay_alu instid0(SALU_CYCLE_1) | instskip(SKIP_4) | instid1(VALU_DEP_1)
	v_mad_u32 v1, s12, s8, v2
	s_mov_b32 s12, 0
	global_load_b32 v1, v1, s[4:5] scale_offset
	s_wait_loadcnt 0x0
	v_alignbit_b32 v1, v1, v0, 31
	v_and_b32_e32 v24, 7, v1
	s_branch .LBB13_545
.LBB13_543:
	s_mov_b32 s12, 0
                                        ; implicit-def: $vgpr24
	s_cbranch_execnz .LBB13_546
	s_branch .LBB13_547
.LBB13_544:
	s_mov_b32 s12, -1
                                        ; implicit-def: $vgpr24
.LBB13_545:
	s_branch .LBB13_547
.LBB13_546:
	s_cmp_lg_u32 s10, 10
	s_mov_b32 s11, -1
	s_cselect_b32 s12, -1, 0
.LBB13_547:
	s_delay_alu instid0(SALU_CYCLE_1)
	s_and_not1_b32 vcc_lo, exec_lo, s12
	s_cbranch_vccz .LBB13_553
; %bb.548:
	s_and_not1_b32 vcc_lo, exec_lo, s11
	s_cbranch_vccnz .LBB13_550
.LBB13_549:
	s_add_co_i32 s3, s3, 1
	s_delay_alu instid0(SALU_CYCLE_1) | instskip(SKIP_3) | instid1(VALU_DEP_1)
	v_mad_u32 v1, s3, s8, v2
	global_load_b32 v1, v1, s[4:5] scale_offset
	s_wait_loadcnt 0x0
	v_alignbit_b32 v0, v1, v0, 30
	v_and_b32_e32 v24, 7, v0
.LBB13_550:
	s_load_b32 s3, s[0:1], 0x58
	s_wait_kmcnt 0x0
	s_ashr_i32 s10, s3, 31
	s_delay_alu instid0(SALU_CYCLE_1) | instskip(NEXT) | instid1(SALU_CYCLE_1)
	s_lshr_b32 s10, s10, 27
	s_add_co_i32 s11, s3, s10
	s_delay_alu instid0(SALU_CYCLE_1)
	s_and_b32 s10, s11, 0xffffffe0
	s_ashr_i32 s11, s11, 5
	s_sub_co_i32 s10, s3, s10
	s_mul_i32 s11, s11, 3
	s_cmp_lt_i32 s10, 21
	s_cbranch_scc1 .LBB13_554
; %bb.551:
	s_cmp_eq_u32 s10, 21
	s_cbranch_scc0 .LBB13_555
; %bb.552:
	s_add_co_i32 s3, s11, 1
	s_mov_b32 s12, 0
	s_branch .LBB13_556
.LBB13_553:
	v_mov_b32_e32 v1, 0
	s_wait_loadcnt 0x0
	s_delay_alu instid0(VALU_DEP_1) | instskip(NEXT) | instid1(VALU_DEP_1)
	v_lshrrev_b64 v[24:25], s2, v[0:1]
	v_and_b32_e32 v24, 7, v24
	s_cbranch_execz .LBB13_549
	s_branch .LBB13_550
.LBB13_554:
	s_mov_b32 s12, 0
                                        ; implicit-def: $sgpr3
	s_cbranch_execnz .LBB13_557
	s_branch .LBB13_558
.LBB13_555:
	s_mov_b32 s12, -1
                                        ; implicit-def: $sgpr3
.LBB13_556:
	s_branch .LBB13_558
.LBB13_557:
	s_cmp_lg_u32 s10, 10
	s_mov_b32 s3, s11
	s_cselect_b32 s12, -1, 0
.LBB13_558:
	s_delay_alu instid0(SALU_CYCLE_1)
	s_and_not1_b32 vcc_lo, exec_lo, s12
	s_cbranch_vccnz .LBB13_565
; %bb.559:
	s_cmp_gt_i32 s10, 21
	s_mul_i32 s12, s10, 3
	s_cbranch_scc1 .LBB13_563
; %bb.560:
	s_cmp_lt_i32 s10, 11
	s_mov_b32 s2, s12
	s_mov_b32 s3, s11
	s_cbranch_scc1 .LBB13_562
; %bb.561:
	s_sub_co_i32 s2, s12, 32
	s_add_co_i32 s3, s11, 1
.LBB13_562:
	s_cbranch_execz .LBB13_564
	s_branch .LBB13_565
.LBB13_563:
                                        ; implicit-def: $sgpr2
                                        ; implicit-def: $sgpr3
.LBB13_564:
	s_sub_co_i32 s2, s12, 64
	s_add_co_i32 s3, s11, 2
.LBB13_565:
	s_wait_loadcnt 0x0
	v_mad_u32 v0, s3, s8, v2
	s_cmp_lt_i32 s10, 21
	s_mov_b32 s11, 0
	global_load_b32 v0, v0, s[4:5] scale_offset
	s_cbranch_scc1 .LBB13_568
; %bb.566:
	s_cmp_eq_u32 s10, 21
	s_cbranch_scc0 .LBB13_569
; %bb.567:
	s_add_co_i32 s12, s3, 1
	s_delay_alu instid0(SALU_CYCLE_1) | instskip(SKIP_4) | instid1(VALU_DEP_1)
	v_mad_u32 v1, s12, s8, v2
	s_mov_b32 s12, 0
	global_load_b32 v1, v1, s[4:5] scale_offset
	s_wait_loadcnt 0x0
	v_alignbit_b32 v1, v1, v0, 31
	v_and_b32_e32 v25, 7, v1
	s_branch .LBB13_570
.LBB13_568:
	s_mov_b32 s12, 0
                                        ; implicit-def: $vgpr25
	s_cbranch_execnz .LBB13_571
	s_branch .LBB13_572
.LBB13_569:
	s_mov_b32 s12, -1
                                        ; implicit-def: $vgpr25
.LBB13_570:
	s_branch .LBB13_572
.LBB13_571:
	s_cmp_lg_u32 s10, 10
	s_mov_b32 s11, -1
	s_cselect_b32 s12, -1, 0
.LBB13_572:
	s_delay_alu instid0(SALU_CYCLE_1)
	s_and_not1_b32 vcc_lo, exec_lo, s12
	s_cbranch_vccz .LBB13_578
; %bb.573:
	s_and_not1_b32 vcc_lo, exec_lo, s11
	s_cbranch_vccnz .LBB13_575
.LBB13_574:
	s_add_co_i32 s2, s3, 1
	s_delay_alu instid0(SALU_CYCLE_1) | instskip(SKIP_3) | instid1(VALU_DEP_1)
	v_mad_u32 v1, s2, s8, v2
	global_load_b32 v1, v1, s[4:5] scale_offset
	s_wait_loadcnt 0x0
	v_alignbit_b32 v0, v1, v0, 30
	v_and_b32_e32 v25, 7, v0
.LBB13_575:
	s_load_b32 s2, s[0:1], 0x5c
	s_wait_kmcnt 0x0
	s_ashr_i32 s3, s2, 31
	s_delay_alu instid0(SALU_CYCLE_1) | instskip(NEXT) | instid1(SALU_CYCLE_1)
	s_lshr_b32 s3, s3, 27
	s_add_co_i32 s10, s2, s3
	s_delay_alu instid0(SALU_CYCLE_1)
	s_and_b32 s3, s10, 0xffffffe0
	s_ashr_i32 s11, s10, 5
	s_sub_co_i32 s3, s2, s3
	s_mul_i32 s11, s11, 3
	s_cmp_lt_i32 s3, 21
	s_cbranch_scc1 .LBB13_579
; %bb.576:
	s_cmp_eq_u32 s3, 21
	s_cbranch_scc0 .LBB13_580
; %bb.577:
	s_add_co_i32 s2, s11, 1
	s_mov_b32 s10, 0
	s_branch .LBB13_581
.LBB13_578:
	v_mov_b32_e32 v1, 0
	s_wait_loadcnt 0x0
	s_delay_alu instid0(VALU_DEP_1) | instskip(NEXT) | instid1(VALU_DEP_1)
	v_lshrrev_b64 v[26:27], s2, v[0:1]
	v_and_b32_e32 v25, 7, v26
	s_cbranch_execz .LBB13_574
	s_branch .LBB13_575
.LBB13_579:
	s_mov_b32 s10, 0
                                        ; implicit-def: $sgpr2
	s_cbranch_execnz .LBB13_582
	s_branch .LBB13_583
.LBB13_580:
	s_mov_b32 s10, -1
                                        ; implicit-def: $sgpr2
.LBB13_581:
	s_branch .LBB13_583
.LBB13_582:
	s_cmp_lg_u32 s3, 10
	s_mov_b32 s2, s11
	s_cselect_b32 s10, -1, 0
.LBB13_583:
	s_delay_alu instid0(SALU_CYCLE_1)
	s_and_not1_b32 vcc_lo, exec_lo, s10
	s_mov_b32 s10, 2
	s_cbranch_vccnz .LBB13_590
; %bb.584:
	s_cmp_gt_i32 s3, 21
	s_mul_i32 s12, s3, 3
	s_cbranch_scc1 .LBB13_588
; %bb.585:
	s_cmp_lt_i32 s3, 11
	s_mov_b32 s10, s12
	s_mov_b32 s2, s11
	s_cbranch_scc1 .LBB13_587
; %bb.586:
	s_sub_co_i32 s10, s12, 32
	s_add_co_i32 s2, s11, 1
.LBB13_587:
	s_cbranch_execz .LBB13_589
	s_branch .LBB13_590
.LBB13_588:
                                        ; implicit-def: $sgpr10
                                        ; implicit-def: $sgpr2
.LBB13_589:
	s_sub_co_i32 s10, s12, 64
	s_add_co_i32 s2, s11, 2
.LBB13_590:
	s_wait_loadcnt 0x0
	v_mad_u32 v0, s2, s8, v2
	s_cmp_lt_i32 s3, 21
	s_mov_b32 s11, 0
	global_load_b32 v0, v0, s[4:5] scale_offset
	s_cbranch_scc1 .LBB13_593
; %bb.591:
	s_cmp_eq_u32 s3, 21
	s_cbranch_scc0 .LBB13_594
; %bb.592:
	s_add_co_i32 s12, s2, 1
	s_delay_alu instid0(SALU_CYCLE_1) | instskip(SKIP_4) | instid1(VALU_DEP_1)
	v_mad_u32 v1, s12, s8, v2
	s_mov_b32 s12, 0
	global_load_b32 v1, v1, s[4:5] scale_offset
	s_wait_loadcnt 0x0
	v_alignbit_b32 v1, v1, v0, 31
	v_and_b32_e32 v26, 7, v1
	s_branch .LBB13_595
.LBB13_593:
	s_mov_b32 s12, 0
                                        ; implicit-def: $vgpr26
	s_cbranch_execnz .LBB13_596
	s_branch .LBB13_597
.LBB13_594:
	s_mov_b32 s12, -1
                                        ; implicit-def: $vgpr26
.LBB13_595:
	s_branch .LBB13_597
.LBB13_596:
	s_cmp_lg_u32 s3, 10
	s_mov_b32 s11, -1
	s_cselect_b32 s12, -1, 0
.LBB13_597:
	s_delay_alu instid0(SALU_CYCLE_1)
	s_and_not1_b32 vcc_lo, exec_lo, s12
	s_cbranch_vccz .LBB13_603
; %bb.598:
	s_and_not1_b32 vcc_lo, exec_lo, s11
	s_cbranch_vccnz .LBB13_600
.LBB13_599:
	s_add_co_i32 s2, s2, 1
	s_delay_alu instid0(SALU_CYCLE_1) | instskip(SKIP_3) | instid1(VALU_DEP_1)
	v_mad_u32 v1, s2, s8, v2
	global_load_b32 v1, v1, s[4:5] scale_offset
	s_wait_loadcnt 0x0
	v_alignbit_b32 v0, v1, v0, 30
	v_and_b32_e32 v26, 7, v0
.LBB13_600:
	s_load_b32 s2, s[0:1], 0x60
	s_wait_kmcnt 0x0
	s_ashr_i32 s3, s2, 31
	s_delay_alu instid0(SALU_CYCLE_1) | instskip(NEXT) | instid1(SALU_CYCLE_1)
	s_lshr_b32 s3, s3, 27
	s_add_co_i32 s10, s2, s3
	s_delay_alu instid0(SALU_CYCLE_1)
	s_and_b32 s3, s10, 0xffffffe0
	s_ashr_i32 s11, s10, 5
	s_sub_co_i32 s3, s2, s3
	s_mul_i32 s11, s11, 3
	s_cmp_lt_i32 s3, 21
	s_cbranch_scc1 .LBB13_604
; %bb.601:
	s_cmp_eq_u32 s3, 21
	s_cbranch_scc0 .LBB13_605
; %bb.602:
	s_add_co_i32 s2, s11, 1
	s_mov_b32 s10, 0
	s_branch .LBB13_606
.LBB13_603:
	v_mov_b32_e32 v1, 0
	s_wait_loadcnt 0x0
	s_delay_alu instid0(VALU_DEP_1) | instskip(NEXT) | instid1(VALU_DEP_1)
	v_lshrrev_b64 v[26:27], s10, v[0:1]
	v_and_b32_e32 v26, 7, v26
	s_cbranch_execz .LBB13_599
	s_branch .LBB13_600
.LBB13_604:
	s_mov_b32 s10, 0
                                        ; implicit-def: $sgpr2
	s_cbranch_execnz .LBB13_607
	s_branch .LBB13_608
.LBB13_605:
	s_mov_b32 s10, -1
                                        ; implicit-def: $sgpr2
.LBB13_606:
	s_branch .LBB13_608
.LBB13_607:
	s_cmp_lg_u32 s3, 10
	s_mov_b32 s2, s11
	s_cselect_b32 s10, -1, 0
.LBB13_608:
	s_delay_alu instid0(SALU_CYCLE_1)
	s_and_not1_b32 vcc_lo, exec_lo, s10
	s_mov_b32 s10, 5
	s_cbranch_vccnz .LBB13_615
; %bb.609:
	s_cmp_gt_i32 s3, 21
	s_mul_i32 s12, s3, 3
	s_cbranch_scc1 .LBB13_613
; %bb.610:
	s_cmp_lt_i32 s3, 11
	s_mov_b32 s10, s12
	s_mov_b32 s2, s11
	s_cbranch_scc1 .LBB13_612
; %bb.611:
	s_sub_co_i32 s10, s12, 32
	s_add_co_i32 s2, s11, 1
.LBB13_612:
	s_cbranch_execz .LBB13_614
	s_branch .LBB13_615
.LBB13_613:
                                        ; implicit-def: $sgpr10
                                        ; implicit-def: $sgpr2
.LBB13_614:
	s_sub_co_i32 s10, s12, 64
	s_add_co_i32 s2, s11, 2
.LBB13_615:
	s_wait_loadcnt 0x0
	v_mad_u32 v0, s2, s8, v2
	s_cmp_lt_i32 s3, 21
	s_mov_b32 s11, 0
	global_load_b32 v0, v0, s[4:5] scale_offset
	s_cbranch_scc1 .LBB13_618
; %bb.616:
	s_cmp_eq_u32 s3, 21
	s_cbranch_scc0 .LBB13_619
; %bb.617:
	s_add_co_i32 s12, s2, 1
	s_delay_alu instid0(SALU_CYCLE_1) | instskip(SKIP_4) | instid1(VALU_DEP_1)
	v_mad_u32 v1, s12, s8, v2
	s_mov_b32 s12, 0
	global_load_b32 v1, v1, s[4:5] scale_offset
	s_wait_loadcnt 0x0
	v_alignbit_b32 v1, v1, v0, 31
	v_and_b32_e32 v27, 7, v1
	s_branch .LBB13_620
.LBB13_618:
	s_mov_b32 s12, 0
                                        ; implicit-def: $vgpr27
	s_cbranch_execnz .LBB13_621
	s_branch .LBB13_622
.LBB13_619:
	s_mov_b32 s12, -1
                                        ; implicit-def: $vgpr27
.LBB13_620:
	s_branch .LBB13_622
.LBB13_621:
	s_cmp_lg_u32 s3, 10
	s_mov_b32 s11, -1
	s_cselect_b32 s12, -1, 0
.LBB13_622:
	s_delay_alu instid0(SALU_CYCLE_1)
	s_and_not1_b32 vcc_lo, exec_lo, s12
	s_cbranch_vccz .LBB13_628
; %bb.623:
	s_and_not1_b32 vcc_lo, exec_lo, s11
	s_cbranch_vccnz .LBB13_625
.LBB13_624:
	s_add_co_i32 s2, s2, 1
	s_delay_alu instid0(SALU_CYCLE_1) | instskip(SKIP_3) | instid1(VALU_DEP_1)
	v_mad_u32 v1, s2, s8, v2
	global_load_b32 v1, v1, s[4:5] scale_offset
	s_wait_loadcnt 0x0
	v_alignbit_b32 v0, v1, v0, 30
	v_and_b32_e32 v27, 7, v0
.LBB13_625:
	s_load_b32 s2, s[0:1], 0x64
	s_wait_kmcnt 0x0
	s_ashr_i32 s3, s2, 31
	s_delay_alu instid0(SALU_CYCLE_1) | instskip(NEXT) | instid1(SALU_CYCLE_1)
	s_lshr_b32 s3, s3, 27
	s_add_co_i32 s10, s2, s3
	s_delay_alu instid0(SALU_CYCLE_1)
	s_and_b32 s3, s10, 0xffffffe0
	s_ashr_i32 s11, s10, 5
	s_sub_co_i32 s3, s2, s3
	s_mul_i32 s11, s11, 3
	s_cmp_lt_i32 s3, 21
	s_cbranch_scc1 .LBB13_629
; %bb.626:
	s_cmp_eq_u32 s3, 21
	s_cbranch_scc0 .LBB13_630
; %bb.627:
	s_add_co_i32 s2, s11, 1
	s_mov_b32 s10, 0
	s_branch .LBB13_631
.LBB13_628:
	v_mov_b32_e32 v1, 0
	s_wait_loadcnt 0x0
	s_delay_alu instid0(VALU_DEP_1) | instskip(NEXT) | instid1(VALU_DEP_1)
	v_lshrrev_b64 v[28:29], s10, v[0:1]
	v_and_b32_e32 v27, 7, v28
	s_cbranch_execz .LBB13_624
	s_branch .LBB13_625
.LBB13_629:
	s_mov_b32 s10, 0
                                        ; implicit-def: $sgpr2
	s_cbranch_execnz .LBB13_632
	s_branch .LBB13_633
.LBB13_630:
	s_mov_b32 s10, -1
                                        ; implicit-def: $sgpr2
.LBB13_631:
	s_branch .LBB13_633
.LBB13_632:
	s_cmp_lg_u32 s3, 10
	s_mov_b32 s2, s11
	s_cselect_b32 s10, -1, 0
.LBB13_633:
	s_delay_alu instid0(SALU_CYCLE_1)
	s_and_not1_b32 vcc_lo, exec_lo, s10
	s_mov_b32 s10, 8
	s_cbranch_vccnz .LBB13_640
; %bb.634:
	s_cmp_gt_i32 s3, 21
	s_mul_i32 s12, s3, 3
	s_cbranch_scc1 .LBB13_638
; %bb.635:
	s_cmp_lt_i32 s3, 11
	s_mov_b32 s10, s12
	s_mov_b32 s2, s11
	s_cbranch_scc1 .LBB13_637
; %bb.636:
	s_sub_co_i32 s10, s12, 32
	s_add_co_i32 s2, s11, 1
.LBB13_637:
	s_cbranch_execz .LBB13_639
	s_branch .LBB13_640
.LBB13_638:
                                        ; implicit-def: $sgpr10
                                        ; implicit-def: $sgpr2
.LBB13_639:
	s_sub_co_i32 s10, s12, 64
	s_add_co_i32 s2, s11, 2
.LBB13_640:
	s_wait_loadcnt 0x0
	v_mad_u32 v0, s2, s8, v2
	s_cmp_lt_i32 s3, 21
	s_mov_b32 s11, 0
	global_load_b32 v0, v0, s[4:5] scale_offset
	s_cbranch_scc1 .LBB13_643
; %bb.641:
	s_cmp_eq_u32 s3, 21
	s_cbranch_scc0 .LBB13_644
; %bb.642:
	s_add_co_i32 s12, s2, 1
	s_delay_alu instid0(SALU_CYCLE_1) | instskip(SKIP_4) | instid1(VALU_DEP_1)
	v_mad_u32 v1, s12, s8, v2
	s_mov_b32 s12, 0
	global_load_b32 v1, v1, s[4:5] scale_offset
	s_wait_loadcnt 0x0
	v_alignbit_b32 v1, v1, v0, 31
	v_and_b32_e32 v28, 7, v1
	s_branch .LBB13_645
.LBB13_643:
	s_mov_b32 s12, 0
                                        ; implicit-def: $vgpr28
	s_cbranch_execnz .LBB13_646
	s_branch .LBB13_647
.LBB13_644:
	s_mov_b32 s12, -1
                                        ; implicit-def: $vgpr28
.LBB13_645:
	s_branch .LBB13_647
.LBB13_646:
	s_cmp_lg_u32 s3, 10
	s_mov_b32 s11, -1
	s_cselect_b32 s12, -1, 0
.LBB13_647:
	s_delay_alu instid0(SALU_CYCLE_1)
	s_and_not1_b32 vcc_lo, exec_lo, s12
	s_cbranch_vccz .LBB13_653
; %bb.648:
	s_and_not1_b32 vcc_lo, exec_lo, s11
	s_cbranch_vccnz .LBB13_650
.LBB13_649:
	s_add_co_i32 s2, s2, 1
	s_delay_alu instid0(SALU_CYCLE_1) | instskip(SKIP_3) | instid1(VALU_DEP_1)
	v_mad_u32 v1, s2, s8, v2
	global_load_b32 v1, v1, s[4:5] scale_offset
	s_wait_loadcnt 0x0
	v_alignbit_b32 v0, v1, v0, 30
	v_and_b32_e32 v28, 7, v0
.LBB13_650:
	s_load_b32 s2, s[0:1], 0x68
	s_wait_kmcnt 0x0
	s_ashr_i32 s3, s2, 31
	s_delay_alu instid0(SALU_CYCLE_1) | instskip(NEXT) | instid1(SALU_CYCLE_1)
	s_lshr_b32 s3, s3, 27
	s_add_co_i32 s10, s2, s3
	s_delay_alu instid0(SALU_CYCLE_1)
	s_and_b32 s3, s10, 0xffffffe0
	s_ashr_i32 s11, s10, 5
	s_sub_co_i32 s3, s2, s3
	s_mul_i32 s11, s11, 3
	s_cmp_lt_i32 s3, 21
	s_cbranch_scc1 .LBB13_654
; %bb.651:
	s_cmp_eq_u32 s3, 21
	s_cbranch_scc0 .LBB13_655
; %bb.652:
	s_add_co_i32 s2, s11, 1
	s_mov_b32 s10, 0
	s_branch .LBB13_656
.LBB13_653:
	v_mov_b32_e32 v1, 0
	s_wait_loadcnt 0x0
	s_delay_alu instid0(VALU_DEP_1) | instskip(NEXT) | instid1(VALU_DEP_1)
	v_lshrrev_b64 v[28:29], s10, v[0:1]
	v_and_b32_e32 v28, 7, v28
	s_cbranch_execz .LBB13_649
	s_branch .LBB13_650
.LBB13_654:
	s_mov_b32 s10, 0
                                        ; implicit-def: $sgpr2
	s_cbranch_execnz .LBB13_657
	s_branch .LBB13_658
.LBB13_655:
	s_mov_b32 s10, -1
                                        ; implicit-def: $sgpr2
.LBB13_656:
	s_branch .LBB13_658
.LBB13_657:
	s_cmp_lg_u32 s3, 10
	s_mov_b32 s2, s11
	s_cselect_b32 s10, -1, 0
.LBB13_658:
	s_delay_alu instid0(SALU_CYCLE_1)
	s_and_not1_b32 vcc_lo, exec_lo, s10
	s_mov_b32 s10, 11
	s_cbranch_vccnz .LBB13_665
; %bb.659:
	s_cmp_gt_i32 s3, 21
	s_mul_i32 s12, s3, 3
	s_cbranch_scc1 .LBB13_663
; %bb.660:
	s_cmp_lt_i32 s3, 11
	s_mov_b32 s10, s12
	s_mov_b32 s2, s11
	s_cbranch_scc1 .LBB13_662
; %bb.661:
	s_sub_co_i32 s10, s12, 32
	s_add_co_i32 s2, s11, 1
.LBB13_662:
	s_cbranch_execz .LBB13_664
	s_branch .LBB13_665
.LBB13_663:
                                        ; implicit-def: $sgpr10
                                        ; implicit-def: $sgpr2
.LBB13_664:
	s_sub_co_i32 s10, s12, 64
	s_add_co_i32 s2, s11, 2
.LBB13_665:
	s_wait_loadcnt 0x0
	v_mad_u32 v0, s2, s8, v2
	s_cmp_lt_i32 s3, 21
	s_mov_b32 s11, 0
	global_load_b32 v0, v0, s[4:5] scale_offset
	s_cbranch_scc1 .LBB13_668
; %bb.666:
	s_cmp_eq_u32 s3, 21
	s_cbranch_scc0 .LBB13_669
; %bb.667:
	s_add_co_i32 s12, s2, 1
	s_delay_alu instid0(SALU_CYCLE_1) | instskip(SKIP_4) | instid1(VALU_DEP_1)
	v_mad_u32 v1, s12, s8, v2
	s_mov_b32 s12, 0
	global_load_b32 v1, v1, s[4:5] scale_offset
	s_wait_loadcnt 0x0
	v_alignbit_b32 v1, v1, v0, 31
	v_and_b32_e32 v29, 7, v1
	s_branch .LBB13_670
.LBB13_668:
	s_mov_b32 s12, 0
                                        ; implicit-def: $vgpr29
	s_cbranch_execnz .LBB13_671
	s_branch .LBB13_672
.LBB13_669:
	s_mov_b32 s12, -1
                                        ; implicit-def: $vgpr29
.LBB13_670:
	s_branch .LBB13_672
.LBB13_671:
	s_cmp_lg_u32 s3, 10
	s_mov_b32 s11, -1
	s_cselect_b32 s12, -1, 0
.LBB13_672:
	s_delay_alu instid0(SALU_CYCLE_1)
	s_and_not1_b32 vcc_lo, exec_lo, s12
	s_cbranch_vccz .LBB13_678
; %bb.673:
	s_and_not1_b32 vcc_lo, exec_lo, s11
	s_cbranch_vccnz .LBB13_675
.LBB13_674:
	s_add_co_i32 s2, s2, 1
	s_delay_alu instid0(SALU_CYCLE_1) | instskip(SKIP_3) | instid1(VALU_DEP_1)
	v_mad_u32 v1, s2, s8, v2
	global_load_b32 v1, v1, s[4:5] scale_offset
	s_wait_loadcnt 0x0
	v_alignbit_b32 v0, v1, v0, 30
	v_and_b32_e32 v29, 7, v0
.LBB13_675:
	s_load_b32 s2, s[0:1], 0x6c
	s_wait_kmcnt 0x0
	s_ashr_i32 s3, s2, 31
	s_delay_alu instid0(SALU_CYCLE_1) | instskip(NEXT) | instid1(SALU_CYCLE_1)
	s_lshr_b32 s3, s3, 27
	s_add_co_i32 s10, s2, s3
	s_delay_alu instid0(SALU_CYCLE_1)
	s_and_b32 s3, s10, 0xffffffe0
	s_ashr_i32 s11, s10, 5
	s_sub_co_i32 s3, s2, s3
	s_mul_i32 s11, s11, 3
	s_cmp_lt_i32 s3, 21
	s_cbranch_scc1 .LBB13_679
; %bb.676:
	s_cmp_eq_u32 s3, 21
	s_cbranch_scc0 .LBB13_680
; %bb.677:
	s_add_co_i32 s2, s11, 1
	s_mov_b32 s10, 0
	s_branch .LBB13_681
.LBB13_678:
	v_mov_b32_e32 v1, 0
	s_wait_loadcnt 0x0
	s_delay_alu instid0(VALU_DEP_1) | instskip(NEXT) | instid1(VALU_DEP_1)
	v_lshrrev_b64 v[30:31], s10, v[0:1]
	v_and_b32_e32 v29, 7, v30
	s_cbranch_execz .LBB13_674
	s_branch .LBB13_675
.LBB13_679:
	s_mov_b32 s10, 0
                                        ; implicit-def: $sgpr2
	s_cbranch_execnz .LBB13_682
	s_branch .LBB13_683
.LBB13_680:
	s_mov_b32 s10, -1
                                        ; implicit-def: $sgpr2
.LBB13_681:
	s_branch .LBB13_683
.LBB13_682:
	s_cmp_lg_u32 s3, 10
	s_mov_b32 s2, s11
	s_cselect_b32 s10, -1, 0
.LBB13_683:
	s_delay_alu instid0(SALU_CYCLE_1)
	s_and_not1_b32 vcc_lo, exec_lo, s10
	s_mov_b32 s10, 14
	s_cbranch_vccnz .LBB13_690
; %bb.684:
	s_cmp_gt_i32 s3, 21
	s_mul_i32 s12, s3, 3
	s_cbranch_scc1 .LBB13_688
; %bb.685:
	s_cmp_lt_i32 s3, 11
	s_mov_b32 s10, s12
	s_mov_b32 s2, s11
	s_cbranch_scc1 .LBB13_687
; %bb.686:
	s_sub_co_i32 s10, s12, 32
	s_add_co_i32 s2, s11, 1
.LBB13_687:
	s_cbranch_execz .LBB13_689
	s_branch .LBB13_690
.LBB13_688:
                                        ; implicit-def: $sgpr10
                                        ; implicit-def: $sgpr2
.LBB13_689:
	s_sub_co_i32 s10, s12, 64
	s_add_co_i32 s2, s11, 2
.LBB13_690:
	s_wait_loadcnt 0x0
	v_mad_u32 v0, s2, s8, v2
	s_cmp_lt_i32 s3, 21
	s_mov_b32 s11, 0
	global_load_b32 v0, v0, s[4:5] scale_offset
	s_cbranch_scc1 .LBB13_693
; %bb.691:
	s_cmp_eq_u32 s3, 21
	s_cbranch_scc0 .LBB13_694
; %bb.692:
	s_add_co_i32 s12, s2, 1
	s_delay_alu instid0(SALU_CYCLE_1) | instskip(SKIP_4) | instid1(VALU_DEP_1)
	v_mad_u32 v1, s12, s8, v2
	s_mov_b32 s12, 0
	global_load_b32 v1, v1, s[4:5] scale_offset
	s_wait_loadcnt 0x0
	v_alignbit_b32 v1, v1, v0, 31
	v_and_b32_e32 v30, 7, v1
	s_branch .LBB13_695
.LBB13_693:
	s_mov_b32 s12, 0
                                        ; implicit-def: $vgpr30
	s_cbranch_execnz .LBB13_696
	s_branch .LBB13_697
.LBB13_694:
	s_mov_b32 s12, -1
                                        ; implicit-def: $vgpr30
.LBB13_695:
	s_branch .LBB13_697
.LBB13_696:
	s_cmp_lg_u32 s3, 10
	s_mov_b32 s11, -1
	s_cselect_b32 s12, -1, 0
.LBB13_697:
	s_delay_alu instid0(SALU_CYCLE_1)
	s_and_not1_b32 vcc_lo, exec_lo, s12
	s_cbranch_vccz .LBB13_703
; %bb.698:
	s_and_not1_b32 vcc_lo, exec_lo, s11
	s_cbranch_vccnz .LBB13_700
.LBB13_699:
	s_add_co_i32 s2, s2, 1
	s_delay_alu instid0(SALU_CYCLE_1) | instskip(SKIP_3) | instid1(VALU_DEP_1)
	v_mad_u32 v1, s2, s8, v2
	global_load_b32 v1, v1, s[4:5] scale_offset
	s_wait_loadcnt 0x0
	v_alignbit_b32 v0, v1, v0, 30
	v_and_b32_e32 v30, 7, v0
.LBB13_700:
	s_load_b32 s2, s[0:1], 0x70
	s_wait_kmcnt 0x0
	s_ashr_i32 s3, s2, 31
	s_delay_alu instid0(SALU_CYCLE_1) | instskip(NEXT) | instid1(SALU_CYCLE_1)
	s_lshr_b32 s3, s3, 27
	s_add_co_i32 s10, s2, s3
	s_delay_alu instid0(SALU_CYCLE_1)
	s_and_b32 s3, s10, 0xffffffe0
	s_ashr_i32 s11, s10, 5
	s_sub_co_i32 s3, s2, s3
	s_mul_i32 s11, s11, 3
	s_cmp_lt_i32 s3, 21
	s_cbranch_scc1 .LBB13_704
; %bb.701:
	s_cmp_eq_u32 s3, 21
	s_cbranch_scc0 .LBB13_705
; %bb.702:
	s_add_co_i32 s2, s11, 1
	s_mov_b32 s10, 0
	s_branch .LBB13_706
.LBB13_703:
	v_mov_b32_e32 v1, 0
	s_wait_loadcnt 0x0
	s_delay_alu instid0(VALU_DEP_1) | instskip(NEXT) | instid1(VALU_DEP_1)
	v_lshrrev_b64 v[30:31], s10, v[0:1]
	v_and_b32_e32 v30, 7, v30
	s_cbranch_execz .LBB13_699
	s_branch .LBB13_700
.LBB13_704:
	s_mov_b32 s10, 0
                                        ; implicit-def: $sgpr2
	s_cbranch_execnz .LBB13_707
	s_branch .LBB13_708
.LBB13_705:
	s_mov_b32 s10, -1
                                        ; implicit-def: $sgpr2
.LBB13_706:
	s_branch .LBB13_708
.LBB13_707:
	s_cmp_lg_u32 s3, 10
	s_mov_b32 s2, s11
	s_cselect_b32 s10, -1, 0
.LBB13_708:
	s_delay_alu instid0(SALU_CYCLE_1)
	s_and_not1_b32 vcc_lo, exec_lo, s10
	s_mov_b32 s10, 17
	s_cbranch_vccnz .LBB13_715
; %bb.709:
	s_cmp_gt_i32 s3, 21
	s_mul_i32 s12, s3, 3
	s_cbranch_scc1 .LBB13_713
; %bb.710:
	s_cmp_lt_i32 s3, 11
	s_mov_b32 s10, s12
	s_mov_b32 s2, s11
	s_cbranch_scc1 .LBB13_712
; %bb.711:
	s_sub_co_i32 s10, s12, 32
	s_add_co_i32 s2, s11, 1
.LBB13_712:
	s_cbranch_execz .LBB13_714
	s_branch .LBB13_715
.LBB13_713:
                                        ; implicit-def: $sgpr10
                                        ; implicit-def: $sgpr2
.LBB13_714:
	s_sub_co_i32 s10, s12, 64
	s_add_co_i32 s2, s11, 2
.LBB13_715:
	s_wait_loadcnt 0x0
	v_mad_u32 v0, s2, s8, v2
	s_cmp_lt_i32 s3, 21
	s_mov_b32 s11, 0
	global_load_b32 v0, v0, s[4:5] scale_offset
	s_cbranch_scc1 .LBB13_718
; %bb.716:
	s_cmp_eq_u32 s3, 21
	s_cbranch_scc0 .LBB13_719
; %bb.717:
	s_add_co_i32 s12, s2, 1
	s_delay_alu instid0(SALU_CYCLE_1) | instskip(SKIP_4) | instid1(VALU_DEP_1)
	v_mad_u32 v1, s12, s8, v2
	s_mov_b32 s12, 0
	global_load_b32 v1, v1, s[4:5] scale_offset
	s_wait_loadcnt 0x0
	v_alignbit_b32 v1, v1, v0, 31
	v_and_b32_e32 v31, 7, v1
	s_branch .LBB13_720
.LBB13_718:
	s_mov_b32 s12, 0
                                        ; implicit-def: $vgpr31
	s_cbranch_execnz .LBB13_721
	s_branch .LBB13_722
.LBB13_719:
	s_mov_b32 s12, -1
                                        ; implicit-def: $vgpr31
.LBB13_720:
	s_branch .LBB13_722
.LBB13_721:
	s_cmp_lg_u32 s3, 10
	s_mov_b32 s11, -1
	s_cselect_b32 s12, -1, 0
.LBB13_722:
	s_delay_alu instid0(SALU_CYCLE_1)
	s_and_not1_b32 vcc_lo, exec_lo, s12
	s_cbranch_vccz .LBB13_728
; %bb.723:
	s_and_not1_b32 vcc_lo, exec_lo, s11
	s_cbranch_vccnz .LBB13_725
.LBB13_724:
	s_add_co_i32 s2, s2, 1
	s_delay_alu instid0(SALU_CYCLE_1) | instskip(SKIP_3) | instid1(VALU_DEP_1)
	v_mad_u32 v1, s2, s8, v2
	global_load_b32 v1, v1, s[4:5] scale_offset
	s_wait_loadcnt 0x0
	v_alignbit_b32 v0, v1, v0, 30
	v_and_b32_e32 v31, 7, v0
.LBB13_725:
	s_load_b32 s2, s[0:1], 0x74
	s_wait_kmcnt 0x0
	s_ashr_i32 s3, s2, 31
	s_delay_alu instid0(SALU_CYCLE_1) | instskip(NEXT) | instid1(SALU_CYCLE_1)
	s_lshr_b32 s3, s3, 27
	s_add_co_i32 s10, s2, s3
	s_delay_alu instid0(SALU_CYCLE_1)
	s_and_b32 s3, s10, 0xffffffe0
	s_ashr_i32 s11, s10, 5
	s_sub_co_i32 s3, s2, s3
	s_mul_i32 s11, s11, 3
	s_cmp_lt_i32 s3, 21
	s_cbranch_scc1 .LBB13_729
; %bb.726:
	s_cmp_eq_u32 s3, 21
	s_cbranch_scc0 .LBB13_730
; %bb.727:
	s_add_co_i32 s2, s11, 1
	s_mov_b32 s10, 0
	s_branch .LBB13_731
.LBB13_728:
	v_mov_b32_e32 v1, 0
	s_wait_loadcnt 0x0
	s_delay_alu instid0(VALU_DEP_1) | instskip(NEXT) | instid1(VALU_DEP_1)
	v_lshrrev_b64 v[32:33], s10, v[0:1]
	v_and_b32_e32 v31, 7, v32
	s_cbranch_execz .LBB13_724
	s_branch .LBB13_725
.LBB13_729:
	s_mov_b32 s10, 0
                                        ; implicit-def: $sgpr2
	s_cbranch_execnz .LBB13_732
	s_branch .LBB13_733
.LBB13_730:
	s_mov_b32 s10, -1
                                        ; implicit-def: $sgpr2
.LBB13_731:
	s_branch .LBB13_733
.LBB13_732:
	s_cmp_lg_u32 s3, 10
	s_mov_b32 s2, s11
	s_cselect_b32 s10, -1, 0
.LBB13_733:
	s_delay_alu instid0(SALU_CYCLE_1)
	s_and_not1_b32 vcc_lo, exec_lo, s10
	s_mov_b32 s10, 20
	s_cbranch_vccnz .LBB13_740
; %bb.734:
	s_cmp_gt_i32 s3, 21
	s_mul_i32 s12, s3, 3
	s_cbranch_scc1 .LBB13_738
; %bb.735:
	s_cmp_lt_i32 s3, 11
	s_mov_b32 s10, s12
	s_mov_b32 s2, s11
	s_cbranch_scc1 .LBB13_737
; %bb.736:
	s_sub_co_i32 s10, s12, 32
	s_add_co_i32 s2, s11, 1
.LBB13_737:
	s_cbranch_execz .LBB13_739
	s_branch .LBB13_740
.LBB13_738:
                                        ; implicit-def: $sgpr10
                                        ; implicit-def: $sgpr2
.LBB13_739:
	s_sub_co_i32 s10, s12, 64
	s_add_co_i32 s2, s11, 2
.LBB13_740:
	s_wait_loadcnt 0x0
	v_mad_u32 v0, s2, s8, v2
	s_cmp_lt_i32 s3, 21
	s_mov_b32 s11, 0
	global_load_b32 v0, v0, s[4:5] scale_offset
	s_cbranch_scc1 .LBB13_743
; %bb.741:
	s_cmp_eq_u32 s3, 21
	s_cbranch_scc0 .LBB13_744
; %bb.742:
	s_add_co_i32 s12, s2, 1
	s_delay_alu instid0(SALU_CYCLE_1) | instskip(SKIP_4) | instid1(VALU_DEP_1)
	v_mad_u32 v1, s12, s8, v2
	s_mov_b32 s12, 0
	global_load_b32 v1, v1, s[4:5] scale_offset
	s_wait_loadcnt 0x0
	v_alignbit_b32 v1, v1, v0, 31
	v_and_b32_e32 v32, 7, v1
	s_branch .LBB13_745
.LBB13_743:
	s_mov_b32 s12, 0
                                        ; implicit-def: $vgpr32
	s_cbranch_execnz .LBB13_746
	s_branch .LBB13_747
.LBB13_744:
	s_mov_b32 s12, -1
                                        ; implicit-def: $vgpr32
.LBB13_745:
	s_branch .LBB13_747
.LBB13_746:
	s_cmp_lg_u32 s3, 10
	s_mov_b32 s11, -1
	s_cselect_b32 s12, -1, 0
.LBB13_747:
	s_delay_alu instid0(SALU_CYCLE_1)
	s_and_not1_b32 vcc_lo, exec_lo, s12
	s_cbranch_vccz .LBB13_753
; %bb.748:
	s_and_not1_b32 vcc_lo, exec_lo, s11
	s_cbranch_vccnz .LBB13_750
.LBB13_749:
	s_add_co_i32 s2, s2, 1
	s_delay_alu instid0(SALU_CYCLE_1) | instskip(SKIP_3) | instid1(VALU_DEP_1)
	v_mad_u32 v1, s2, s8, v2
	global_load_b32 v1, v1, s[4:5] scale_offset
	s_wait_loadcnt 0x0
	v_alignbit_b32 v0, v1, v0, 30
	v_and_b32_e32 v32, 7, v0
.LBB13_750:
	s_load_b32 s2, s[0:1], 0x78
	s_wait_kmcnt 0x0
	s_ashr_i32 s3, s2, 31
	s_delay_alu instid0(SALU_CYCLE_1) | instskip(NEXT) | instid1(SALU_CYCLE_1)
	s_lshr_b32 s3, s3, 27
	s_add_co_i32 s10, s2, s3
	s_delay_alu instid0(SALU_CYCLE_1)
	s_and_b32 s3, s10, 0xffffffe0
	s_ashr_i32 s11, s10, 5
	s_sub_co_i32 s3, s2, s3
	s_mul_i32 s11, s11, 3
	s_cmp_lt_i32 s3, 21
	s_cbranch_scc1 .LBB13_754
; %bb.751:
	s_cmp_eq_u32 s3, 21
	s_cbranch_scc0 .LBB13_755
; %bb.752:
	s_add_co_i32 s2, s11, 1
	s_mov_b32 s10, 0
	s_branch .LBB13_756
.LBB13_753:
	v_mov_b32_e32 v1, 0
	s_wait_loadcnt 0x0
	s_delay_alu instid0(VALU_DEP_1) | instskip(NEXT) | instid1(VALU_DEP_1)
	v_lshrrev_b64 v[32:33], s10, v[0:1]
	v_and_b32_e32 v32, 7, v32
	s_cbranch_execz .LBB13_749
	s_branch .LBB13_750
.LBB13_754:
	s_mov_b32 s10, 0
                                        ; implicit-def: $sgpr2
	s_cbranch_execnz .LBB13_757
	s_branch .LBB13_758
.LBB13_755:
	s_mov_b32 s10, -1
                                        ; implicit-def: $sgpr2
.LBB13_756:
	s_branch .LBB13_758
.LBB13_757:
	s_cmp_lg_u32 s3, 10
	s_mov_b32 s2, s11
	s_cselect_b32 s10, -1, 0
.LBB13_758:
	s_delay_alu instid0(SALU_CYCLE_1)
	s_and_not1_b32 vcc_lo, exec_lo, s10
	s_mov_b32 s10, 23
	s_cbranch_vccnz .LBB13_765
; %bb.759:
	s_cmp_gt_i32 s3, 21
	s_mul_i32 s12, s3, 3
	s_cbranch_scc1 .LBB13_763
; %bb.760:
	s_cmp_lt_i32 s3, 11
	s_mov_b32 s10, s12
	s_mov_b32 s2, s11
	s_cbranch_scc1 .LBB13_762
; %bb.761:
	s_sub_co_i32 s10, s12, 32
	s_add_co_i32 s2, s11, 1
.LBB13_762:
	s_cbranch_execz .LBB13_764
	s_branch .LBB13_765
.LBB13_763:
                                        ; implicit-def: $sgpr10
                                        ; implicit-def: $sgpr2
.LBB13_764:
	s_sub_co_i32 s10, s12, 64
	s_add_co_i32 s2, s11, 2
.LBB13_765:
	s_wait_loadcnt 0x0
	v_mad_u32 v0, s2, s8, v2
	s_cmp_lt_i32 s3, 21
	s_mov_b32 s11, 0
	global_load_b32 v0, v0, s[4:5] scale_offset
	s_cbranch_scc1 .LBB13_768
; %bb.766:
	s_cmp_eq_u32 s3, 21
	s_cbranch_scc0 .LBB13_769
; %bb.767:
	s_add_co_i32 s12, s2, 1
	s_delay_alu instid0(SALU_CYCLE_1) | instskip(SKIP_4) | instid1(VALU_DEP_1)
	v_mad_u32 v1, s12, s8, v2
	s_mov_b32 s12, 0
	global_load_b32 v1, v1, s[4:5] scale_offset
	s_wait_loadcnt 0x0
	v_alignbit_b32 v1, v1, v0, 31
	v_and_b32_e32 v33, 7, v1
	s_branch .LBB13_770
.LBB13_768:
	s_mov_b32 s12, 0
                                        ; implicit-def: $vgpr33
	s_cbranch_execnz .LBB13_771
	s_branch .LBB13_772
.LBB13_769:
	s_mov_b32 s12, -1
                                        ; implicit-def: $vgpr33
.LBB13_770:
	s_branch .LBB13_772
.LBB13_771:
	s_cmp_lg_u32 s3, 10
	s_mov_b32 s11, -1
	s_cselect_b32 s12, -1, 0
.LBB13_772:
	s_delay_alu instid0(SALU_CYCLE_1)
	s_and_not1_b32 vcc_lo, exec_lo, s12
	s_cbranch_vccz .LBB13_778
; %bb.773:
	s_and_not1_b32 vcc_lo, exec_lo, s11
	s_cbranch_vccnz .LBB13_775
.LBB13_774:
	s_add_co_i32 s2, s2, 1
	s_delay_alu instid0(SALU_CYCLE_1) | instskip(SKIP_3) | instid1(VALU_DEP_1)
	v_mad_u32 v1, s2, s8, v2
	global_load_b32 v1, v1, s[4:5] scale_offset
	s_wait_loadcnt 0x0
	v_alignbit_b32 v0, v1, v0, 30
	v_and_b32_e32 v33, 7, v0
.LBB13_775:
	s_load_b32 s0, s[0:1], 0x7c
	s_wait_kmcnt 0x0
	s_ashr_i32 s1, s0, 31
	s_delay_alu instid0(SALU_CYCLE_1) | instskip(NEXT) | instid1(SALU_CYCLE_1)
	s_lshr_b32 s1, s1, 27
	s_add_co_i32 s1, s0, s1
	s_delay_alu instid0(SALU_CYCLE_1) | instskip(NEXT) | instid1(SALU_CYCLE_1)
	s_and_b32 s2, s1, 0xffffffe0
	s_sub_co_i32 s0, s0, s2
	s_ashr_i32 s2, s1, 5
	s_cmp_lt_i32 s0, 21
	s_mul_i32 s2, s2, 3
	s_cbranch_scc1 .LBB13_779
; %bb.776:
	s_cmp_eq_u32 s0, 21
	s_cbranch_scc0 .LBB13_780
; %bb.777:
	s_add_co_i32 s3, s2, 1
	s_mov_b32 s1, 0
	s_branch .LBB13_781
.LBB13_778:
	v_mov_b32_e32 v1, 0
	s_wait_loadcnt 0x0
	s_delay_alu instid0(VALU_DEP_1) | instskip(NEXT) | instid1(VALU_DEP_1)
	v_lshrrev_b64 v[34:35], s10, v[0:1]
	v_and_b32_e32 v33, 7, v34
	s_cbranch_execz .LBB13_774
	s_branch .LBB13_775
.LBB13_779:
	s_mov_b32 s1, 0
                                        ; implicit-def: $sgpr3
	s_cbranch_execnz .LBB13_782
	s_branch .LBB13_783
.LBB13_780:
	s_mov_b32 s1, -1
                                        ; implicit-def: $sgpr3
.LBB13_781:
	s_branch .LBB13_783
.LBB13_782:
	s_cmp_lg_u32 s0, 10
	s_mov_b32 s3, s2
	s_cselect_b32 s1, -1, 0
.LBB13_783:
	s_delay_alu instid0(SALU_CYCLE_1)
	s_and_not1_b32 vcc_lo, exec_lo, s1
	s_mov_b32 s1, 26
	s_cbranch_vccnz .LBB13_790
; %bb.784:
	s_cmp_gt_i32 s0, 21
	s_mul_i32 s10, s0, 3
	s_cbranch_scc1 .LBB13_788
; %bb.785:
	s_cmp_lt_i32 s0, 11
	s_mov_b32 s1, s10
	s_mov_b32 s3, s2
	s_cbranch_scc1 .LBB13_787
; %bb.786:
	s_sub_co_i32 s1, s10, 32
	s_add_co_i32 s3, s2, 1
.LBB13_787:
	s_cbranch_execz .LBB13_789
	s_branch .LBB13_790
.LBB13_788:
                                        ; implicit-def: $sgpr1
                                        ; implicit-def: $sgpr3
.LBB13_789:
	s_sub_co_i32 s1, s10, 64
	s_add_co_i32 s3, s2, 2
.LBB13_790:
	s_delay_alu instid0(SALU_CYCLE_1)
	v_mad_u32 v34, s3, s8, v2
	s_cmp_lt_i32 s0, 21
	s_mov_b32 s2, 0
	s_wait_loadcnt 0x0
	global_load_b32 v0, v34, s[4:5] scale_offset
	s_cbranch_scc1 .LBB13_793
; %bb.791:
	s_cmp_eq_u32 s0, 21
	s_cbranch_scc0 .LBB13_794
; %bb.792:
	v_add_nc_u32_e32 v1, s8, v34
	s_mov_b32 s3, 0
	global_load_b32 v1, v1, s[4:5] scale_offset
	s_wait_loadcnt 0x0
	v_alignbit_b32 v1, v1, v0, 31
	s_delay_alu instid0(VALU_DEP_1)
	v_and_b32_e32 v1, 7, v1
	s_branch .LBB13_795
.LBB13_793:
	s_mov_b32 s3, 0
                                        ; implicit-def: $vgpr1
	s_cbranch_execnz .LBB13_796
	s_branch .LBB13_797
.LBB13_794:
	s_mov_b32 s3, -1
                                        ; implicit-def: $vgpr1
.LBB13_795:
	s_branch .LBB13_797
.LBB13_796:
	s_cmp_lg_u32 s0, 10
	s_mov_b32 s2, -1
	s_cselect_b32 s3, -1, 0
.LBB13_797:
	s_delay_alu instid0(SALU_CYCLE_1)
	s_and_not1_b32 vcc_lo, exec_lo, s3
	s_cbranch_vccz .LBB13_802
; %bb.798:
	s_and_not1_b32 vcc_lo, exec_lo, s2
	s_cbranch_vccnz .LBB13_800
.LBB13_799:
	v_add_nc_u32_e32 v1, s8, v34
	global_load_b32 v1, v1, s[4:5] scale_offset
	s_wait_loadcnt 0x0
	v_alignbit_b32 v0, v1, v0, 30
	s_delay_alu instid0(VALU_DEP_1)
	v_and_b32_e32 v1, 7, v0
.LBB13_800:
	s_wait_loadcnt 0x0
	v_dual_lshrrev_b32 v0, 1, v24 :: v_dual_lshlrev_b32 v25, 2, v25
	v_dual_lshlrev_b32 v26, 5, v26 :: v_dual_lshlrev_b32 v27, 8, v27
	v_dual_lshlrev_b32 v28, 11, v28 :: v_dual_lshlrev_b32 v15, 4, v15
	v_lshlrev_b32_e32 v16, 7, v16
	s_delay_alu instid0(VALU_DEP_3) | instskip(SKIP_3) | instid1(VALU_DEP_3)
	v_or3_b32 v0, v0, v25, v26
	v_lshrrev_b32_e32 v26, 2, v13
	v_dual_lshlrev_b32 v25, 14, v29 :: v_dual_lshlrev_b32 v29, 17, v30
	v_dual_lshlrev_b32 v4, 3, v4 :: v_dual_lshlrev_b32 v5, 6, v5
	v_lshl_or_b32 v14, v14, 1, v26
	v_lshlrev_b32_e32 v26, 20, v31
	s_mul_i32 s9, s9, s8
	v_or3_b32 v0, v0, v27, v28
	v_mad_u32 v2, s9, 3, v2
	v_or3_b32 v14, v14, v15, v16
	v_dual_lshlrev_b32 v15, 10, v17 :: v_dual_lshlrev_b32 v17, 23, v32
	v_lshlrev_b32_e32 v16, 13, v18
	v_or3_b32 v3, v3, v4, v5
	v_dual_lshlrev_b32 v4, 9, v6 :: v_dual_lshlrev_b32 v5, 12, v7
	v_lshlrev_b32_e32 v7, 16, v19
	s_delay_alu instid0(VALU_DEP_4) | instskip(SKIP_4) | instid1(VALU_DEP_4)
	v_or3_b32 v6, v14, v15, v16
	v_lshlrev_b32_e32 v14, 19, v20
	v_or3_b32 v0, v0, v25, v29
	v_or3_b32 v3, v3, v4, v5
	v_dual_lshlrev_b32 v4, 15, v8 :: v_dual_lshlrev_b32 v5, 18, v9
	v_or3_b32 v6, v6, v7, v14
	v_dual_lshlrev_b32 v7, 22, v21 :: v_dual_lshlrev_b32 v8, 25, v22
	v_lshlrev_b32_e32 v9, 26, v33
	s_delay_alu instid0(VALU_DEP_4) | instskip(SKIP_1) | instid1(VALU_DEP_4)
	v_or3_b32 v3, v3, v4, v5
	v_dual_lshlrev_b32 v4, 21, v10 :: v_dual_lshlrev_b32 v5, 24, v11
	v_or3_b32 v6, v6, v7, v8
	v_dual_lshlrev_b32 v8, 31, v24 :: v_dual_lshlrev_b32 v7, 28, v23
	v_or3_b32 v0, v0, v26, v17
	s_delay_alu instid0(VALU_DEP_4) | instskip(SKIP_3) | instid1(VALU_DEP_3)
	v_or3_b32 v3, v3, v4, v5
	v_dual_lshlrev_b32 v4, 27, v12 :: v_dual_lshlrev_b32 v1, 29, v1
	v_dual_lshlrev_b32 v5, 30, v13 :: v_dual_add_nc_u32 v10, s8, v2
	v_or3_b32 v6, v6, v7, v8
	v_or3_b32 v0, v0, v9, v1
	s_delay_alu instid0(VALU_DEP_3) | instskip(NEXT) | instid1(VALU_DEP_4)
	v_or3_b32 v3, v3, v4, v5
	v_add_nc_u32_e32 v1, s8, v10
	s_clause 0x2
	global_store_b32 v2, v3, s[6:7] scale_offset
	global_store_b32 v10, v6, s[6:7] scale_offset
	;; [unrolled: 1-line block ×3, first 2 shown]
.LBB13_801:
	s_endpgm
.LBB13_802:
	v_mov_b32_e32 v1, 0
	s_wait_loadcnt 0x0
	s_delay_alu instid0(VALU_DEP_1) | instskip(NEXT) | instid1(VALU_DEP_1)
	v_lshrrev_b64 v[36:37], s1, v[0:1]
	v_and_b32_e32 v1, 7, v36
	s_cbranch_execz .LBB13_799
	s_branch .LBB13_800
	.section	.rodata,"a",@progbits
	.p2align	6, 0x0
	.amdhsa_kernel _ZN4vllm4gptq27make_sequential_3bit_kernelEPKjPjPKii
		.amdhsa_group_segment_fixed_size 0
		.amdhsa_private_segment_fixed_size 0
		.amdhsa_kernarg_size 28
		.amdhsa_user_sgpr_count 2
		.amdhsa_user_sgpr_dispatch_ptr 0
		.amdhsa_user_sgpr_queue_ptr 0
		.amdhsa_user_sgpr_kernarg_segment_ptr 1
		.amdhsa_user_sgpr_dispatch_id 0
		.amdhsa_user_sgpr_kernarg_preload_length 0
		.amdhsa_user_sgpr_kernarg_preload_offset 0
		.amdhsa_user_sgpr_private_segment_size 0
		.amdhsa_wavefront_size32 1
		.amdhsa_uses_dynamic_stack 0
		.amdhsa_enable_private_segment 0
		.amdhsa_system_sgpr_workgroup_id_x 1
		.amdhsa_system_sgpr_workgroup_id_y 1
		.amdhsa_system_sgpr_workgroup_id_z 0
		.amdhsa_system_sgpr_workgroup_info 0
		.amdhsa_system_vgpr_workitem_id 0
		.amdhsa_next_free_vgpr 38
		.amdhsa_next_free_sgpr 15
		.amdhsa_named_barrier_count 0
		.amdhsa_reserve_vcc 1
		.amdhsa_float_round_mode_32 0
		.amdhsa_float_round_mode_16_64 0
		.amdhsa_float_denorm_mode_32 3
		.amdhsa_float_denorm_mode_16_64 3
		.amdhsa_fp16_overflow 0
		.amdhsa_memory_ordered 1
		.amdhsa_forward_progress 1
		.amdhsa_inst_pref_size 106
		.amdhsa_round_robin_scheduling 0
		.amdhsa_exception_fp_ieee_invalid_op 0
		.amdhsa_exception_fp_denorm_src 0
		.amdhsa_exception_fp_ieee_div_zero 0
		.amdhsa_exception_fp_ieee_overflow 0
		.amdhsa_exception_fp_ieee_underflow 0
		.amdhsa_exception_fp_ieee_inexact 0
		.amdhsa_exception_int_div_zero 0
	.end_amdhsa_kernel
	.text
.Lfunc_end13:
	.size	_ZN4vllm4gptq27make_sequential_3bit_kernelEPKjPjPKii, .Lfunc_end13-_ZN4vllm4gptq27make_sequential_3bit_kernelEPKjPjPKii
                                        ; -- End function
	.set _ZN4vllm4gptq27make_sequential_3bit_kernelEPKjPjPKii.num_vgpr, 38
	.set _ZN4vllm4gptq27make_sequential_3bit_kernelEPKjPjPKii.num_agpr, 0
	.set _ZN4vllm4gptq27make_sequential_3bit_kernelEPKjPjPKii.numbered_sgpr, 15
	.set _ZN4vllm4gptq27make_sequential_3bit_kernelEPKjPjPKii.num_named_barrier, 0
	.set _ZN4vllm4gptq27make_sequential_3bit_kernelEPKjPjPKii.private_seg_size, 0
	.set _ZN4vllm4gptq27make_sequential_3bit_kernelEPKjPjPKii.uses_vcc, 1
	.set _ZN4vllm4gptq27make_sequential_3bit_kernelEPKjPjPKii.uses_flat_scratch, 0
	.set _ZN4vllm4gptq27make_sequential_3bit_kernelEPKjPjPKii.has_dyn_sized_stack, 0
	.set _ZN4vllm4gptq27make_sequential_3bit_kernelEPKjPjPKii.has_recursion, 0
	.set _ZN4vllm4gptq27make_sequential_3bit_kernelEPKjPjPKii.has_indirect_call, 0
	.section	.AMDGPU.csdata,"",@progbits
; Kernel info:
; codeLenInByte = 13468
; TotalNumSgprs: 17
; NumVgprs: 38
; ScratchSize: 0
; MemoryBound: 0
; FloatMode: 240
; IeeeMode: 1
; LDSByteSize: 0 bytes/workgroup (compile time only)
; SGPRBlocks: 0
; VGPRBlocks: 2
; NumSGPRsForWavesPerEU: 17
; NumVGPRsForWavesPerEU: 38
; NamedBarCnt: 0
; Occupancy: 16
; WaveLimiterHint : 0
; COMPUTE_PGM_RSRC2:SCRATCH_EN: 0
; COMPUTE_PGM_RSRC2:USER_SGPR: 2
; COMPUTE_PGM_RSRC2:TRAP_HANDLER: 0
; COMPUTE_PGM_RSRC2:TGID_X_EN: 1
; COMPUTE_PGM_RSRC2:TGID_Y_EN: 1
; COMPUTE_PGM_RSRC2:TGID_Z_EN: 0
; COMPUTE_PGM_RSRC2:TIDIG_COMP_CNT: 0
	.text
	.protected	_ZN4vllm4gptq27make_sequential_8bit_kernelEPKjPjPKii ; -- Begin function _ZN4vllm4gptq27make_sequential_8bit_kernelEPKjPjPKii
	.globl	_ZN4vllm4gptq27make_sequential_8bit_kernelEPKjPjPKii
	.p2align	8
	.type	_ZN4vllm4gptq27make_sequential_8bit_kernelEPKjPjPKii,@function
_ZN4vllm4gptq27make_sequential_8bit_kernelEPKjPjPKii: ; @_ZN4vllm4gptq27make_sequential_8bit_kernelEPKjPjPKii
; %bb.0:
	s_load_b32 s2, s[0:1], 0x18
	s_bfe_u32 s3, ttmp6, 0x4000c
	s_and_b32 s4, ttmp6, 15
	s_add_co_i32 s5, s3, 1
	s_getreg_b32 s3, hwreg(HW_REG_IB_STS2, 6, 4)
	s_mul_i32 s5, ttmp9, s5
	s_delay_alu instid0(SALU_CYCLE_1) | instskip(SKIP_4) | instid1(SALU_CYCLE_1)
	s_add_co_i32 s4, s4, s5
	s_wait_kmcnt 0x0
	s_ashr_i32 s2, s2, 1
	s_cmp_eq_u32 s3, 0
	s_cselect_b32 s4, ttmp9, s4
	v_lshl_add_u32 v0, s4, 5, v0
	s_mov_b32 s4, exec_lo
	s_delay_alu instid0(VALU_DEP_1)
	v_cmpx_gt_u32_e64 s2, v0
	s_cbranch_execz .LBB14_2
; %bb.1:
	s_load_b64 s[4:5], s[0:1], 0x10
	s_bfe_u32 s6, ttmp6, 0x40010
	s_bfe_u32 s7, ttmp6, 0x40004
	s_add_co_i32 s6, s6, 1
	s_delay_alu instid0(SALU_CYCLE_1) | instskip(NEXT) | instid1(SALU_CYCLE_1)
	s_mul_i32 s6, ttmp7, s6
	s_add_co_i32 s7, s7, s6
	s_cmp_eq_u32 s3, 0
	s_cselect_b32 s3, ttmp7, s7
	s_delay_alu instid0(SALU_CYCLE_1) | instskip(NEXT) | instid1(SALU_CYCLE_1)
	s_lshl_b32 s6, s3, 2
	s_ashr_i32 s7, s6, 31
	s_delay_alu instid0(SALU_CYCLE_1)
	s_lshl_b64 s[6:7], s[6:7], 2
	s_wait_kmcnt 0x0
	s_add_nc_u64 s[12:13], s[4:5], s[6:7]
	s_load_b128 s[8:11], s[12:13], 0x0
	s_load_b128 s[4:7], s[0:1], 0x0
	s_wait_kmcnt 0x0
	s_ashr_i32 s1, s11, 2
	s_ashr_i32 s0, s9, 2
	;; [unrolled: 1-line block ×3, first 2 shown]
	v_mad_u32 v1, s1, s2, v0
	v_mad_u32 v10, s0, s2, v0
	s_ashr_i32 s0, s8, 2
	v_mad_u32 v11, s12, s2, v0
	v_mad_u32 v12, s0, s2, v0
	s_lshl_b32 s1, s9, 3
	s_lshl_b32 s0, s8, 3
	s_and_b32 s1, s1, 24
	s_and_b32 s0, s0, 24
	s_clause 0x3
	global_load_b64 v[2:3], v1, s[4:5] scale_offset
	global_load_b64 v[4:5], v10, s[4:5] scale_offset
	global_load_b64 v[6:7], v11, s[4:5] scale_offset
	global_load_b64 v[8:9], v12, s[4:5] scale_offset
	s_wait_xcnt 0x0
	s_lshl_b32 s4, s10, 3
	s_lshl_b32 s5, s11, 3
	s_and_b32 s4, s4, 24
	v_mad_u32 v10, s2, s3, v0
	s_wait_loadcnt 0x2
	v_lshrrev_b64 v[4:5], s1, v[4:5]
	s_and_b32 s1, s5, 24
	s_wait_loadcnt 0x1
	v_lshrrev_b64 v[6:7], s4, v[6:7]
	v_lshrrev_b64 v[2:3], s1, v[2:3]
	s_wait_loadcnt 0x0
	v_lshrrev_b64 v[8:9], s0, v[8:9]
	v_lshlrev_b64_e32 v[4:5], 8, v[4:5]
	s_delay_alu instid0(VALU_DEP_4) | instskip(NEXT) | instid1(VALU_DEP_4)
	v_lshlrev_b64_e32 v[6:7], 16, v[6:7]
	v_lshlrev_b64_e32 v[0:1], 24, v[2:3]
	s_delay_alu instid0(VALU_DEP_4)
	v_and_b32_e32 v2, 0xff, v9
	v_and_b32_e32 v3, 0xff, v8
	;; [unrolled: 1-line block ×7, first 2 shown]
	v_or_b32_e32 v2, v5, v2
	v_or_b32_e32 v3, v4, v3
	s_delay_alu instid0(VALU_DEP_2) | instskip(NEXT) | instid1(VALU_DEP_2)
	v_or3_b32 v1, v7, v2, v1
	v_or3_b32 v0, v6, v3, v0
	global_store_b64 v10, v[0:1], s[6:7] scale_offset
.LBB14_2:
	s_endpgm
	.section	.rodata,"a",@progbits
	.p2align	6, 0x0
	.amdhsa_kernel _ZN4vllm4gptq27make_sequential_8bit_kernelEPKjPjPKii
		.amdhsa_group_segment_fixed_size 0
		.amdhsa_private_segment_fixed_size 0
		.amdhsa_kernarg_size 28
		.amdhsa_user_sgpr_count 2
		.amdhsa_user_sgpr_dispatch_ptr 0
		.amdhsa_user_sgpr_queue_ptr 0
		.amdhsa_user_sgpr_kernarg_segment_ptr 1
		.amdhsa_user_sgpr_dispatch_id 0
		.amdhsa_user_sgpr_kernarg_preload_length 0
		.amdhsa_user_sgpr_kernarg_preload_offset 0
		.amdhsa_user_sgpr_private_segment_size 0
		.amdhsa_wavefront_size32 1
		.amdhsa_uses_dynamic_stack 0
		.amdhsa_enable_private_segment 0
		.amdhsa_system_sgpr_workgroup_id_x 1
		.amdhsa_system_sgpr_workgroup_id_y 1
		.amdhsa_system_sgpr_workgroup_id_z 0
		.amdhsa_system_sgpr_workgroup_info 0
		.amdhsa_system_vgpr_workitem_id 0
		.amdhsa_next_free_vgpr 13
		.amdhsa_next_free_sgpr 14
		.amdhsa_named_barrier_count 0
		.amdhsa_reserve_vcc 0
		.amdhsa_float_round_mode_32 0
		.amdhsa_float_round_mode_16_64 0
		.amdhsa_float_denorm_mode_32 3
		.amdhsa_float_denorm_mode_16_64 3
		.amdhsa_fp16_overflow 0
		.amdhsa_memory_ordered 1
		.amdhsa_forward_progress 1
		.amdhsa_inst_pref_size 4
		.amdhsa_round_robin_scheduling 0
		.amdhsa_exception_fp_ieee_invalid_op 0
		.amdhsa_exception_fp_denorm_src 0
		.amdhsa_exception_fp_ieee_div_zero 0
		.amdhsa_exception_fp_ieee_overflow 0
		.amdhsa_exception_fp_ieee_underflow 0
		.amdhsa_exception_fp_ieee_inexact 0
		.amdhsa_exception_int_div_zero 0
	.end_amdhsa_kernel
	.text
.Lfunc_end14:
	.size	_ZN4vllm4gptq27make_sequential_8bit_kernelEPKjPjPKii, .Lfunc_end14-_ZN4vllm4gptq27make_sequential_8bit_kernelEPKjPjPKii
                                        ; -- End function
	.set _ZN4vllm4gptq27make_sequential_8bit_kernelEPKjPjPKii.num_vgpr, 13
	.set _ZN4vllm4gptq27make_sequential_8bit_kernelEPKjPjPKii.num_agpr, 0
	.set _ZN4vllm4gptq27make_sequential_8bit_kernelEPKjPjPKii.numbered_sgpr, 14
	.set _ZN4vllm4gptq27make_sequential_8bit_kernelEPKjPjPKii.num_named_barrier, 0
	.set _ZN4vllm4gptq27make_sequential_8bit_kernelEPKjPjPKii.private_seg_size, 0
	.set _ZN4vllm4gptq27make_sequential_8bit_kernelEPKjPjPKii.uses_vcc, 0
	.set _ZN4vllm4gptq27make_sequential_8bit_kernelEPKjPjPKii.uses_flat_scratch, 0
	.set _ZN4vllm4gptq27make_sequential_8bit_kernelEPKjPjPKii.has_dyn_sized_stack, 0
	.set _ZN4vllm4gptq27make_sequential_8bit_kernelEPKjPjPKii.has_recursion, 0
	.set _ZN4vllm4gptq27make_sequential_8bit_kernelEPKjPjPKii.has_indirect_call, 0
	.section	.AMDGPU.csdata,"",@progbits
; Kernel info:
; codeLenInByte = 488
; TotalNumSgprs: 14
; NumVgprs: 13
; ScratchSize: 0
; MemoryBound: 0
; FloatMode: 240
; IeeeMode: 1
; LDSByteSize: 0 bytes/workgroup (compile time only)
; SGPRBlocks: 0
; VGPRBlocks: 0
; NumSGPRsForWavesPerEU: 14
; NumVGPRsForWavesPerEU: 13
; NamedBarCnt: 0
; Occupancy: 16
; WaveLimiterHint : 0
; COMPUTE_PGM_RSRC2:SCRATCH_EN: 0
; COMPUTE_PGM_RSRC2:USER_SGPR: 2
; COMPUTE_PGM_RSRC2:TRAP_HANDLER: 0
; COMPUTE_PGM_RSRC2:TGID_X_EN: 1
; COMPUTE_PGM_RSRC2:TGID_Y_EN: 1
; COMPUTE_PGM_RSRC2:TGID_Z_EN: 0
; COMPUTE_PGM_RSRC2:TIDIG_COMP_CNT: 0
	.section	.text._ZN4vllm4gptq33gemm_half_q_half_gptq_2bit_kernelILb1ELi1EEEvPK6__halfPKjS6_S4_PS2_iiiibPKi,"axG",@progbits,_ZN4vllm4gptq33gemm_half_q_half_gptq_2bit_kernelILb1ELi1EEEvPK6__halfPKjS6_S4_PS2_iiiibPKi,comdat
	.protected	_ZN4vllm4gptq33gemm_half_q_half_gptq_2bit_kernelILb1ELi1EEEvPK6__halfPKjS6_S4_PS2_iiiibPKi ; -- Begin function _ZN4vllm4gptq33gemm_half_q_half_gptq_2bit_kernelILb1ELi1EEEvPK6__halfPKjS6_S4_PS2_iiiibPKi
	.globl	_ZN4vllm4gptq33gemm_half_q_half_gptq_2bit_kernelILb1ELi1EEEvPK6__halfPKjS6_S4_PS2_iiiibPKi
	.p2align	8
	.type	_ZN4vllm4gptq33gemm_half_q_half_gptq_2bit_kernelILb1ELi1EEEvPK6__halfPKjS6_S4_PS2_iiiibPKi,@function
_ZN4vllm4gptq33gemm_half_q_half_gptq_2bit_kernelILb1ELi1EEEvPK6__halfPKjS6_S4_PS2_iiiibPKi: ; @_ZN4vllm4gptq33gemm_half_q_half_gptq_2bit_kernelILb1ELi1EEEvPK6__halfPKjS6_S4_PS2_iiiibPKi
; %bb.0:
	s_load_b128 s[4:7], s[0:1], 0x2c
	s_bfe_u32 s2, ttmp6, 0x40014
	s_lshr_b32 s3, ttmp7, 16
	s_add_co_i32 s2, s2, 1
	s_bfe_u32 s9, ttmp6, 0x40010
	s_mul_i32 s2, s3, s2
	s_bfe_u32 s8, ttmp6, 0x40008
	s_and_b32 s10, ttmp7, 0xffff
	s_add_co_i32 s9, s9, 1
	s_add_co_i32 s8, s8, s2
	s_mul_i32 s2, s10, s9
	s_bfe_u32 s9, ttmp6, 0x40004
	s_getreg_b32 s17, hwreg(HW_REG_IB_STS2, 6, 4)
	s_add_co_i32 s9, s9, s2
	s_cmp_eq_u32 s17, 0
	s_mov_b32 s12, exec_lo
	s_cselect_b32 s2, s3, s8
	s_cselect_b32 s14, s10, s9
	s_lshl_b32 s15, s2, 7
	s_delay_alu instid0(SALU_CYCLE_1) | instskip(NEXT) | instid1(SALU_CYCLE_1)
	s_add_co_i32 s2, s15, 0x80
	v_cvt_f64_u32_e32 v[2:3], s2
	s_load_b64 s[2:3], s[0:1], 0x10
	s_wait_kmcnt 0x0
	v_cvt_f64_i32_e32 v[4:5], s5
	s_delay_alu instid0(VALU_DEP_1) | instskip(NEXT) | instid1(VALU_DEP_1)
	v_min_num_f64_e32 v[2:3], v[2:3], v[4:5]
	v_cvt_i32_f64_e32 v1, v[2:3]
	v_add_nc_u32_e32 v2, s15, v0
	s_delay_alu instid0(VALU_DEP_2) | instskip(NEXT) | instid1(VALU_DEP_2)
	v_readfirstlane_b32 s16, v1
	v_cmpx_lt_u32_e64 v2, v1
	s_cbranch_execz .LBB15_4
; %bb.1:
	s_clause 0x1
	s_load_b64 s[10:11], s[0:1], 0x40
	s_load_b64 s[8:9], s[0:1], 0x0
	v_mov_b32_e32 v3, 0
	s_wait_kmcnt 0x0
	s_cmp_eq_u64 s[10:11], 0
	s_cbranch_scc1 .LBB15_3
; %bb.2:
	s_delay_alu instid0(VALU_DEP_1)
	v_lshl_add_u64 v[2:3], v[2:3], 2, s[10:11]
	global_load_b32 v2, v[2:3], off
	s_wait_loadcnt 0x0
	v_ashrrev_i32_e32 v3, 31, v2
.LBB15_3:
	s_mul_i32 s10, s5, s14
	s_delay_alu instid0(SALU_CYCLE_1) | instskip(NEXT) | instid1(SALU_CYCLE_1)
	s_ashr_i32 s11, s10, 31
	s_lshl_b64 s[10:11], s[10:11], 1
	s_delay_alu instid0(SALU_CYCLE_1) | instskip(NEXT) | instid1(SALU_CYCLE_1)
	s_add_nc_u64 s[8:9], s[8:9], s[10:11]
	v_lshl_add_u64 v[2:3], v[2:3], 1, s[8:9]
	global_load_u16 v1, v[2:3], off
	s_wait_xcnt 0x0
	v_lshlrev_b32_e32 v2, 1, v0
	s_wait_loadcnt 0x0
	ds_store_b16 v2, v1
.LBB15_4:
	s_or_b32 exec_lo, exec_lo, s12
	s_clause 0x1
	s_load_b64 s[12:13], s[0:1], 0x8
	s_load_b128 s[8:11], s[0:1], 0x18
	s_wait_xcnt 0x0
	s_bfe_u32 s0, ttmp6, 0x4000c
	s_and_b32 s1, ttmp6, 15
	s_add_co_i32 s0, s0, 1
	v_lshlrev_b32_e32 v1, 2, v0
	s_mul_i32 s0, ttmp9, s0
	s_delay_alu instid0(SALU_CYCLE_1)
	s_add_co_i32 s1, s1, s0
	s_cmp_eq_u32 s17, 0
	s_cselect_b32 s0, ttmp9, s1
	s_mov_b32 s1, 0
	v_lshl_add_u32 v4, s0, 9, v1
	s_mov_b32 s0, exec_lo
	s_delay_alu instid0(VALU_DEP_1)
	v_cmpx_gt_i32_e64 s4, v4
	s_cbranch_execz .LBB15_16
; %bb.5:
	s_abs_i32 s17, s6
	s_cmp_ge_i32 s15, s16
	s_cvt_f32_u32 s0, s17
	s_wait_dscnt 0x0
	s_barrier_signal -1
	s_barrier_wait -1
	v_rcp_iflag_f32_e32 v1, s0
	v_nop
	s_delay_alu instid0(TRANS32_DEP_1)
	v_readfirstlane_b32 s0, v1
	s_cbranch_scc1 .LBB15_10
; %bb.6:
	s_mul_f32 s0, s0, 0x4f7ffffe
	s_ashr_i32 s6, s6, 31
	v_ashrrev_i32_e32 v5, 31, v4
	s_delay_alu instid0(SALU_CYCLE_1) | instskip(SKIP_1) | instid1(SALU_CYCLE_2)
	s_cvt_u32_f32 s18, s0
	s_sub_co_i32 s0, 0, s17
	s_mul_i32 s19, s0, s18
	s_abs_i32 s0, s5
	s_mul_hi_u32 s20, s18, s19
	s_mov_b32 s19, s1
	s_add_co_i32 s18, s18, s20
	s_ashr_i32 s5, s5, 31
	s_mul_u64 s[18:19], s[0:1], s[18:19]
	s_xor_b32 s5, s5, s6
	s_mul_i32 s18, s19, s17
	s_add_co_i32 s6, s19, 1
	s_sub_co_i32 s0, s0, s18
	s_delay_alu instid0(SALU_CYCLE_1)
	s_sub_co_i32 s18, s0, s17
	s_cmp_ge_u32 s0, s17
	s_cselect_b32 s6, s6, s19
	s_cselect_b32 s0, s18, s0
	s_add_co_i32 s18, s6, 1
	s_cmp_ge_u32 s0, s17
	s_mov_b32 s19, 0x30003
	s_cselect_b32 s0, s18, s6
	s_mov_b32 s18, 0x10001
	s_xor_b32 s0, s0, s5
	s_delay_alu instid0(SALU_CYCLE_1)
	s_sub_co_i32 s0, s0, s5
	s_bitcmp1_b32 s7, 0
	s_cvt_f32_u32 s5, s0
	s_cselect_b32 s6, -1, 0
	s_sub_co_i32 s7, 0, s0
	s_xor_b32 s20, s6, -1
	v_rcp_iflag_f32_e32 v1, s5
	v_cndmask_b32_e64 v21, 0, 1, s20
	s_mov_b32 s20, 0xc000c0
	s_delay_alu instid0(TRANS32_DEP_1) | instskip(SKIP_1) | instid1(SALU_CYCLE_3)
	v_readfirstlane_b32 s5, v1
	s_mul_f32 s5, s5, 0x4f7ffffe
	s_cvt_u32_f32 s5, s5
	s_delay_alu instid0(SALU_CYCLE_3) | instskip(NEXT) | instid1(SALU_CYCLE_1)
	s_mul_i32 s7, s7, s5
	s_mul_hi_u32 s7, s5, s7
	s_delay_alu instid0(SALU_CYCLE_1) | instskip(NEXT) | instid1(SALU_CYCLE_1)
	s_add_co_i32 s5, s5, s7
	s_mul_hi_u32 s5, s15, s5
	s_delay_alu instid0(SALU_CYCLE_1) | instskip(NEXT) | instid1(SALU_CYCLE_1)
	s_mul_i32 s7, s5, s0
	s_sub_co_i32 s6, s15, s7
	s_add_co_i32 s7, s5, 1
	s_sub_co_i32 s17, s6, s0
	s_cmp_ge_u32 s6, s0
	s_cselect_b32 s5, s7, s5
	s_cselect_b32 s6, s17, s6
	s_add_co_i32 s7, s5, 1
	s_cmp_ge_u32 s6, s0
	s_cselect_b32 s17, s7, s5
	s_delay_alu instid0(SALU_CYCLE_1) | instskip(NEXT) | instid1(SALU_CYCLE_1)
	s_mul_i32 s5, s17, s4
	v_dual_lshrrev_b32 v1, 28, v5 :: v_dual_add_nc_u32 v2, s5, v4
	s_ashr_i32 s6, s5, 31
	s_delay_alu instid0(SALU_CYCLE_1) | instskip(NEXT) | instid1(VALU_DEP_1)
	s_lshr_b32 s6, s6, 28
	v_add_nc_u32_e32 v1, v4, v1
	s_add_co_i32 s6, s5, s6
	s_lshr_b32 s5, s15, 4
	s_ashr_i32 s6, s6, 4
	s_delay_alu instid0(VALU_DEP_1) | instskip(SKIP_1) | instid1(VALU_DEP_1)
	v_dual_ashrrev_i32 v3, 31, v2 :: v_dual_ashrrev_i32 v19, 4, v1
	s_wait_kmcnt 0x0
	v_lshl_add_u64 v[2:3], v[2:3], 1, s[8:9]
	s_delay_alu instid0(VALU_DEP_2)
	v_add_nc_u32_e32 v1, s6, v19
	s_mul_i32 s6, s4, s5
	s_ashr_i32 s5, s4, 31
	s_ashr_i32 s7, s6, 31
	global_load_b64 v[6:7], v[2:3], off
	s_wait_xcnt 0x0
	v_lshlrev_b32_e32 v2, 3, v0
	global_load_b32 v10, v1, s[2:3] scale_offset
	s_lshl_b64 s[6:7], s[6:7], 2
	v_mov_b32_e32 v18, 0
	s_add_nc_u64 s[6:7], s[12:13], s[6:7]
	v_and_b32_e32 v20, 24, v2
	s_wait_xcnt 0x0
	v_lshl_add_u64 v[0:1], v[4:5], 2, s[6:7]
	s_add_co_i32 s12, s0, s15
	s_lshl_b64 s[6:7], s[4:5], 2
	s_mov_b32 s5, 0xc000c
	s_mov_b32 s13, 0x300030
	v_add_nc_u64_e32 v[8:9], 8, v[0:1]
	s_wait_loadcnt 0x0
	v_dual_mov_b32 v5, 0 :: v_dual_lshrrev_b32 v2, v2, v10
	v_bfe_u32 v22, v10, v20, 2
	s_delay_alu instid0(VALU_DEP_2)
	v_bfe_u32 v23, v2, 2, 2
	v_bfe_u32 v24, v2, 4, 2
	;; [unrolled: 1-line block ×3, first 2 shown]
	s_branch .LBB15_8
.LBB15_7:                               ;   in Loop: Header=BB15_8 Depth=1
	global_load_b128 v[0:3], v[8:9], off offset:-8
	v_dual_add_nc_u32 v10, v22, v21 :: v_dual_add_nc_u32 v11, v23, v21
	v_dual_add_nc_u32 v12, v24, v21 :: v_dual_add_nc_u32 v13, v25, v21
	v_mov_b32_e32 v26, s1
	s_delay_alu instid0(VALU_DEP_3)
	v_cvt_f32_i32_e32 v27, v10
	v_and_b32_e32 v28, 0x1bff, v10
	v_cvt_f32_i32_e32 v29, v11
	v_and_b32_e32 v30, 0x1bff, v11
	;; [unrolled: 2-line block ×4, first 2 shown]
	s_wait_xcnt 0x0
	v_add_nc_u64_e32 v[8:9], s[6:7], v[8:9]
	s_add_co_i32 s15, s15, 16
	s_add_co_i32 s1, s1, 32
	s_cmp_ge_i32 s15, s16
	s_wait_loadcnt 0x0
	v_and_or_b32 v42, v0, s19, 0x64006400
	v_and_or_b32 v43, v0, s5, 0x64006400
	;; [unrolled: 1-line block ×4, first 2 shown]
	v_lshrrev_b32_e32 v0, 8, v0
	ds_load_2addr_b32 v[16:17], v26 offset1:1
	ds_load_2addr_b32 v[14:15], v26 offset0:2 offset1:3
	ds_load_2addr_b32 v[12:13], v26 offset0:4 offset1:5
	;; [unrolled: 1-line block ×3, first 2 shown]
	v_cvt_f16_f32_e32 v26, v27
	v_mad_u32_u24 v27, v28, s18, 0xe400e400
	v_cvt_f16_f32_e32 v28, v29
	v_mad_u32_u24 v29, v30, s18, 0xe400e400
	v_cvt_f16_f32_e32 v30, v31
	v_mad_u32_u24 v31, v32, s18, 0xe400e400
	v_cvt_f16_f32_e32 v32, v33
	v_mad_u32_u24 v33, v34, s18, 0xe400e400
	v_sub_f16_e32 v34, 0xdc00, v26
	v_sub_f16_e32 v35, 0xd400, v26
	;; [unrolled: 1-line block ×8, first 2 shown]
	v_and_b32_e32 v34, 0xffff, v34
	v_and_b32_e32 v35, 0xffff, v35
	v_sub_f16_e32 v39, 0xd400, v30
	v_sub_f16_e32 v41, 0xd400, v32
	v_and_b32_e32 v26, 0xffff, v26
	v_and_b32_e32 v36, 0xffff, v36
	;; [unrolled: 1-line block ×5, first 2 shown]
	v_mul_u32_u24_e32 v34, 0x10001, v34
	v_mul_u32_u24_e32 v35, 0x10001, v35
	v_and_or_b32 v46, v1, s19, 0x64006400
	v_and_or_b32 v47, v1, s5, 0x64006400
	;; [unrolled: 1-line block ×4, first 2 shown]
	v_lshrrev_b32_e32 v1, 8, v1
	v_and_or_b32 v50, v2, s19, 0x64006400
	v_and_or_b32 v51, v2, s5, 0x64006400
	;; [unrolled: 1-line block ×4, first 2 shown]
	v_lshrrev_b32_e32 v2, 8, v2
	v_and_or_b32 v54, v3, s19, 0x64006400
	v_and_or_b32 v58, v0, s19, 0x64006400
	;; [unrolled: 1-line block ×4, first 2 shown]
	v_sub_f16_e32 v30, 0xcc00, v30
	v_sub_f16_e32 v32, 0xcc00, v32
	v_and_b32_e32 v37, 0xffff, v37
	v_and_b32_e32 v39, 0xffff, v39
	;; [unrolled: 1-line block ×3, first 2 shown]
	v_mul_u32_u24_e32 v26, 0x10001, v26
	v_mul_u32_u24_e32 v36, 0x10001, v36
	;; [unrolled: 1-line block ×5, first 2 shown]
	v_and_or_b32 v55, v3, s5, 0x64006400
	v_and_or_b32 v0, v0, s20, 0x64006400
	v_pk_add_f16 v42, v27, v42
	v_pk_fma_f16 v43, 0x3400, v43, v34 op_sel_hi:[0,1,1]
	v_pk_fma_f16 v44, 0x2c00, v44, v35 op_sel_hi:[0,1,1]
	v_and_or_b32 v61, v1, s19, 0x64006400
	v_and_or_b32 v62, v1, s5, 0x64006400
	v_pk_add_f16 v27, v27, v58
	v_and_or_b32 v58, v1, s13, 0x64006400
	v_and_or_b32 v1, v1, s20, 0x64006400
	v_pk_add_f16 v46, v29, v46
	v_pk_fma_f16 v34, 0x3400, v59, v34 op_sel_hi:[0,1,1]
	v_and_or_b32 v59, v2, s19, 0x64006400
	v_pk_fma_f16 v35, 0x2c00, v60, v35 op_sel_hi:[0,1,1]
	v_and_or_b32 v60, v2, s5, 0x64006400
	v_pk_add_f16 v50, v31, v50
	v_pk_add_f16 v54, v33, v54
	v_and_b32_e32 v30, 0xffff, v30
	v_and_b32_e32 v32, 0xffff, v32
	v_mul_u32_u24_e32 v37, 0x10001, v37
	v_mul_u32_u24_e32 v39, 0x10001, v39
	;; [unrolled: 1-line block ×3, first 2 shown]
	v_and_or_b32 v56, v3, s13, 0x64006400
	v_pk_fma_f16 v45, 0x2400, v45, v26 op_sel_hi:[0,1,1]
	v_pk_fma_f16 v47, 0x3400, v47, v36 op_sel_hi:[0,1,1]
	;; [unrolled: 1-line block ×4, first 2 shown]
	v_and_or_b32 v26, v2, s13, 0x64006400
	v_pk_fma_f16 v51, 0x3400, v51, v38 op_sel_hi:[0,1,1]
	v_pk_fma_f16 v55, 0x3400, v55, v40 op_sel_hi:[0,1,1]
	;; [unrolled: 1-line block ×3, first 2 shown]
	v_pk_add_f16 v28, v31, v59
	v_pk_fma_f16 v31, 0x3400, v60, v38 op_sel_hi:[0,1,1]
	s_wait_dscnt 0x3
	v_pk_fma_f16 v38, v42, v16, 0
	v_pk_fma_f16 v42, v46, v16, 0
	;; [unrolled: 1-line block ×4, first 2 shown]
	v_mul_u32_u24_e32 v30, 0x10001, v30
	v_mul_u32_u24_e32 v32, 0x10001, v32
	v_and_or_b32 v57, v3, s20, 0x64006400
	v_lshrrev_b32_e32 v3, 8, v3
	v_pk_fma_f16 v48, 0x2c00, v48, v37 op_sel_hi:[0,1,1]
	v_and_or_b32 v2, v2, s20, 0x64006400
	v_pk_fma_f16 v52, 0x2c00, v52, v39 op_sel_hi:[0,1,1]
	v_pk_fma_f16 v56, 0x2c00, v56, v41 op_sel_hi:[0,1,1]
	;; [unrolled: 1-line block ×3, first 2 shown]
	v_pk_fma_f16 v38, v43, v17, v38
	v_pk_fma_f16 v39, v47, v17, v42
	v_pk_fma_f16 v42, v51, v17, v46
	v_pk_fma_f16 v16, v55, v17, v16
	v_pk_fma_f16 v53, 0x2400, v53, v30 op_sel_hi:[0,1,1]
	v_pk_add_f16 v29, v29, v61
	v_and_or_b32 v61, v3, s19, 0x64006400
	v_pk_fma_f16 v57, 0x2400, v57, v32 op_sel_hi:[0,1,1]
	v_pk_fma_f16 v2, 0x2400, v2, v30 op_sel_hi:[0,1,1]
	s_wait_dscnt 0x2
	v_pk_fma_f16 v17, v44, v14, v38
	v_pk_fma_f16 v30, v48, v14, v39
	;; [unrolled: 1-line block ×4, first 2 shown]
	v_pk_fma_f16 v36, 0x3400, v62, v36 op_sel_hi:[0,1,1]
	v_and_or_b32 v62, v3, s5, 0x64006400
	v_pk_add_f16 v16, v33, v61
	v_pk_fma_f16 v17, v45, v15, v17
	v_pk_fma_f16 v30, v49, v15, v30
	;; [unrolled: 1-line block ×4, first 2 shown]
	v_pk_fma_f16 v37, 0x2c00, v58, v37 op_sel_hi:[0,1,1]
	v_and_or_b32 v58, v3, s13, 0x64006400
	v_pk_fma_f16 v15, 0x3400, v62, v40 op_sel_hi:[0,1,1]
	s_wait_dscnt 0x1
	v_pk_fma_f16 v17, v27, v12, v17
	v_pk_fma_f16 v27, v29, v12, v30
	;; [unrolled: 1-line block ×4, first 2 shown]
	v_and_or_b32 v3, v3, s20, 0x64006400
	v_pk_fma_f16 v14, 0x2c00, v58, v41 op_sel_hi:[0,1,1]
	v_pk_fma_f16 v16, v34, v13, v17
	v_pk_fma_f16 v17, v36, v13, v27
	;; [unrolled: 1-line block ×4, first 2 shown]
	v_pk_fma_f16 v3, 0x2400, v3, v32 op_sel_hi:[0,1,1]
	s_wait_dscnt 0x0
	v_pk_fma_f16 v13, v35, v10, v16
	v_pk_fma_f16 v15, v37, v10, v17
	v_pk_fma_f16 v16, v26, v10, v27
	v_pk_fma_f16 v10, v14, v10, v12
	s_delay_alu instid0(VALU_DEP_4) | instskip(NEXT) | instid1(VALU_DEP_4)
	v_pk_fma_f16 v0, v0, v11, v13
	v_pk_fma_f16 v1, v1, v11, v15
	s_delay_alu instid0(VALU_DEP_4) | instskip(NEXT) | instid1(VALU_DEP_4)
	v_pk_fma_f16 v2, v2, v11, v16
	v_pk_fma_f16 v3, v3, v11, v10
	s_delay_alu instid0(VALU_DEP_3) | instskip(SKIP_1) | instid1(VALU_DEP_3)
	v_pack_b32_f16 v10, v0, v1
	v_perm_b32 v0, v1, v0, 0x7060302
	v_pack_b32_f16 v1, v3, v2
	v_perm_b32 v2, v2, v3, 0x7060302
	s_delay_alu instid0(VALU_DEP_3) | instskip(NEXT) | instid1(VALU_DEP_2)
	v_pk_add_f16 v0, v10, v0
	v_pk_add_f16 v1, v1, v2
	s_delay_alu instid0(VALU_DEP_2) | instskip(NEXT) | instid1(VALU_DEP_2)
	v_pk_fma_f16 v18, v0, v6, v18
	v_pk_fma_f16 v5, v1, v7, v5 op_sel:[0,1,0] op_sel_hi:[1,0,1]
	s_cbranch_scc1 .LBB15_11
.LBB15_8:                               ; =>This Inner Loop Header: Depth=1
	s_cmp_lg_u32 s15, s12
	s_cbranch_scc1 .LBB15_7
; %bb.9:                                ;   in Loop: Header=BB15_8 Depth=1
	s_add_co_i32 s17, s17, 1
	s_add_co_i32 s12, s12, s0
	s_mul_i32 s21, s17, s4
	s_delay_alu instid0(SALU_CYCLE_1) | instskip(SKIP_2) | instid1(SALU_CYCLE_1)
	s_ashr_i32 s22, s21, 31
	v_add_nc_u32_e32 v0, s21, v4
	s_lshr_b32 s22, s22, 28
	s_add_co_i32 s22, s21, s22
	s_delay_alu instid0(SALU_CYCLE_1) | instskip(NEXT) | instid1(SALU_CYCLE_1)
	s_ashr_i32 s22, s22, 4
	v_add_nc_u32_e32 v1, s22, v19
	global_load_b32 v2, v1, s[2:3] scale_offset
	s_wait_xcnt 0x0
	v_ashrrev_i32_e32 v1, 31, v0
	s_delay_alu instid0(VALU_DEP_1)
	v_lshl_add_u64 v[0:1], v[0:1], 1, s[8:9]
	global_load_b64 v[6:7], v[0:1], off
	s_wait_loadcnt 0x1
	s_wait_xcnt 0x0
	v_lshrrev_b32_e32 v0, v20, v2
	v_bfe_u32 v22, v2, v20, 2
	s_delay_alu instid0(VALU_DEP_2)
	v_bfe_u32 v23, v0, 2, 2
	v_bfe_u32 v24, v0, 4, 2
	;; [unrolled: 1-line block ×3, first 2 shown]
	s_branch .LBB15_7
.LBB15_10:
	v_dual_mov_b32 v5, 0 :: v_dual_mov_b32 v18, 0
	v_mov_b32_e32 v6, 0
	s_branch .LBB15_12
.LBB15_11:
	s_delay_alu instid0(VALU_DEP_1)
	v_dual_lshrrev_b32 v6, 16, v5 :: v_dual_lshlrev_b32 v5, 16, v5
.LBB15_12:
	v_mad_u32 v0, s4, s14, v4
	s_mov_b32 s0, 0
	s_delay_alu instid0(VALU_DEP_1) | instskip(SKIP_1) | instid1(VALU_DEP_1)
	v_ashrrev_i32_e32 v1, 31, v0
	s_wait_kmcnt 0x0
	v_lshl_add_u64 v[0:1], v[0:1], 1, s[10:11]
	global_load_b32 v3, v[0:1], off
.LBB15_13:                              ; =>This Inner Loop Header: Depth=1
	s_wait_loadcnt 0x0
	v_pk_add_f16 v2, v18, v3
	global_atomic_cmpswap_b32 v2, v[0:1], v[2:3], off th:TH_ATOMIC_RETURN scope:SCOPE_DEV
	s_wait_loadcnt 0x0
	v_cmp_eq_u32_e32 vcc_lo, v3, v2
	v_mov_b32_e32 v3, v2
	s_or_b32 s0, vcc_lo, s0
	s_delay_alu instid0(SALU_CYCLE_1)
	s_and_not1_b32 exec_lo, exec_lo, s0
	s_cbranch_execnz .LBB15_13
; %bb.14:
	s_or_b32 exec_lo, exec_lo, s0
	global_load_b32 v3, v[0:1], off offset:4
	v_or_b32_e32 v4, v5, v6
	s_mov_b32 s0, 0
.LBB15_15:                              ; =>This Inner Loop Header: Depth=1
	s_wait_loadcnt 0x0
	s_delay_alu instid0(VALU_DEP_1)
	v_pk_add_f16 v2, v4, v3
	global_atomic_cmpswap_b32 v2, v[0:1], v[2:3], off offset:4 th:TH_ATOMIC_RETURN scope:SCOPE_DEV
	s_wait_loadcnt 0x0
	v_cmp_eq_u32_e32 vcc_lo, v3, v2
	v_mov_b32_e32 v3, v2
	s_or_b32 s0, vcc_lo, s0
	s_delay_alu instid0(SALU_CYCLE_1)
	s_and_not1_b32 exec_lo, exec_lo, s0
	s_cbranch_execnz .LBB15_15
.LBB15_16:
	s_endpgm
	.section	.rodata,"a",@progbits
	.p2align	6, 0x0
	.amdhsa_kernel _ZN4vllm4gptq33gemm_half_q_half_gptq_2bit_kernelILb1ELi1EEEvPK6__halfPKjS6_S4_PS2_iiiibPKi
		.amdhsa_group_segment_fixed_size 256
		.amdhsa_private_segment_fixed_size 0
		.amdhsa_kernarg_size 72
		.amdhsa_user_sgpr_count 2
		.amdhsa_user_sgpr_dispatch_ptr 0
		.amdhsa_user_sgpr_queue_ptr 0
		.amdhsa_user_sgpr_kernarg_segment_ptr 1
		.amdhsa_user_sgpr_dispatch_id 0
		.amdhsa_user_sgpr_kernarg_preload_length 0
		.amdhsa_user_sgpr_kernarg_preload_offset 0
		.amdhsa_user_sgpr_private_segment_size 0
		.amdhsa_wavefront_size32 1
		.amdhsa_uses_dynamic_stack 0
		.amdhsa_enable_private_segment 0
		.amdhsa_system_sgpr_workgroup_id_x 1
		.amdhsa_system_sgpr_workgroup_id_y 1
		.amdhsa_system_sgpr_workgroup_id_z 1
		.amdhsa_system_sgpr_workgroup_info 0
		.amdhsa_system_vgpr_workitem_id 0
		.amdhsa_next_free_vgpr 63
		.amdhsa_next_free_sgpr 23
		.amdhsa_named_barrier_count 0
		.amdhsa_reserve_vcc 1
		.amdhsa_float_round_mode_32 0
		.amdhsa_float_round_mode_16_64 0
		.amdhsa_float_denorm_mode_32 3
		.amdhsa_float_denorm_mode_16_64 3
		.amdhsa_fp16_overflow 0
		.amdhsa_memory_ordered 1
		.amdhsa_forward_progress 1
		.amdhsa_inst_pref_size 23
		.amdhsa_round_robin_scheduling 0
		.amdhsa_exception_fp_ieee_invalid_op 0
		.amdhsa_exception_fp_denorm_src 0
		.amdhsa_exception_fp_ieee_div_zero 0
		.amdhsa_exception_fp_ieee_overflow 0
		.amdhsa_exception_fp_ieee_underflow 0
		.amdhsa_exception_fp_ieee_inexact 0
		.amdhsa_exception_int_div_zero 0
	.end_amdhsa_kernel
	.section	.text._ZN4vllm4gptq33gemm_half_q_half_gptq_2bit_kernelILb1ELi1EEEvPK6__halfPKjS6_S4_PS2_iiiibPKi,"axG",@progbits,_ZN4vllm4gptq33gemm_half_q_half_gptq_2bit_kernelILb1ELi1EEEvPK6__halfPKjS6_S4_PS2_iiiibPKi,comdat
.Lfunc_end15:
	.size	_ZN4vllm4gptq33gemm_half_q_half_gptq_2bit_kernelILb1ELi1EEEvPK6__halfPKjS6_S4_PS2_iiiibPKi, .Lfunc_end15-_ZN4vllm4gptq33gemm_half_q_half_gptq_2bit_kernelILb1ELi1EEEvPK6__halfPKjS6_S4_PS2_iiiibPKi
                                        ; -- End function
	.set _ZN4vllm4gptq33gemm_half_q_half_gptq_2bit_kernelILb1ELi1EEEvPK6__halfPKjS6_S4_PS2_iiiibPKi.num_vgpr, 63
	.set _ZN4vllm4gptq33gemm_half_q_half_gptq_2bit_kernelILb1ELi1EEEvPK6__halfPKjS6_S4_PS2_iiiibPKi.num_agpr, 0
	.set _ZN4vllm4gptq33gemm_half_q_half_gptq_2bit_kernelILb1ELi1EEEvPK6__halfPKjS6_S4_PS2_iiiibPKi.numbered_sgpr, 23
	.set _ZN4vllm4gptq33gemm_half_q_half_gptq_2bit_kernelILb1ELi1EEEvPK6__halfPKjS6_S4_PS2_iiiibPKi.num_named_barrier, 0
	.set _ZN4vllm4gptq33gemm_half_q_half_gptq_2bit_kernelILb1ELi1EEEvPK6__halfPKjS6_S4_PS2_iiiibPKi.private_seg_size, 0
	.set _ZN4vllm4gptq33gemm_half_q_half_gptq_2bit_kernelILb1ELi1EEEvPK6__halfPKjS6_S4_PS2_iiiibPKi.uses_vcc, 1
	.set _ZN4vllm4gptq33gemm_half_q_half_gptq_2bit_kernelILb1ELi1EEEvPK6__halfPKjS6_S4_PS2_iiiibPKi.uses_flat_scratch, 0
	.set _ZN4vllm4gptq33gemm_half_q_half_gptq_2bit_kernelILb1ELi1EEEvPK6__halfPKjS6_S4_PS2_iiiibPKi.has_dyn_sized_stack, 0
	.set _ZN4vllm4gptq33gemm_half_q_half_gptq_2bit_kernelILb1ELi1EEEvPK6__halfPKjS6_S4_PS2_iiiibPKi.has_recursion, 0
	.set _ZN4vllm4gptq33gemm_half_q_half_gptq_2bit_kernelILb1ELi1EEEvPK6__halfPKjS6_S4_PS2_iiiibPKi.has_indirect_call, 0
	.section	.AMDGPU.csdata,"",@progbits
; Kernel info:
; codeLenInByte = 2920
; TotalNumSgprs: 25
; NumVgprs: 63
; ScratchSize: 0
; MemoryBound: 0
; FloatMode: 240
; IeeeMode: 1
; LDSByteSize: 256 bytes/workgroup (compile time only)
; SGPRBlocks: 0
; VGPRBlocks: 3
; NumSGPRsForWavesPerEU: 25
; NumVGPRsForWavesPerEU: 63
; NamedBarCnt: 0
; Occupancy: 16
; WaveLimiterHint : 0
; COMPUTE_PGM_RSRC2:SCRATCH_EN: 0
; COMPUTE_PGM_RSRC2:USER_SGPR: 2
; COMPUTE_PGM_RSRC2:TRAP_HANDLER: 0
; COMPUTE_PGM_RSRC2:TGID_X_EN: 1
; COMPUTE_PGM_RSRC2:TGID_Y_EN: 1
; COMPUTE_PGM_RSRC2:TGID_Z_EN: 1
; COMPUTE_PGM_RSRC2:TIDIG_COMP_CNT: 0
	.section	.text._ZN4vllm4gptq33gemm_half_q_half_gptq_3bit_kernelILb1ELi1EEEvPK6__halfPKjS6_S4_PS2_iiiibPKi,"axG",@progbits,_ZN4vllm4gptq33gemm_half_q_half_gptq_3bit_kernelILb1ELi1EEEvPK6__halfPKjS6_S4_PS2_iiiibPKi,comdat
	.protected	_ZN4vllm4gptq33gemm_half_q_half_gptq_3bit_kernelILb1ELi1EEEvPK6__halfPKjS6_S4_PS2_iiiibPKi ; -- Begin function _ZN4vllm4gptq33gemm_half_q_half_gptq_3bit_kernelILb1ELi1EEEvPK6__halfPKjS6_S4_PS2_iiiibPKi
	.globl	_ZN4vllm4gptq33gemm_half_q_half_gptq_3bit_kernelILb1ELi1EEEvPK6__halfPKjS6_S4_PS2_iiiibPKi
	.p2align	8
	.type	_ZN4vllm4gptq33gemm_half_q_half_gptq_3bit_kernelILb1ELi1EEEvPK6__halfPKjS6_S4_PS2_iiiibPKi,@function
_ZN4vllm4gptq33gemm_half_q_half_gptq_3bit_kernelILb1ELi1EEEvPK6__halfPKjS6_S4_PS2_iiiibPKi: ; @_ZN4vllm4gptq33gemm_half_q_half_gptq_3bit_kernelILb1ELi1EEEvPK6__halfPKjS6_S4_PS2_iiiibPKi
; %bb.0:
	s_clause 0x1
	s_load_b128 s[4:7], s[0:1], 0x2c
	s_load_b64 s[12:13], s[0:1], 0x10
	s_bfe_u32 s2, ttmp6, 0x40014
	s_lshr_b32 s3, ttmp7, 16
	s_add_co_i32 s2, s2, 1
	s_bfe_u32 s9, ttmp6, 0x40010
	s_mul_i32 s2, s3, s2
	s_bfe_u32 s8, ttmp6, 0x40008
	s_and_b32 s10, ttmp7, 0xffff
	s_add_co_i32 s9, s9, 1
	s_add_co_i32 s8, s8, s2
	s_mul_i32 s2, s10, s9
	s_bfe_u32 s9, ttmp6, 0x40004
	s_getreg_b32 s19, hwreg(HW_REG_IB_STS2, 6, 4)
	s_add_co_i32 s9, s9, s2
	s_cmp_eq_u32 s19, 0
	s_cselect_b32 s2, s3, s8
	s_cselect_b32 s16, s10, s9
	s_lshl_b32 s17, s2, 7
	s_wait_kmcnt 0x0
	v_cvt_f64_i32_e32 v[4:5], s5
	s_add_co_i32 s2, s17, 0x80
	s_mov_b32 s10, exec_lo
	v_cvt_f64_u32_e32 v[2:3], s2
	s_delay_alu instid0(VALU_DEP_1) | instskip(NEXT) | instid1(VALU_DEP_1)
	v_min_num_f64_e32 v[2:3], v[2:3], v[4:5]
	v_cvt_i32_f64_e32 v1, v[2:3]
	v_add_nc_u32_e32 v2, s17, v0
	s_delay_alu instid0(VALU_DEP_2) | instskip(NEXT) | instid1(VALU_DEP_2)
	v_readfirstlane_b32 s18, v1
	v_cmpx_lt_u32_e64 v2, v1
	s_cbranch_execz .LBB16_4
; %bb.1:
	s_clause 0x1
	s_load_b64 s[8:9], s[0:1], 0x40
	s_load_b64 s[2:3], s[0:1], 0x0
	v_mov_b32_e32 v3, 0
	s_wait_kmcnt 0x0
	s_cmp_eq_u64 s[8:9], 0
	s_cbranch_scc1 .LBB16_3
; %bb.2:
	s_delay_alu instid0(VALU_DEP_1)
	v_lshl_add_u64 v[2:3], v[2:3], 2, s[8:9]
	global_load_b32 v2, v[2:3], off
	s_wait_loadcnt 0x0
	v_ashrrev_i32_e32 v3, 31, v2
.LBB16_3:
	s_mul_i32 s8, s5, s16
	s_delay_alu instid0(SALU_CYCLE_1) | instskip(NEXT) | instid1(SALU_CYCLE_1)
	s_ashr_i32 s9, s8, 31
	s_lshl_b64 s[8:9], s[8:9], 1
	s_delay_alu instid0(SALU_CYCLE_1) | instskip(NEXT) | instid1(SALU_CYCLE_1)
	s_add_nc_u64 s[2:3], s[2:3], s[8:9]
	v_lshl_add_u64 v[2:3], v[2:3], 1, s[2:3]
	global_load_u16 v1, v[2:3], off
	s_wait_xcnt 0x0
	v_lshlrev_b32_e32 v2, 1, v0
	s_wait_loadcnt 0x0
	ds_store_b16 v2, v1
.LBB16_4:
	s_or_b32 exec_lo, exec_lo, s10
	s_clause 0x1
	s_load_b64 s[14:15], s[0:1], 0x8
	s_load_b128 s[8:11], s[0:1], 0x18
	s_wait_xcnt 0x0
	s_bfe_u32 s0, ttmp6, 0x4000c
	s_and_b32 s1, ttmp6, 15
	s_add_co_i32 s0, s0, 1
	v_lshlrev_b32_e32 v0, 2, v0
	s_mul_i32 s0, ttmp9, s0
	s_delay_alu instid0(SALU_CYCLE_1) | instskip(SKIP_2) | instid1(SALU_CYCLE_1)
	s_add_co_i32 s1, s1, s0
	s_cmp_eq_u32 s19, 0
	s_cselect_b32 s0, ttmp9, s1
	v_lshl_add_u32 v12, s0, 9, v0
	s_mov_b32 s0, exec_lo
	s_delay_alu instid0(VALU_DEP_1)
	v_cmpx_gt_i32_e64 s4, v12
	s_cbranch_execz .LBB16_48
; %bb.5:
	s_abs_i32 s0, s6
	s_abs_i32 s3, s5
	s_cvt_f32_u32 s1, s0
	s_sub_co_i32 s2, 0, s0
	v_and_b32_e32 v2, 28, v0
	s_wait_dscnt 0x0
	v_rcp_iflag_f32_e32 v1, s1
	s_barrier_signal -1
	s_barrier_wait -1
	v_cmp_lt_u32_e32 vcc_lo, 4, v2
	s_delay_alu instid0(TRANS32_DEP_1) | instskip(SKIP_1) | instid1(SALU_CYCLE_3)
	v_readfirstlane_b32 s1, v1
	s_mul_f32 s1, s1, 0x4f7ffffe
	s_cvt_u32_f32 s1, s1
	s_delay_alu instid0(SALU_CYCLE_3) | instskip(NEXT) | instid1(SALU_CYCLE_1)
	s_mul_i32 s2, s2, s1
	s_mul_hi_u32 s2, s1, s2
	s_delay_alu instid0(SALU_CYCLE_1) | instskip(SKIP_4) | instid1(SALU_CYCLE_1)
	s_add_co_i32 s1, s1, s2
	s_xor_b32 s2, s5, s6
	s_mul_hi_u32 s1, s3, s1
	s_ashr_i32 s2, s2, 31
	s_mul_i32 s5, s1, s0
	s_sub_co_i32 s3, s3, s5
	s_add_co_i32 s5, s1, 1
	s_sub_co_i32 s6, s3, s0
	s_cmp_ge_u32 s3, s0
	s_cselect_b32 s1, s5, s1
	s_cselect_b32 s3, s6, s3
	s_add_co_i32 s5, s1, 1
	s_cmp_ge_u32 s3, s0
	s_cselect_b32 s0, s5, s1
	s_delay_alu instid0(SALU_CYCLE_1) | instskip(NEXT) | instid1(SALU_CYCLE_1)
	s_xor_b32 s0, s0, s2
	s_sub_co_i32 s3, s0, s2
	s_delay_alu instid0(SALU_CYCLE_1) | instskip(SKIP_1) | instid1(SALU_CYCLE_2)
	s_cvt_f32_u32 s0, s3
	s_sub_co_i32 s1, 0, s3
	v_rcp_iflag_f32_e32 v1, s0
	v_nop
	s_delay_alu instid0(TRANS32_DEP_1) | instskip(SKIP_1) | instid1(SALU_CYCLE_3)
	v_readfirstlane_b32 s0, v1
                                        ; implicit-def: $vgpr1
	s_mul_f32 s0, s0, 0x4f7ffffe
	s_cvt_u32_f32 s0, s0
	s_delay_alu instid0(SALU_CYCLE_3) | instskip(NEXT) | instid1(SALU_CYCLE_1)
	s_mul_i32 s1, s1, s0
	s_mul_hi_u32 s1, s0, s1
	s_delay_alu instid0(SALU_CYCLE_1) | instskip(NEXT) | instid1(SALU_CYCLE_1)
	s_add_co_i32 s0, s0, s1
	s_mul_hi_u32 s0, s17, s0
	s_delay_alu instid0(SALU_CYCLE_1) | instskip(SKIP_2) | instid1(SALU_CYCLE_1)
	s_mul_i32 s1, s0, s3
	s_add_co_i32 s2, s0, 1
	s_sub_co_i32 s1, s17, s1
	s_sub_co_i32 s5, s1, s3
	s_cmp_ge_u32 s1, s3
	s_cselect_b32 s0, s2, s0
	s_cselect_b32 s1, s5, s1
	s_add_co_i32 s2, s0, 1
	s_cmp_ge_u32 s1, s3
	s_cselect_b32 s19, s2, s0
	s_and_saveexec_b32 s0, vcc_lo
	s_delay_alu instid0(SALU_CYCLE_1)
	s_xor_b32 s1, exec_lo, s0
	s_cbranch_execz .LBB16_19
; %bb.6:
	s_mov_b32 s2, exec_lo
                                        ; implicit-def: $vgpr1
	v_cmpx_ne_u32_e32 8, v2
	s_xor_b32 s2, exec_lo, s2
	s_cbranch_execz .LBB16_16
; %bb.7:
	s_mov_b32 s5, exec_lo
                                        ; implicit-def: $vgpr1
	v_cmpx_lt_u32_e32 16, v2
	s_xor_b32 s5, exec_lo, s5
	s_cbranch_execz .LBB16_13
; %bb.8:
	v_lshl_add_u32 v0, v12, 1, v12
	s_mul_i32 s0, s19, s4
	s_delay_alu instid0(SALU_CYCLE_1) | instskip(NEXT) | instid1(SALU_CYCLE_1)
	s_ashr_i32 s6, s0, 31
	s_lshr_b32 s6, s6, 27
	s_delay_alu instid0(VALU_DEP_1) | instskip(SKIP_1) | instid1(SALU_CYCLE_1)
	v_ashrrev_i32_e32 v1, 31, v0
	s_add_co_i32 s0, s0, s6
	s_ashr_i32 s0, s0, 5
	s_delay_alu instid0(VALU_DEP_1) | instskip(NEXT) | instid1(VALU_DEP_1)
	v_lshrrev_b32_e32 v1, 27, v1
	v_add_nc_u32_e32 v0, v0, v1
                                        ; implicit-def: $vgpr1
	s_delay_alu instid0(VALU_DEP_1) | instskip(NEXT) | instid1(VALU_DEP_1)
	v_ashrrev_i32_e32 v0, 5, v0
	v_mad_u32 v0, s0, 3, v0
	v_cmp_ne_u32_e64 s0, 20, v2
	global_load_b32 v3, v0, s[12:13] scale_offset
	s_wait_xcnt 0x0
	s_and_saveexec_b32 s6, s0
	s_delay_alu instid0(SALU_CYCLE_1)
	s_xor_b32 s0, exec_lo, s6
	s_cbranch_execz .LBB16_10
; %bb.9:
	v_mad_u32_u24 v0, v2, 3, 0xffffffc0
	s_wait_loadcnt 0x0
	s_delay_alu instid0(VALU_DEP_1)
	v_lshrrev_b32_e32 v1, v0, v3
                                        ; implicit-def: $vgpr0
                                        ; implicit-def: $vgpr3
.LBB16_10:
	s_and_not1_saveexec_b32 s0, s0
	s_cbranch_execz .LBB16_12
; %bb.11:
	v_ashrrev_i32_e32 v1, 31, v0
	s_delay_alu instid0(VALU_DEP_1) | instskip(SKIP_3) | instid1(VALU_DEP_1)
	v_lshl_add_u64 v[0:1], v[0:1], 2, s[12:13]
	global_load_b32 v0, v[0:1], off offset:4
	s_wait_loadcnt 0x0
	v_alignbit_b32 v0, v0, v3, 28
	v_and_b32_e32 v1, 0xfff, v0
.LBB16_12:
	s_or_b32 exec_lo, exec_lo, s0
.LBB16_13:
	s_and_not1_saveexec_b32 s0, s5
	s_cbranch_execz .LBB16_15
; %bb.14:
	v_lshl_add_u32 v0, v12, 1, v12
	s_mul_i32 s5, s19, s4
	s_delay_alu instid0(SALU_CYCLE_1) | instskip(NEXT) | instid1(SALU_CYCLE_1)
	s_ashr_i32 s6, s5, 31
	s_lshr_b32 s6, s6, 27
	s_delay_alu instid0(VALU_DEP_1) | instskip(SKIP_1) | instid1(SALU_CYCLE_1)
	v_ashrrev_i32_e32 v1, 31, v0
	s_add_co_i32 s5, s5, s6
	s_ashr_i32 s5, s5, 5
	s_delay_alu instid0(VALU_DEP_1) | instskip(NEXT) | instid1(VALU_DEP_1)
	v_lshrrev_b32_e32 v1, 27, v1
	v_add_nc_u32_e32 v0, v0, v1
	v_mad_u32_u24 v1, v2, 3, 0xffffffe0
	s_delay_alu instid0(VALU_DEP_2) | instskip(NEXT) | instid1(VALU_DEP_1)
	v_ashrrev_i32_e32 v0, 5, v0
	v_mad_u32 v0, s5, 3, v0
	global_load_b32 v0, v0, s[12:13] scale_offset
	s_wait_loadcnt 0x0
	v_lshrrev_b32_e32 v1, v1, v0
.LBB16_15:
	s_or_b32 exec_lo, exec_lo, s0
.LBB16_16:
	s_and_not1_saveexec_b32 s0, s2
	s_cbranch_execz .LBB16_18
; %bb.17:
	v_lshl_add_u32 v0, v12, 1, v12
	s_mul_i32 s2, s19, s4
	s_delay_alu instid0(SALU_CYCLE_1) | instskip(NEXT) | instid1(SALU_CYCLE_1)
	s_ashr_i32 s5, s2, 31
	s_lshr_b32 s5, s5, 27
	s_delay_alu instid0(VALU_DEP_1) | instskip(SKIP_1) | instid1(SALU_CYCLE_1)
	v_ashrrev_i32_e32 v1, 31, v0
	s_add_co_i32 s2, s2, s5
	s_ashr_i32 s2, s2, 5
	s_delay_alu instid0(VALU_DEP_1) | instskip(NEXT) | instid1(VALU_DEP_1)
	v_lshrrev_b32_e32 v1, 27, v1
	v_add_nc_u32_e32 v0, v0, v1
	s_delay_alu instid0(VALU_DEP_1) | instskip(NEXT) | instid1(VALU_DEP_1)
	v_ashrrev_i32_e32 v0, 5, v0
	v_mad_u32 v0, s2, 3, v0
	s_delay_alu instid0(VALU_DEP_1) | instskip(NEXT) | instid1(VALU_DEP_1)
	v_ashrrev_i32_e32 v1, 31, v0
	v_lshl_add_u64 v[0:1], v[0:1], 2, s[12:13]
	global_load_b64 v[0:1], v[0:1], off
	s_wait_loadcnt 0x0
	v_perm_b32 v0, v0, v1, 0x2010007
	s_delay_alu instid0(VALU_DEP_1)
	v_and_b32_e32 v1, 0xfff, v0
.LBB16_18:
	s_or_b32 exec_lo, exec_lo, s0
.LBB16_19:
	s_or_saveexec_b32 s0, s1
	v_lshl_add_u32 v0, v12, 1, v12
	v_mul_u32_u24_e32 v20, 3, v2
	s_wait_loadcnt 0x0
	s_delay_alu instid0(VALU_DEP_2)
	v_ashrrev_i32_e32 v3, 31, v0
	s_xor_b32 exec_lo, exec_lo, s0
	s_cbranch_execz .LBB16_21
; %bb.20:
	s_delay_alu instid0(VALU_DEP_1) | instskip(SKIP_1) | instid1(SALU_CYCLE_1)
	v_lshrrev_b32_e32 v1, 27, v3
	s_mul_i32 s1, s19, s4
	s_ashr_i32 s2, s1, 31
	s_delay_alu instid0(SALU_CYCLE_1) | instskip(NEXT) | instid1(VALU_DEP_1)
	s_lshr_b32 s2, s2, 27
	v_add_nc_u32_e32 v1, v0, v1
	s_add_co_i32 s1, s1, s2
	s_delay_alu instid0(SALU_CYCLE_1) | instskip(NEXT) | instid1(VALU_DEP_1)
	s_ashr_i32 s1, s1, 5
	v_ashrrev_i32_e32 v1, 5, v1
	s_delay_alu instid0(VALU_DEP_1)
	v_mad_u32 v1, s1, 3, v1
	global_load_b32 v1, v1, s[12:13] scale_offset
	s_wait_loadcnt 0x0
	v_lshrrev_b32_e32 v1, v20, v1
.LBB16_21:
	s_or_b32 exec_lo, exec_lo, s0
	s_cmp_ge_i32 s17, s18
	s_mov_b32 s20, 0
	s_cbranch_scc1 .LBB16_42
; %bb.22:
	v_mad_u32 v4, s19, s4, v12
	s_lshr_b32 s0, s17, 5
	s_add_co_i32 s21, s3, s17
	s_mul_i32 s0, s0, s4
	v_bfe_u32 v26, v1, 9, 3
	s_mul_i32 s22, s0, 3
	v_bfe_u32 v27, v1, 6, 3
	s_ashr_i32 s23, s22, 31
	s_bitcmp1_b32 s7, 0
	v_bfe_u32 v28, v1, 3, 3
	s_cselect_b32 s0, -1, 0
	v_dual_ashrrev_i32 v5, 31, v4 :: v_dual_lshrrev_b32 v3, 27, v3
	v_ashrrev_i32_e32 v13, 31, v12
	s_lshl_b64 s[6:7], s[22:23], 2
	s_xor_b32 s0, s0, -1
	s_wait_kmcnt 0x0
	v_lshl_add_u64 v[4:5], v[4:5], 1, s[8:9]
	v_add_nc_u32_e32 v0, v0, v3
	s_add_nc_u64 s[6:7], s[14:15], s[6:7]
	v_cndmask_b32_e64 v21, 0, 1, s0
	v_and_b32_e32 v29, 7, v1
	global_load_b64 v[16:17], v[4:5], off
	v_cmp_ne_u32_e64 s0, 8, v2
	v_cmp_lt_u32_e64 s1, 16, v2
	v_cmp_ne_u32_e64 s2, 20, v2
	v_ashrrev_i32_e32 v22, 5, v0
	v_mad_u32_u24 v23, v2, 3, 0xffffffc0
	v_mad_u32_u24 v24, v2, 3, 0xffffffe0
	v_lshl_add_u64 v[14:15], v[12:13], 2, s[6:7]
	v_dual_mov_b32 v13, 0 :: v_dual_mov_b32 v25, 0
	s_ashr_i32 s5, s4, 31
	s_mov_b32 s22, 0x70007
	s_mul_u64 s[6:7], s[4:5], 12
	s_lshl_b64 s[14:15], s[4:5], 2
	s_mov_b32 s5, 0x10001
	s_mov_b32 s23, 0x380038
	;; [unrolled: 1-line block ×3, first 2 shown]
	s_branch .LBB16_25
.LBB16_23:                              ;   in Loop: Header=BB16_25 Depth=1
	s_or_b32 exec_lo, exec_lo, s26
	s_delay_alu instid0(VALU_DEP_1) | instskip(SKIP_3) | instid1(VALU_DEP_4)
	v_dual_add_nc_u32 v0, s25, v12 :: v_dual_bitop2_b32 v29, 7, v2 bitop3:0x40
	v_bfe_u32 v28, v2, 3, 3
	v_bfe_u32 v27, v2, 6, 3
	;; [unrolled: 1-line block ×3, first 2 shown]
	v_ashrrev_i32_e32 v1, 31, v0
	s_add_co_i32 s21, s21, s3
	s_delay_alu instid0(VALU_DEP_1)
	v_lshl_add_u64 v[0:1], v[0:1], 1, s[8:9]
	s_wait_loadcnt 0x1
	global_load_b64 v[16:17], v[0:1], off
.LBB16_24:                              ;   in Loop: Header=BB16_25 Depth=1
	s_wait_xcnt 0x0
	v_add_nc_u64_e32 v[0:1], s[14:15], v[14:15]
	global_load_b128 v[8:11], v[14:15], off
	v_dual_mov_b32 v49, s20 :: v_dual_add_nc_u32 v38, v29, v21
	s_add_co_i32 s17, s17, 32
	s_add_co_i32 s20, s20, 64
	s_cmp_ge_i32 s17, s18
	global_load_b128 v[4:7], v[0:1], off
	s_wait_xcnt 0x0
	v_add_nc_u64_e32 v[0:1], s[14:15], v[0:1]
	v_cvt_f32_u32_e32 v30, v38
	v_add_nc_u32_e32 v44, v28, v21
	ds_load_2addr_b32 v[18:19], v49 offset1:1
	v_add_nc_u64_e32 v[14:15], s[6:7], v[14:15]
	v_cvt_f16_f32_e32 v72, v30
	s_wait_loadcnt 0x3
	global_load_b128 v[0:3], v[0:1], off
	s_wait_loadcnt 0x2
	v_lshrrev_b32_e32 v73, 6, v8
	v_cvt_f32_u32_e32 v39, v44
	v_and_or_b32 v48, v8, s22, 0x64006400
	v_and_or_b32 v52, v8, s23, 0x64006400
	v_dual_lshrrev_b32 v58, 15, v8 :: v_dual_lshrrev_b32 v69, 6, v9
	s_wait_loadcnt 0x1
	v_lshrrev_b32_e32 v64, 14, v7
	v_and_or_b32 v66, v9, s22, 0x64006400
	v_and_or_b32 v74, v9, s23, 0x64006400
	v_dual_lshrrev_b32 v57, 15, v9 :: v_dual_lshrrev_b32 v71, 6, v10
	v_and_or_b32 v75, v10, s22, 0x64006400
	v_and_or_b32 v76, v10, s23, 0x64006400
	v_dual_lshrrev_b32 v56, 15, v10 :: v_dual_lshrrev_b32 v70, 6, v11
	s_wait_loadcnt 0x0
	v_and_or_b32 v30, v0, s22, 0x64006400
	v_and_or_b32 v54, v0, s23, 0x64006400
	v_dual_lshrrev_b32 v33, 6, v0 :: v_dual_lshrrev_b32 v61, 13, v0
	v_lshrrev_b32_e32 v35, 6, v1
	v_sub_f16_e32 v0, 0xd800, v72
	v_dual_lshrrev_b32 v53, 13, v1 :: v_dual_lshrrev_b32 v37, 6, v2
	v_and_or_b32 v34, v2, s22, 0x64006400
	v_and_or_b32 v45, v2, s23, 0x64006400
	v_dual_lshrrev_b32 v50, 13, v2 :: v_dual_lshrrev_b32 v31, 6, v3
	v_cvt_f16_f32_e32 v2, v39
	v_and_b32_e32 v0, 0xffff, v0
	v_mad_u32_u24 v39, v38, s5, 0xe400e400
	v_and_or_b32 v77, v11, s22, 0x64006400
	v_and_or_b32 v78, v11, s23, 0x64006400
	v_dual_lshrrev_b32 v55, 15, v11 :: v_dual_lshrrev_b32 v42, 6, v4
	v_mul_u32_u24_e32 v65, 0x10001, v0
	v_pk_add_f16 v0, v39, v48
	v_and_or_b32 v9, v4, s22, 0x64006400
	v_and_or_b32 v60, v4, s23, 0x64006400
	v_dual_lshrrev_b32 v8, 14, v4 :: v_dual_lshrrev_b32 v43, 6, v5
	v_and_or_b32 v4, v5, s22, 0x64006400
	v_and_or_b32 v59, v5, s23, 0x64006400
	v_dual_lshrrev_b32 v62, 14, v5 :: v_dual_lshrrev_b32 v40, 6, v6
	;; [unrolled: 3-line block ×3, first 2 shown]
	v_and_or_b32 v10, v3, s22, 0x64006400
	v_and_or_b32 v11, v3, s23, 0x64006400
	v_dual_lshrrev_b32 v47, 13, v3 :: v_dual_add_nc_u32 v6, v27, v21
	v_pk_fma_f16 v3, 0x3000, v52, v65 op_sel_hi:[0,1,1]
	s_wait_dscnt 0x0
	v_pk_fma_f16 v0, v0, v18, 0
	v_and_or_b32 v32, v1, s22, 0x64006400
	v_and_or_b32 v51, v1, s23, 0x64006400
	v_sub_f16_e32 v1, 0xd800, v2
	v_mad_u32_u24 v38, v44, s5, 0xe400e400
	v_pk_fma_f16 v3, v3, v19, v0
	v_cvt_f32_u32_e32 v0, v6
	v_mad_u32_u24 v44, v6, s5, 0xe400e400
	v_and_b32_e32 v1, 0xffff, v1
	v_and_or_b32 v68, v7, s22, 0x64006400
	v_and_or_b32 v41, v7, s23, 0x64006400
	v_cvt_f16_f32_e32 v79, v0
	v_sub_f16_e32 v2, 0xcc00, v2
	v_mul_u32_u24_e32 v67, 0x10001, v1
	v_pk_add_f16 v1, v38, v66
	v_pk_add_f16 v9, v39, v9
	v_sub_f16_e32 v0, 0xd800, v79
	v_and_b32_e32 v2, 0xffff, v2
	v_pk_fma_f16 v7, 0x3000, v74, v67 op_sel_hi:[0,1,1]
	v_pk_fma_f16 v1, v1, v18, 0
	v_and_b32_e32 v53, 0x40004, v53
	v_and_b32_e32 v0, 0xffff, v0
	;; [unrolled: 1-line block ×3, first 2 shown]
	v_pk_fma_f16 v60, 0x3000, v60, v65 op_sel_hi:[0,1,1]
	v_pk_fma_f16 v7, v7, v19, v1
	v_pk_fma_f16 v59, 0x3000, v59, v67 op_sel_hi:[0,1,1]
	v_mul_u32_u24_e32 v66, 0x10001, v0
	v_pk_add_f16 v0, v44, v75
	v_pk_fma_f16 v54, 0x3000, v54, v65 op_sel_hi:[0,1,1]
	v_pk_fma_f16 v51, 0x3000, v51, v67 op_sel_hi:[0,1,1]
	v_and_b32_e32 v47, 0x40004, v47
	v_pk_fma_f16 v1, 0x3000, v76, v66 op_sel_hi:[0,1,1]
	v_pk_fma_f16 v0, v0, v18, 0
	v_pk_add_f16 v76, v44, v5
	v_pk_fma_f16 v46, 0x3000, v46, v66 op_sel_hi:[0,1,1]
	v_pk_fma_f16 v45, 0x3000, v45, v66 op_sel_hi:[0,1,1]
	v_and_b32_e32 v61, 0x40004, v61
	v_pk_fma_f16 v6, v1, v19, v0
	v_add_nc_u32_e32 v0, v26, v21
	v_pk_add_f16 v30, v39, v30
	v_pk_add_f16 v32, v38, v32
	;; [unrolled: 1-line block ×3, first 2 shown]
	s_delay_alu instid0(VALU_DEP_4) | instskip(SKIP_1) | instid1(VALU_DEP_2)
	v_cvt_f32_u32_e32 v1, v0
	v_mad_u32_u24 v48, v0, s5, 0xe400e400
	v_cvt_f16_f32_e32 v75, v1
	s_delay_alu instid0(VALU_DEP_2) | instskip(SKIP_2) | instid1(VALU_DEP_4)
	v_pk_add_f16 v0, v48, v77
	v_pk_add_f16 v68, v48, v68
	;; [unrolled: 1-line block ×3, first 2 shown]
	v_sub_f16_e32 v1, 0xd800, v75
	s_delay_alu instid0(VALU_DEP_4) | instskip(SKIP_1) | instid1(VALU_DEP_3)
	v_pk_fma_f16 v0, v0, v18, 0
	v_sub_f16_e32 v75, 0xcc00, v75
	v_and_b32_e32 v1, 0xffff, v1
	s_delay_alu instid0(VALU_DEP_1) | instskip(NEXT) | instid1(VALU_DEP_1)
	v_mul_u32_u24_e32 v52, 0x10001, v1
	v_pk_fma_f16 v1, 0x3000, v78, v52 op_sel_hi:[0,1,1]
	v_pk_fma_f16 v41, 0x3000, v41, v52 op_sel_hi:[0,1,1]
	;; [unrolled: 1-line block ×3, first 2 shown]
	s_delay_alu instid0(VALU_DEP_3) | instskip(SKIP_1) | instid1(VALU_DEP_1)
	v_pk_fma_f16 v18, v1, v19, v0
	v_and_or_b32 v0, v73, s22, 0x64006400
	v_pk_add_f16 v19, v39, v0
	ds_load_2addr_b32 v[0:1], v49 offset0:2 offset1:3
	s_wait_dscnt 0x0
	v_pk_fma_f16 v3, v19, v0, v3
	v_and_or_b32 v19, v69, s22, 0x64006400
	s_delay_alu instid0(VALU_DEP_1) | instskip(NEXT) | instid1(VALU_DEP_1)
	v_pk_add_f16 v19, v38, v19
	v_pk_fma_f16 v7, v19, v0, v7
	v_and_or_b32 v19, v71, s22, 0x64006400
	s_delay_alu instid0(VALU_DEP_1) | instskip(NEXT) | instid1(VALU_DEP_1)
	v_pk_add_f16 v19, v44, v19
	;; [unrolled: 4-line block ×3, first 2 shown]
	v_pk_fma_f16 v0, v19, v0, v18
	v_and_or_b32 v18, v73, s23, 0x64006400
	s_delay_alu instid0(VALU_DEP_1) | instskip(NEXT) | instid1(VALU_DEP_1)
	v_pk_fma_f16 v18, 0x3000, v18, v65 op_sel_hi:[0,1,1]
	v_pk_fma_f16 v3, v18, v1, v3
	v_and_or_b32 v18, v69, s23, 0x64006400
	s_delay_alu instid0(VALU_DEP_1) | instskip(NEXT) | instid1(VALU_DEP_1)
	v_pk_fma_f16 v18, 0x3000, v18, v67 op_sel_hi:[0,1,1]
	;; [unrolled: 4-line block ×4, first 2 shown]
	v_pk_fma_f16 v19, v18, v1, v0
	v_sub_f16_e32 v0, 0xcc00, v72
	s_delay_alu instid0(VALU_DEP_1) | instskip(NEXT) | instid1(VALU_DEP_1)
	v_and_b32_e32 v0, 0xffff, v0
	v_mul_u32_u24_e32 v74, 0x10001, v0
	v_and_or_b32 v0, v73, s24, 0x64006400
	v_mul_u32_u24_e32 v73, 0x10001, v2
	v_and_or_b32 v2, v69, s24, 0x64006400
	v_and_b32_e32 v69, 0xffff, v75
	v_pk_add_f16 v75, v38, v4
	v_pk_fma_f16 v18, 0x2400, v0, v74 op_sel_hi:[0,1,1]
	ds_load_2addr_b32 v[0:1], v49 offset0:4 offset1:5
	ds_load_2addr_b32 v[4:5], v49 offset0:8 offset1:9
	v_pk_fma_f16 v2, 0x2400, v2, v73 op_sel_hi:[0,1,1]
	s_wait_dscnt 0x1
	v_pk_fma_f16 v3, v18, v0, v3
	v_sub_f16_e32 v18, 0xcc00, v79
	s_delay_alu instid0(VALU_DEP_3) | instskip(NEXT) | instid1(VALU_DEP_2)
	v_pk_fma_f16 v2, v2, v0, v7
	v_and_b32_e32 v18, 0xffff, v18
	s_delay_alu instid0(VALU_DEP_1) | instskip(SKIP_1) | instid1(VALU_DEP_1)
	v_mul_u32_u24_e32 v72, 0x10001, v18
	v_and_or_b32 v18, v71, s24, 0x64006400
	v_pk_fma_f16 v71, 0x2400, v18, v72 op_sel_hi:[0,1,1]
	v_mul_u32_u24_e32 v18, 0x10001, v69
	v_and_or_b32 v69, v70, s24, 0x64006400
	v_pk_fma_f16 v70, v9, v1, v3
	s_delay_alu instid0(VALU_DEP_4) | instskip(SKIP_2) | instid1(VALU_DEP_1)
	v_pk_fma_f16 v71, v71, v0, v6
	ds_load_2addr_b32 v[6:7], v49 offset0:6 offset1:7
	v_pk_fma_f16 v69, 0x2400, v69, v18 op_sel_hi:[0,1,1]
	v_pk_fma_f16 v0, v69, v0, v19
	v_pk_fma_f16 v69, v75, v1, v2
	;; [unrolled: 1-line block ×3, first 2 shown]
	ds_load_2addr_b32 v[2:3], v49 offset0:10 offset1:11
	v_and_b32_e32 v71, 0x20002, v8
	v_pk_fma_f16 v68, v68, v1, v0
	ds_load_2addr_b32 v[0:1], v49 offset0:12 offset1:13
	ds_load_2addr_b32 v[8:9], v49 offset0:14 offset1:15
	v_and_b32_e32 v49, 0x20002, v62
	v_and_b32_e32 v62, 0x20002, v63
	;; [unrolled: 1-line block ×3, first 2 shown]
	v_and_or_b32 v58, 0x10001, v58, v71
	v_and_or_b32 v64, v42, s23, 0x64006400
	;; [unrolled: 1-line block ×8, first 2 shown]
	v_pk_fma_f16 v64, 0x3000, v64, v65 op_sel_hi:[0,1,1]
	v_pk_fma_f16 v62, 0x3000, v62, v67 op_sel_hi:[0,1,1]
	v_or3_b32 v49, v49, v53, 0x64006400
	v_pk_fma_f16 v63, 0x3000, v63, v65 op_sel_hi:[0,1,1]
	v_and_or_b32 v65, v43, s24, 0x64006400
	v_and_or_b32 v53, v35, s24, 0x64006400
	v_pk_fma_f16 v67, 0x3000, v71, v67 op_sel_hi:[0,1,1]
	v_and_or_b32 v71, v40, s23, 0x64006400
	v_or3_b32 v50, v56, v50, 0x64006400
	v_and_or_b32 v56, v37, s23, 0x64006400
	v_pk_fma_f16 v65, 0x2400, v65, v73 op_sel_hi:[0,1,1]
	v_pk_fma_f16 v53, 0x2400, v53, v73 op_sel_hi:[0,1,1]
	v_and_or_b32 v73, v40, s24, 0x64006400
	v_pk_fma_f16 v71, 0x3000, v71, v66 op_sel_hi:[0,1,1]
	v_pk_fma_f16 v56, 0x3000, v56, v66 op_sel_hi:[0,1,1]
	v_and_or_b32 v66, v37, s24, 0x64006400
	v_and_or_b32 v57, v42, s24, 0x64006400
	v_and_or_b32 v42, v42, s22, 0x64006400
	v_and_or_b32 v43, v43, s22, 0x64006400
	v_and_or_b32 v40, v40, s22, 0x64006400
	v_pk_fma_f16 v73, 0x2400, v73, v72 op_sel_hi:[0,1,1]
	v_pk_fma_f16 v66, 0x2400, v66, v72 op_sel_hi:[0,1,1]
	v_and_or_b32 v72, v36, s22, 0x64006400
	v_or3_b32 v47, v55, v47, 0x64006400
	v_and_or_b32 v55, v36, s23, 0x64006400
	v_pk_add_f16 v42, v39, v42
	v_pk_add_f16 v43, v38, v43
	;; [unrolled: 1-line block ×4, first 2 shown]
	s_wait_dscnt 0x3
	v_pk_fma_f16 v60, v60, v6, v70
	v_pk_fma_f16 v59, v59, v6, v69
	v_pk_fma_f16 v19, v46, v6, v19
	v_pk_fma_f16 v6, v41, v6, v68
	v_and_or_b32 v36, v36, s24, 0x64006400
	v_pk_fma_f16 v55, 0x3000, v55, v52 op_sel_hi:[0,1,1]
	v_pk_fma_f16 v41, v42, v7, v60
	v_pk_fma_f16 v42, v43, v7, v59
	;; [unrolled: 1-line block ×4, first 2 shown]
	v_pk_fma_f16 v57, 0x2400, v57, v74 op_sel_hi:[0,1,1]
	v_pk_fma_f16 v36, 0x2400, v36, v18 op_sel_hi:[0,1,1]
	v_pk_fma_f16 v40, v64, v4, v41
	v_pk_fma_f16 v41, v62, v4, v42
	;; [unrolled: 1-line block ×4, first 2 shown]
	v_and_or_b32 v70, v31, s22, 0x64006400
	v_and_or_b32 v69, v31, s23, 0x64006400
	v_and_or_b32 v31, v31, s24, 0x64006400
	v_pk_fma_f16 v40, v57, v5, v40
	v_pk_fma_f16 v41, v65, v5, v41
	;; [unrolled: 1-line block ×4, first 2 shown]
	v_or3_b32 v58, v58, v61, 0x64006400
	v_and_or_b32 v61, v33, s24, 0x64006400
	v_and_or_b32 v33, v33, s22, 0x64006400
	;; [unrolled: 1-line block ×4, first 2 shown]
	v_pk_fma_f16 v5, 0x2400, v31, v18 op_sel_hi:[0,1,1]
	s_wait_dscnt 0x2
	v_pk_fma_f16 v18, v30, v2, v40
	v_pk_fma_f16 v30, v32, v2, v41
	;; [unrolled: 1-line block ×4, first 2 shown]
	v_pk_add_f16 v33, v39, v33
	v_pk_add_f16 v35, v38, v35
	;; [unrolled: 1-line block ×4, first 2 shown]
	v_pk_fma_f16 v10, v54, v3, v18
	v_pk_fma_f16 v18, v51, v3, v30
	;; [unrolled: 1-line block ×4, first 2 shown]
	v_pk_fma_f16 v6, 0x3000, v69, v52 op_sel_hi:[0,1,1]
	s_wait_dscnt 0x1
	v_pk_fma_f16 v10, v33, v0, v10
	v_pk_fma_f16 v11, v35, v0, v18
	;; [unrolled: 1-line block ×4, first 2 shown]
	v_pk_fma_f16 v61, 0x2400, v61, v74 op_sel_hi:[0,1,1]
	v_pk_fma_f16 v7, v63, v1, v10
	v_pk_fma_f16 v10, v67, v1, v11
	;; [unrolled: 1-line block ×4, first 2 shown]
	v_pk_add_f16 v4, v39, v58
	v_pk_add_f16 v3, v38, v49
	v_pk_add_f16 v2, v44, v50
	v_pk_add_f16 v1, v48, v47
	s_wait_dscnt 0x0
	v_pk_fma_f16 v6, v61, v8, v7
	v_pk_fma_f16 v7, v53, v8, v10
	;; [unrolled: 1-line block ×4, first 2 shown]
	s_delay_alu instid0(VALU_DEP_4) | instskip(NEXT) | instid1(VALU_DEP_4)
	v_pk_fma_f16 v4, v4, v9, v6
	v_pk_fma_f16 v3, v3, v9, v7
	s_delay_alu instid0(VALU_DEP_4) | instskip(NEXT) | instid1(VALU_DEP_4)
	v_pk_fma_f16 v2, v2, v9, v10
	v_pk_fma_f16 v0, v1, v9, v0
	s_delay_alu instid0(VALU_DEP_3) | instskip(SKIP_1) | instid1(VALU_DEP_3)
	v_pack_b32_f16 v1, v4, v3
	v_perm_b32 v3, v3, v4, 0x7060302
	v_pack_b32_f16 v4, v0, v2
	v_perm_b32 v0, v2, v0, 0x7060302
	s_delay_alu instid0(VALU_DEP_3) | instskip(NEXT) | instid1(VALU_DEP_2)
	v_pk_add_f16 v1, v1, v3
	v_pk_add_f16 v0, v4, v0
	s_delay_alu instid0(VALU_DEP_2) | instskip(NEXT) | instid1(VALU_DEP_2)
	v_pk_fma_f16 v13, v1, v16, v13
	v_pk_fma_f16 v25, v0, v17, v25 op_sel:[0,1,0] op_sel_hi:[1,0,1]
	s_cbranch_scc1 .LBB16_43
.LBB16_25:                              ; =>This Inner Loop Header: Depth=1
	s_cmp_lg_u32 s17, s21
	s_cbranch_scc1 .LBB16_24
; %bb.26:                               ;   in Loop: Header=BB16_25 Depth=1
	s_add_co_i32 s19, s19, 1
                                        ; implicit-def: $vgpr2
	s_delay_alu instid0(SALU_CYCLE_1) | instskip(NEXT) | instid1(SALU_CYCLE_1)
	s_mul_i32 s25, s19, s4
	s_ashr_i32 s26, s25, 31
	s_delay_alu instid0(SALU_CYCLE_1) | instskip(NEXT) | instid1(SALU_CYCLE_1)
	s_lshr_b32 s26, s26, 27
	s_add_co_i32 s26, s25, s26
	s_delay_alu instid0(SALU_CYCLE_1) | instskip(NEXT) | instid1(SALU_CYCLE_1)
	s_ashr_i32 s26, s26, 5
	v_mad_u32 v0, s26, 3, v22
	global_load_b32 v3, v0, s[12:13] scale_offset
	s_wait_xcnt 0x0
	s_and_saveexec_b32 s26, vcc_lo
	s_delay_alu instid0(SALU_CYCLE_1)
	s_xor_b32 s26, exec_lo, s26
	s_cbranch_execz .LBB16_40
; %bb.27:                               ;   in Loop: Header=BB16_25 Depth=1
	v_ashrrev_i32_e32 v1, 31, v0
                                        ; implicit-def: $vgpr2
	s_delay_alu instid0(VALU_DEP_1) | instskip(SKIP_1) | instid1(SALU_CYCLE_1)
	v_lshl_add_u64 v[0:1], v[0:1], 2, s[12:13]
	s_and_saveexec_b32 s27, s0
	s_xor_b32 s27, exec_lo, s27
	s_cbranch_execz .LBB16_37
; %bb.28:                               ;   in Loop: Header=BB16_25 Depth=1
                                        ; implicit-def: $vgpr2
	s_and_saveexec_b32 s28, s1
	s_delay_alu instid0(SALU_CYCLE_1)
	s_xor_b32 s28, exec_lo, s28
	s_cbranch_execz .LBB16_34
; %bb.29:                               ;   in Loop: Header=BB16_25 Depth=1
                                        ; implicit-def: $vgpr2
	s_and_saveexec_b32 s29, s2
	s_delay_alu instid0(SALU_CYCLE_1)
	s_xor_b32 s29, exec_lo, s29
	s_cbranch_execz .LBB16_31
; %bb.30:                               ;   in Loop: Header=BB16_25 Depth=1
	s_wait_loadcnt 0x0
	v_lshrrev_b32_e32 v2, v23, v3
                                        ; implicit-def: $vgpr0_vgpr1
                                        ; implicit-def: $vgpr3
.LBB16_31:                              ;   in Loop: Header=BB16_25 Depth=1
	s_and_not1_saveexec_b32 s29, s29
	s_cbranch_execz .LBB16_33
; %bb.32:                               ;   in Loop: Header=BB16_25 Depth=1
	global_load_b32 v0, v[0:1], off offset:4
	s_wait_loadcnt 0x0
	v_alignbit_b32 v0, v0, v3, 28
	s_delay_alu instid0(VALU_DEP_1)
	v_and_b32_e32 v2, 0xfff, v0
.LBB16_33:                              ;   in Loop: Header=BB16_25 Depth=1
	s_or_b32 exec_lo, exec_lo, s29
                                        ; implicit-def: $vgpr3
.LBB16_34:                              ;   in Loop: Header=BB16_25 Depth=1
	s_and_not1_saveexec_b32 s28, s28
	s_cbranch_execz .LBB16_36
; %bb.35:                               ;   in Loop: Header=BB16_25 Depth=1
	s_wait_loadcnt 0x0
	v_lshrrev_b32_e32 v2, v24, v3
.LBB16_36:                              ;   in Loop: Header=BB16_25 Depth=1
	s_or_b32 exec_lo, exec_lo, s28
                                        ; implicit-def: $vgpr0_vgpr1
                                        ; implicit-def: $vgpr3
.LBB16_37:                              ;   in Loop: Header=BB16_25 Depth=1
	s_and_not1_saveexec_b32 s27, s27
	s_cbranch_execz .LBB16_39
; %bb.38:                               ;   in Loop: Header=BB16_25 Depth=1
	global_load_b32 v0, v[0:1], off offset:4
	s_wait_loadcnt 0x0
	v_perm_b32 v0, v3, v0, 0x2010007
	s_delay_alu instid0(VALU_DEP_1)
	v_and_b32_e32 v2, 0xfff, v0
.LBB16_39:                              ;   in Loop: Header=BB16_25 Depth=1
	s_or_b32 exec_lo, exec_lo, s27
                                        ; implicit-def: $vgpr3
.LBB16_40:                              ;   in Loop: Header=BB16_25 Depth=1
	s_and_not1_saveexec_b32 s26, s26
	s_cbranch_execz .LBB16_23
; %bb.41:                               ;   in Loop: Header=BB16_25 Depth=1
	s_wait_loadcnt 0x0
	v_lshrrev_b32_e32 v2, v20, v3
	s_branch .LBB16_23
.LBB16_42:
	v_dual_mov_b32 v4, 0 :: v_dual_mov_b32 v13, 0
	v_mov_b32_e32 v5, 0
	s_branch .LBB16_44
.LBB16_43:
	s_delay_alu instid0(VALU_DEP_1)
	v_dual_lshrrev_b32 v5, 16, v25 :: v_dual_lshlrev_b32 v4, 16, v25
.LBB16_44:
	v_mad_u32 v0, s4, s16, v12
	s_mov_b32 s0, 0
	s_delay_alu instid0(VALU_DEP_1) | instskip(SKIP_1) | instid1(VALU_DEP_1)
	v_ashrrev_i32_e32 v1, 31, v0
	s_wait_kmcnt 0x0
	v_lshl_add_u64 v[0:1], v[0:1], 1, s[10:11]
	global_load_b32 v3, v[0:1], off
.LBB16_45:                              ; =>This Inner Loop Header: Depth=1
	s_wait_loadcnt 0x0
	v_pk_add_f16 v2, v13, v3
	global_atomic_cmpswap_b32 v2, v[0:1], v[2:3], off th:TH_ATOMIC_RETURN scope:SCOPE_DEV
	s_wait_loadcnt 0x0
	v_cmp_eq_u32_e32 vcc_lo, v3, v2
	v_mov_b32_e32 v3, v2
	s_or_b32 s0, vcc_lo, s0
	s_delay_alu instid0(SALU_CYCLE_1)
	s_and_not1_b32 exec_lo, exec_lo, s0
	s_cbranch_execnz .LBB16_45
; %bb.46:
	s_or_b32 exec_lo, exec_lo, s0
	global_load_b32 v3, v[0:1], off offset:4
	v_or_b32_e32 v4, v4, v5
	s_mov_b32 s0, 0
.LBB16_47:                              ; =>This Inner Loop Header: Depth=1
	s_wait_loadcnt 0x0
	s_delay_alu instid0(VALU_DEP_1)
	v_pk_add_f16 v2, v4, v3
	global_atomic_cmpswap_b32 v2, v[0:1], v[2:3], off offset:4 th:TH_ATOMIC_RETURN scope:SCOPE_DEV
	s_wait_loadcnt 0x0
	v_cmp_eq_u32_e32 vcc_lo, v3, v2
	v_mov_b32_e32 v3, v2
	s_or_b32 s0, vcc_lo, s0
	s_delay_alu instid0(SALU_CYCLE_1)
	s_and_not1_b32 exec_lo, exec_lo, s0
	s_cbranch_execnz .LBB16_47
.LBB16_48:
	s_endpgm
	.section	.rodata,"a",@progbits
	.p2align	6, 0x0
	.amdhsa_kernel _ZN4vllm4gptq33gemm_half_q_half_gptq_3bit_kernelILb1ELi1EEEvPK6__halfPKjS6_S4_PS2_iiiibPKi
		.amdhsa_group_segment_fixed_size 256
		.amdhsa_private_segment_fixed_size 0
		.amdhsa_kernarg_size 72
		.amdhsa_user_sgpr_count 2
		.amdhsa_user_sgpr_dispatch_ptr 0
		.amdhsa_user_sgpr_queue_ptr 0
		.amdhsa_user_sgpr_kernarg_segment_ptr 1
		.amdhsa_user_sgpr_dispatch_id 0
		.amdhsa_user_sgpr_kernarg_preload_length 0
		.amdhsa_user_sgpr_kernarg_preload_offset 0
		.amdhsa_user_sgpr_private_segment_size 0
		.amdhsa_wavefront_size32 1
		.amdhsa_uses_dynamic_stack 0
		.amdhsa_enable_private_segment 0
		.amdhsa_system_sgpr_workgroup_id_x 1
		.amdhsa_system_sgpr_workgroup_id_y 1
		.amdhsa_system_sgpr_workgroup_id_z 1
		.amdhsa_system_sgpr_workgroup_info 0
		.amdhsa_system_vgpr_workitem_id 0
		.amdhsa_next_free_vgpr 80
		.amdhsa_next_free_sgpr 30
		.amdhsa_named_barrier_count 0
		.amdhsa_reserve_vcc 1
		.amdhsa_float_round_mode_32 0
		.amdhsa_float_round_mode_16_64 0
		.amdhsa_float_denorm_mode_32 3
		.amdhsa_float_denorm_mode_16_64 3
		.amdhsa_fp16_overflow 0
		.amdhsa_memory_ordered 1
		.amdhsa_forward_progress 1
		.amdhsa_inst_pref_size 39
		.amdhsa_round_robin_scheduling 0
		.amdhsa_exception_fp_ieee_invalid_op 0
		.amdhsa_exception_fp_denorm_src 0
		.amdhsa_exception_fp_ieee_div_zero 0
		.amdhsa_exception_fp_ieee_overflow 0
		.amdhsa_exception_fp_ieee_underflow 0
		.amdhsa_exception_fp_ieee_inexact 0
		.amdhsa_exception_int_div_zero 0
	.end_amdhsa_kernel
	.section	.text._ZN4vllm4gptq33gemm_half_q_half_gptq_3bit_kernelILb1ELi1EEEvPK6__halfPKjS6_S4_PS2_iiiibPKi,"axG",@progbits,_ZN4vllm4gptq33gemm_half_q_half_gptq_3bit_kernelILb1ELi1EEEvPK6__halfPKjS6_S4_PS2_iiiibPKi,comdat
.Lfunc_end16:
	.size	_ZN4vllm4gptq33gemm_half_q_half_gptq_3bit_kernelILb1ELi1EEEvPK6__halfPKjS6_S4_PS2_iiiibPKi, .Lfunc_end16-_ZN4vllm4gptq33gemm_half_q_half_gptq_3bit_kernelILb1ELi1EEEvPK6__halfPKjS6_S4_PS2_iiiibPKi
                                        ; -- End function
	.set _ZN4vllm4gptq33gemm_half_q_half_gptq_3bit_kernelILb1ELi1EEEvPK6__halfPKjS6_S4_PS2_iiiibPKi.num_vgpr, 80
	.set _ZN4vllm4gptq33gemm_half_q_half_gptq_3bit_kernelILb1ELi1EEEvPK6__halfPKjS6_S4_PS2_iiiibPKi.num_agpr, 0
	.set _ZN4vllm4gptq33gemm_half_q_half_gptq_3bit_kernelILb1ELi1EEEvPK6__halfPKjS6_S4_PS2_iiiibPKi.numbered_sgpr, 30
	.set _ZN4vllm4gptq33gemm_half_q_half_gptq_3bit_kernelILb1ELi1EEEvPK6__halfPKjS6_S4_PS2_iiiibPKi.num_named_barrier, 0
	.set _ZN4vllm4gptq33gemm_half_q_half_gptq_3bit_kernelILb1ELi1EEEvPK6__halfPKjS6_S4_PS2_iiiibPKi.private_seg_size, 0
	.set _ZN4vllm4gptq33gemm_half_q_half_gptq_3bit_kernelILb1ELi1EEEvPK6__halfPKjS6_S4_PS2_iiiibPKi.uses_vcc, 1
	.set _ZN4vllm4gptq33gemm_half_q_half_gptq_3bit_kernelILb1ELi1EEEvPK6__halfPKjS6_S4_PS2_iiiibPKi.uses_flat_scratch, 0
	.set _ZN4vllm4gptq33gemm_half_q_half_gptq_3bit_kernelILb1ELi1EEEvPK6__halfPKjS6_S4_PS2_iiiibPKi.has_dyn_sized_stack, 0
	.set _ZN4vllm4gptq33gemm_half_q_half_gptq_3bit_kernelILb1ELi1EEEvPK6__halfPKjS6_S4_PS2_iiiibPKi.has_recursion, 0
	.set _ZN4vllm4gptq33gemm_half_q_half_gptq_3bit_kernelILb1ELi1EEEvPK6__halfPKjS6_S4_PS2_iiiibPKi.has_indirect_call, 0
	.section	.AMDGPU.csdata,"",@progbits
; Kernel info:
; codeLenInByte = 4912
; TotalNumSgprs: 32
; NumVgprs: 80
; ScratchSize: 0
; MemoryBound: 0
; FloatMode: 240
; IeeeMode: 1
; LDSByteSize: 256 bytes/workgroup (compile time only)
; SGPRBlocks: 0
; VGPRBlocks: 4
; NumSGPRsForWavesPerEU: 32
; NumVGPRsForWavesPerEU: 80
; NamedBarCnt: 0
; Occupancy: 12
; WaveLimiterHint : 0
; COMPUTE_PGM_RSRC2:SCRATCH_EN: 0
; COMPUTE_PGM_RSRC2:USER_SGPR: 2
; COMPUTE_PGM_RSRC2:TRAP_HANDLER: 0
; COMPUTE_PGM_RSRC2:TGID_X_EN: 1
; COMPUTE_PGM_RSRC2:TGID_Y_EN: 1
; COMPUTE_PGM_RSRC2:TGID_Z_EN: 1
; COMPUTE_PGM_RSRC2:TIDIG_COMP_CNT: 0
	.section	.text._ZN4vllm4gptq33gemm_half_q_half_gptq_4bit_kernelILb1ELi1EEEvPK6__halfPKjS6_S4_PS2_iiiibPKi,"axG",@progbits,_ZN4vllm4gptq33gemm_half_q_half_gptq_4bit_kernelILb1ELi1EEEvPK6__halfPKjS6_S4_PS2_iiiibPKi,comdat
	.protected	_ZN4vllm4gptq33gemm_half_q_half_gptq_4bit_kernelILb1ELi1EEEvPK6__halfPKjS6_S4_PS2_iiiibPKi ; -- Begin function _ZN4vllm4gptq33gemm_half_q_half_gptq_4bit_kernelILb1ELi1EEEvPK6__halfPKjS6_S4_PS2_iiiibPKi
	.globl	_ZN4vllm4gptq33gemm_half_q_half_gptq_4bit_kernelILb1ELi1EEEvPK6__halfPKjS6_S4_PS2_iiiibPKi
	.p2align	8
	.type	_ZN4vllm4gptq33gemm_half_q_half_gptq_4bit_kernelILb1ELi1EEEvPK6__halfPKjS6_S4_PS2_iiiibPKi,@function
_ZN4vllm4gptq33gemm_half_q_half_gptq_4bit_kernelILb1ELi1EEEvPK6__halfPKjS6_S4_PS2_iiiibPKi: ; @_ZN4vllm4gptq33gemm_half_q_half_gptq_4bit_kernelILb1ELi1EEEvPK6__halfPKjS6_S4_PS2_iiiibPKi
; %bb.0:
	s_load_b128 s[4:7], s[0:1], 0x2c
	s_bfe_u32 s2, ttmp6, 0x40014
	s_lshr_b32 s3, ttmp7, 16
	s_add_co_i32 s2, s2, 1
	s_bfe_u32 s9, ttmp6, 0x40010
	s_mul_i32 s2, s3, s2
	s_bfe_u32 s8, ttmp6, 0x40008
	s_and_b32 s10, ttmp7, 0xffff
	s_add_co_i32 s9, s9, 1
	s_add_co_i32 s8, s8, s2
	s_mul_i32 s2, s10, s9
	s_bfe_u32 s9, ttmp6, 0x40004
	s_getreg_b32 s17, hwreg(HW_REG_IB_STS2, 6, 4)
	s_add_co_i32 s9, s9, s2
	s_cmp_eq_u32 s17, 0
	s_mov_b32 s12, exec_lo
	s_cselect_b32 s2, s3, s8
	s_cselect_b32 s14, s10, s9
	s_lshl_b32 s15, s2, 7
	s_delay_alu instid0(SALU_CYCLE_1) | instskip(NEXT) | instid1(SALU_CYCLE_1)
	s_add_co_i32 s2, s15, 0x80
	v_cvt_f64_u32_e32 v[2:3], s2
	s_load_b64 s[2:3], s[0:1], 0x10
	s_wait_kmcnt 0x0
	v_cvt_f64_i32_e32 v[4:5], s5
	s_delay_alu instid0(VALU_DEP_1) | instskip(NEXT) | instid1(VALU_DEP_1)
	v_min_num_f64_e32 v[2:3], v[2:3], v[4:5]
	v_cvt_i32_f64_e32 v1, v[2:3]
	v_add_nc_u32_e32 v2, s15, v0
	s_delay_alu instid0(VALU_DEP_2) | instskip(NEXT) | instid1(VALU_DEP_2)
	v_readfirstlane_b32 s16, v1
	v_cmpx_lt_u32_e64 v2, v1
	s_cbranch_execz .LBB17_4
; %bb.1:
	s_clause 0x1
	s_load_b64 s[10:11], s[0:1], 0x40
	s_load_b64 s[8:9], s[0:1], 0x0
	v_mov_b32_e32 v3, 0
	s_wait_kmcnt 0x0
	s_cmp_eq_u64 s[10:11], 0
	s_cbranch_scc1 .LBB17_3
; %bb.2:
	s_delay_alu instid0(VALU_DEP_1)
	v_lshl_add_u64 v[2:3], v[2:3], 2, s[10:11]
	global_load_b32 v2, v[2:3], off
	s_wait_loadcnt 0x0
	v_ashrrev_i32_e32 v3, 31, v2
.LBB17_3:
	s_mul_i32 s10, s5, s14
	s_delay_alu instid0(SALU_CYCLE_1) | instskip(NEXT) | instid1(SALU_CYCLE_1)
	s_ashr_i32 s11, s10, 31
	s_lshl_b64 s[10:11], s[10:11], 1
	s_delay_alu instid0(SALU_CYCLE_1) | instskip(NEXT) | instid1(SALU_CYCLE_1)
	s_add_nc_u64 s[8:9], s[8:9], s[10:11]
	v_lshl_add_u64 v[2:3], v[2:3], 1, s[8:9]
	global_load_u16 v1, v[2:3], off
	s_wait_xcnt 0x0
	v_lshlrev_b32_e32 v2, 1, v0
	s_wait_loadcnt 0x0
	ds_store_b16 v2, v1
.LBB17_4:
	s_or_b32 exec_lo, exec_lo, s12
	s_clause 0x1
	s_load_b64 s[12:13], s[0:1], 0x8
	s_load_b128 s[8:11], s[0:1], 0x18
	s_wait_xcnt 0x0
	s_bfe_u32 s0, ttmp6, 0x4000c
	s_and_b32 s1, ttmp6, 15
	s_add_co_i32 s0, s0, 1
	v_lshlrev_b32_e32 v1, 2, v0
	s_mul_i32 s0, ttmp9, s0
	s_delay_alu instid0(SALU_CYCLE_1)
	s_add_co_i32 s1, s1, s0
	s_cmp_eq_u32 s17, 0
	s_cselect_b32 s0, ttmp9, s1
	s_mov_b32 s1, 0
	v_lshl_add_u32 v2, s0, 9, v1
	s_mov_b32 s0, exec_lo
	s_delay_alu instid0(VALU_DEP_1)
	v_cmpx_gt_i32_e64 s4, v2
	s_cbranch_execz .LBB17_14
; %bb.5:
	s_abs_i32 s17, s6
	v_mov_b32_e32 v5, 0
	s_cvt_f32_u32 s0, s17
	s_cmp_ge_i32 s15, s16
	s_wait_dscnt 0x0
	s_barrier_signal -1
	v_rcp_iflag_f32_e32 v1, s0
	v_dual_mov_b32 v4, v5 :: v_dual_mov_b32 v31, v5
	v_mov_b32_e32 v28, v5
	s_barrier_wait -1
	s_delay_alu instid0(TRANS32_DEP_1)
	v_readfirstlane_b32 s0, v1
	s_cbranch_scc1 .LBB17_10
; %bb.6:
	s_mul_f32 s0, s0, 0x4f7ffffe
	v_dual_ashrrev_i32 v3, 31, v2 :: v_dual_lshlrev_b32 v0, 4, v0
	s_delay_alu instid0(SALU_CYCLE_2) | instskip(SKIP_1) | instid1(VALU_DEP_1)
	s_cvt_u32_f32 s18, s0
	s_sub_co_i32 s0, 0, s17
	v_and_b32_e32 v29, 16, v0
	s_delay_alu instid0(SALU_CYCLE_1)
	s_mul_i32 s19, s0, s18
	s_abs_i32 s0, s5
	s_mul_hi_u32 s20, s18, s19
	s_mov_b32 s19, s1
	s_add_co_i32 s18, s18, s20
	s_ashr_i32 s5, s5, 31
	s_mul_u64 s[18:19], s[0:1], s[18:19]
	s_ashr_i32 s1, s6, 31
	s_mul_i32 s6, s19, s17
	s_xor_b32 s1, s5, s1
	s_sub_co_i32 s0, s0, s6
	s_add_co_i32 s5, s19, 1
	s_sub_co_i32 s6, s0, s17
	s_cmp_ge_u32 s0, s17
	s_mov_b32 s20, 0x10001
	s_cselect_b32 s5, s5, s19
	s_cselect_b32 s0, s6, s0
	s_add_co_i32 s6, s5, 1
	s_cmp_ge_u32 s0, s17
	s_mov_b32 s19, 0
	s_cselect_b32 s0, s6, s5
	s_delay_alu instid0(SALU_CYCLE_1) | instskip(NEXT) | instid1(SALU_CYCLE_1)
	s_xor_b32 s0, s0, s1
	s_sub_co_i32 s17, s0, s1
	s_bitcmp1_b32 s7, 0
	s_cvt_f32_u32 s0, s17
	s_cselect_b32 s1, -1, 0
	s_sub_co_i32 s5, 0, s17
	s_xor_b32 s1, s1, -1
	v_rcp_iflag_f32_e32 v1, s0
	v_cndmask_b32_e64 v30, 0, 1, s1
	s_delay_alu instid0(TRANS32_DEP_1) | instskip(SKIP_1) | instid1(SALU_CYCLE_3)
	v_readfirstlane_b32 s0, v1
	s_mul_f32 s0, s0, 0x4f7ffffe
	s_cvt_u32_f32 s0, s0
	s_delay_alu instid0(SALU_CYCLE_3) | instskip(NEXT) | instid1(SALU_CYCLE_1)
	s_mul_i32 s5, s5, s0
	s_mul_hi_u32 s5, s0, s5
	s_delay_alu instid0(SALU_CYCLE_1) | instskip(NEXT) | instid1(SALU_CYCLE_1)
	s_add_co_i32 s0, s0, s5
	s_mul_hi_u32 s0, s15, s0
	s_delay_alu instid0(SALU_CYCLE_1) | instskip(SKIP_2) | instid1(SALU_CYCLE_1)
	s_mul_i32 s5, s0, s17
	s_add_co_i32 s6, s0, 1
	s_sub_co_i32 s5, s15, s5
	s_sub_co_i32 s7, s5, s17
	s_cmp_ge_u32 s5, s17
	s_cselect_b32 s0, s6, s0
	s_cselect_b32 s5, s7, s5
	s_add_co_i32 s6, s0, 1
	s_cmp_ge_u32 s5, s17
	s_cselect_b32 s18, s6, s0
	s_add_co_i32 s21, s17, s15
	s_mul_i32 s0, s18, s4
	s_delay_alu instid0(SALU_CYCLE_1) | instskip(SKIP_1) | instid1(SALU_CYCLE_1)
	v_dual_lshrrev_b32 v1, 29, v3 :: v_dual_add_nc_u32 v4, s0, v2
	s_ashr_i32 s5, s0, 31
	s_lshr_b32 s5, s5, 29
	s_delay_alu instid0(VALU_DEP_1)
	v_add_nc_u32_e32 v1, v2, v1
	s_add_co_i32 s5, s0, s5
	v_ashrrev_i32_e32 v5, 31, v4
	s_ashr_i32 s5, s5, 3
	s_lshr_b32 s0, s15, 3
	v_ashrrev_i32_e32 v11, 3, v1
	s_mul_i32 s6, s4, s0
	s_wait_kmcnt 0x0
	v_lshl_add_u64 v[4:5], v[4:5], 1, s[8:9]
	s_ashr_i32 s7, s6, 31
	v_add_nc_u32_e32 v1, s5, v11
	s_lshl_b64 s[6:7], s[6:7], 2
	global_load_b64 v[6:7], v[4:5], off
	s_wait_xcnt 0x0
	v_mov_b32_e32 v4, 0
	s_add_nc_u64 s[6:7], s[12:13], s[6:7]
	global_load_b32 v1, v1, s[2:3] scale_offset
	s_ashr_i32 s5, s4, 31
	s_mov_b32 s12, 0xf000f0
	s_lshl_b64 s[0:1], s[4:5], 4
	v_dual_mov_b32 v5, v4 :: v_dual_mov_b32 v28, v4
	s_wait_loadcnt 0x1
	v_dual_mov_b32 v31, v4 :: v_dual_lshrrev_b32 v16, 16, v6
	v_lshrrev_b32_e32 v17, 16, v7
	v_cvt_f32_f16_e32 v32, v6
	s_wait_loadcnt 0x0
	v_lshrrev_b32_e32 v0, v0, v1
	v_cvt_f32_f16_e32 v6, v7
	v_cvt_f32_f16_e32 v33, v16
	;; [unrolled: 1-line block ×3, first 2 shown]
	s_delay_alu instid0(VALU_DEP_4) | instskip(NEXT) | instid1(VALU_DEP_1)
	v_lshrrev_b32_e32 v1, 12, v0
	v_dual_lshrrev_b32 v8, 8, v0 :: v_dual_bitop2_b32 v10, 15, v1 bitop3:0x40
	v_dual_lshrrev_b32 v9, 4, v0 :: v_dual_bitop2_b32 v12, 15, v0 bitop3:0x40
	v_lshl_add_u64 v[0:1], v[2:3], 2, s[6:7]
	s_delay_alu instid0(VALU_DEP_3) | instskip(NEXT) | instid1(VALU_DEP_3)
	v_dual_add_nc_u32 v3, v10, v30 :: v_dual_bitop2_b32 v8, 15, v8 bitop3:0x40
	v_and_b32_e32 v9, 15, v9
	s_lshl_b64 s[6:7], s[4:5], 2
	s_mov_b32 s5, 0xf000f
	s_delay_alu instid0(VALU_DEP_2) | instskip(SKIP_3) | instid1(VALU_DEP_3)
	v_mad_u32_u24 v37, v3, s20, 0xe400e400
	v_add_nc_u32_e32 v8, v8, v30
	v_dual_add_nc_u32 v10, v12, v30 :: v_dual_add_nc_u32 v9, v9, v30
	v_cvt_f32_ubyte0_e32 v12, v3
	v_cvt_f32_ubyte0_e32 v13, v8
	s_delay_alu instid0(VALU_DEP_3) | instskip(NEXT) | instid1(VALU_DEP_4)
	v_cvt_f32_ubyte0_e32 v14, v10
	v_cvt_f32_ubyte0_e32 v15, v9
	v_mad_u32_u24 v34, v10, s20, 0xe400e400
	v_mad_u32_u24 v35, v8, s20, 0xe400e400
	v_cvt_pk_f16_f32 v12, v13, v12
	v_mad_u32_u24 v36, v9, s20, 0xe400e400
	v_cvt_pk_f16_f32 v13, v14, v15
	s_delay_alu instid0(VALU_DEP_3) | instskip(NEXT) | instid1(VALU_DEP_2)
	v_pk_add_f16 v12, 0xd400, v12 op_sel_hi:[0,1] neg_lo:[0,1] neg_hi:[0,1]
	v_pk_add_f16 v10, 0xd400, v13 op_sel_hi:[0,1] neg_lo:[0,1] neg_hi:[0,1]
	s_delay_alu instid0(VALU_DEP_2) | instskip(NEXT) | instid1(VALU_DEP_2)
	v_and_b32_e32 v3, 0xffff, v12
	v_dual_lshrrev_b32 v8, 16, v12 :: v_dual_lshrrev_b32 v13, 16, v10
	v_and_b32_e32 v12, 0xffff, v10
	s_delay_alu instid0(VALU_DEP_3) | instskip(NEXT) | instid1(VALU_DEP_3)
	v_mul_u32_u24_e32 v10, 0x10001, v3
	v_mul_u32_u24_e32 v9, 0x10001, v8
	s_delay_alu instid0(VALU_DEP_4) | instskip(NEXT) | instid1(VALU_DEP_4)
	v_mul_u32_u24_e32 v3, 0x10001, v13
	v_mul_u32_u24_e32 v8, 0x10001, v12
	s_branch .LBB17_8
.LBB17_7:                               ;   in Loop: Header=BB17_8 Depth=1
	global_load_b128 v[12:15], v[0:1], off
	v_mov_b32_e32 v26, s19
	s_add_co_i32 s15, s15, 32
	s_add_co_i32 s19, s19, 64
	s_cmp_ge_i32 s15, s16
	s_wait_loadcnt 0x0
	v_and_or_b32 v16, v12, s5, 0x64006400
	v_and_or_b32 v17, v12, s12, 0x64006400
	v_lshrrev_b32_e32 v12, 8, v12
	s_delay_alu instid0(VALU_DEP_3) | instskip(NEXT) | instid1(VALU_DEP_3)
	v_pk_add_f16 v19, v34, v16
	v_pk_fma_f16 v20, 0x2c00, v17, v8 op_sel_hi:[0,1,1]
	v_and_or_b32 v16, v13, s5, 0x64006400
	v_and_or_b32 v17, v13, s12, 0x64006400
	v_lshrrev_b32_e32 v13, 8, v13
	v_and_or_b32 v18, v12, s5, 0x64006400
	v_and_or_b32 v12, v12, s12, 0x64006400
	v_pk_add_f16 v22, v36, v16
	v_pk_fma_f16 v23, 0x2c00, v17, v3 op_sel_hi:[0,1,1]
	v_and_or_b32 v16, v14, s5, 0x64006400
	v_and_or_b32 v17, v14, s12, 0x64006400
	v_pk_add_f16 v21, v34, v18
	v_and_or_b32 v18, v13, s5, 0x64006400
	v_lshrrev_b32_e32 v14, 8, v14
	v_pk_add_f16 v25, v35, v16
	v_pk_fma_f16 v27, 0x2c00, v17, v10 op_sel_hi:[0,1,1]
	v_and_or_b32 v16, v15, s5, 0x64006400
	v_and_or_b32 v17, v15, s12, 0x64006400
	v_pk_add_f16 v24, v36, v18
	v_lshrrev_b32_e32 v15, 8, v15
	v_and_or_b32 v18, v14, s5, 0x64006400
	v_pk_add_f16 v39, v37, v16
	v_pk_fma_f16 v40, 0x2c00, v17, v9 op_sel_hi:[0,1,1]
	ds_load_2addr_b32 v[16:17], v26 offset1:1
	v_pk_fma_f16 v12, 0x2c00, v12, v8 op_sel_hi:[0,1,1]
	v_pk_add_f16 v38, v35, v18
	v_and_or_b32 v18, v15, s5, 0x64006400
	v_and_or_b32 v13, v13, s12, 0x64006400
	;; [unrolled: 1-line block ×4, first 2 shown]
	s_delay_alu instid0(VALU_DEP_4) | instskip(NEXT) | instid1(VALU_DEP_4)
	v_pk_add_f16 v41, v37, v18
	v_pk_fma_f16 v13, 0x2c00, v13, v3 op_sel_hi:[0,1,1]
	s_delay_alu instid0(VALU_DEP_4) | instskip(NEXT) | instid1(VALU_DEP_4)
	v_pk_fma_f16 v14, 0x2c00, v14, v10 op_sel_hi:[0,1,1]
	v_pk_fma_f16 v15, 0x2c00, v15, v9 op_sel_hi:[0,1,1]
	s_wait_dscnt 0x0
	v_pk_fma_f16 v18, v19, v16, 0
	s_delay_alu instid0(VALU_DEP_1) | instskip(SKIP_3) | instid1(VALU_DEP_1)
	v_pk_fma_f16 v20, v20, v17, v18
	ds_load_2addr_b32 v[18:19], v26 offset0:2 offset1:3
	s_wait_dscnt 0x0
	v_pk_fma_f16 v20, v21, v18, v20
	v_pk_fma_f16 v12, v12, v19, v20
	s_delay_alu instid0(VALU_DEP_1) | instskip(SKIP_1) | instid1(VALU_DEP_1)
	v_cvt_f32_f16_e32 v20, v12
	v_lshrrev_b32_e32 v12, 16, v12
	v_cvt_f32_f16_e32 v12, v12
	s_delay_alu instid0(VALU_DEP_1) | instskip(SKIP_1) | instid1(VALU_DEP_1)
	v_add_f32_e32 v20, v12, v20
	v_pk_fma_f16 v12, v22, v16, 0
	v_pk_fma_f16 v12, v23, v17, v12
	s_delay_alu instid0(VALU_DEP_1) | instskip(NEXT) | instid1(VALU_DEP_1)
	v_pk_fma_f16 v12, v24, v18, v12
	v_pk_fma_f16 v12, v13, v19, v12
	s_delay_alu instid0(VALU_DEP_1) | instskip(SKIP_1) | instid1(VALU_DEP_1)
	v_cvt_f32_f16_e32 v13, v12
	v_lshrrev_b32_e32 v12, 16, v12
	v_cvt_f32_f16_e32 v12, v12
	s_delay_alu instid0(VALU_DEP_1) | instskip(SKIP_1) | instid1(VALU_DEP_2)
	v_add_f32_e32 v21, v12, v13
	v_pk_fma_f16 v12, v25, v16, 0
	v_dual_fmac_f32 v28, v20, v32 :: v_dual_fmac_f32 v31, v21, v33
	s_delay_alu instid0(VALU_DEP_2) | instskip(SKIP_2) | instid1(VALU_DEP_3)
	v_pk_fma_f16 v12, v27, v17, v12
	v_add_nc_u64_e32 v[20:21], s[6:7], v[0:1]
	v_add_nc_u64_e32 v[0:1], s[0:1], v[0:1]
	v_pk_fma_f16 v12, v38, v18, v12
	s_delay_alu instid0(VALU_DEP_1) | instskip(NEXT) | instid1(VALU_DEP_1)
	v_pk_fma_f16 v13, v14, v19, v12
	v_cvt_f32_f16_e32 v12, v13
	v_lshrrev_b32_e32 v13, 16, v13
	s_delay_alu instid0(VALU_DEP_1) | instskip(SKIP_1) | instid1(VALU_DEP_1)
	v_cvt_f32_f16_e32 v14, v13
	v_pk_fma_f16 v13, v39, v16, 0
	v_pk_fma_f16 v13, v40, v17, v13
	s_delay_alu instid0(VALU_DEP_1) | instskip(NEXT) | instid1(VALU_DEP_1)
	v_pk_fma_f16 v13, v41, v18, v13
	v_pk_fma_f16 v13, v15, v19, v13
	global_load_b128 v[16:19], v[20:21], off
	v_lshrrev_b32_e32 v15, 16, v13
	v_cvt_f32_f16_e32 v13, v13
	s_delay_alu instid0(VALU_DEP_2) | instskip(NEXT) | instid1(VALU_DEP_1)
	v_cvt_f32_f16_e32 v15, v15
	v_pk_add_f32 v[12:13], v[12:13], v[14:15]
	s_delay_alu instid0(VALU_DEP_1) | instskip(SKIP_4) | instid1(VALU_DEP_3)
	v_pk_fma_f32 v[4:5], v[12:13], v[6:7], v[4:5]
	s_wait_loadcnt 0x0
	v_and_or_b32 v22, v16, s5, 0x64006400
	v_and_or_b32 v23, v16, s12, 0x64006400
	v_lshrrev_b32_e32 v16, 8, v16
	v_pk_add_f16 v25, v34, v22
	s_delay_alu instid0(VALU_DEP_3)
	v_pk_fma_f16 v27, 0x2c00, v23, v8 op_sel_hi:[0,1,1]
	v_and_or_b32 v22, v17, s5, 0x64006400
	v_and_or_b32 v23, v17, s12, 0x64006400
	;; [unrolled: 1-line block ×3, first 2 shown]
	v_lshrrev_b32_e32 v17, 8, v17
	v_and_or_b32 v16, v16, s12, 0x64006400
	v_pk_add_f16 v39, v36, v22
	v_pk_fma_f16 v40, 0x2c00, v23, v3 op_sel_hi:[0,1,1]
	v_and_or_b32 v22, v18, s5, 0x64006400
	v_and_or_b32 v23, v18, s12, 0x64006400
	v_pk_add_f16 v38, v34, v24
	v_lshrrev_b32_e32 v18, 8, v18
	v_and_or_b32 v24, v17, s5, 0x64006400
	v_pk_add_f16 v42, v35, v22
	v_pk_fma_f16 v43, 0x2c00, v23, v10 op_sel_hi:[0,1,1]
	v_and_or_b32 v22, v19, s5, 0x64006400
	v_and_or_b32 v23, v19, s12, 0x64006400
	v_pk_add_f16 v41, v36, v24
	v_and_or_b32 v24, v18, s5, 0x64006400
	v_lshrrev_b32_e32 v19, 8, v19
	v_pk_add_f16 v45, v37, v22
	v_pk_fma_f16 v46, 0x2c00, v23, v9 op_sel_hi:[0,1,1]
	ds_load_2addr_b32 v[22:23], v26 offset0:4 offset1:5
	v_pk_add_f16 v44, v35, v24
	v_and_or_b32 v24, v19, s5, 0x64006400
	v_pk_fma_f16 v16, 0x2c00, v16, v8 op_sel_hi:[0,1,1]
	v_and_or_b32 v17, v17, s12, 0x64006400
	v_and_or_b32 v18, v18, s12, 0x64006400
	s_delay_alu instid0(VALU_DEP_4) | instskip(NEXT) | instid1(VALU_DEP_3)
	v_pk_add_f16 v47, v37, v24
	v_pk_fma_f16 v17, 0x2c00, v17, v3 op_sel_hi:[0,1,1]
	s_delay_alu instid0(VALU_DEP_3) | instskip(SKIP_2) | instid1(VALU_DEP_1)
	v_pk_fma_f16 v18, 0x2c00, v18, v10 op_sel_hi:[0,1,1]
	s_wait_dscnt 0x0
	v_pk_fma_f16 v24, v25, v22, 0
	v_pk_fma_f16 v27, v27, v23, v24
	ds_load_2addr_b32 v[24:25], v26 offset0:6 offset1:7
	s_wait_dscnt 0x0
	v_pk_fma_f16 v27, v38, v24, v27
	s_delay_alu instid0(VALU_DEP_1) | instskip(NEXT) | instid1(VALU_DEP_1)
	v_pk_fma_f16 v16, v16, v25, v27
	v_cvt_f32_f16_e32 v27, v16
	v_lshrrev_b32_e32 v16, 16, v16
	v_and_or_b32 v19, v19, s12, 0x64006400
	s_delay_alu instid0(VALU_DEP_2) | instskip(NEXT) | instid1(VALU_DEP_2)
	v_cvt_f32_f16_e32 v16, v16
	v_pk_fma_f16 v19, 0x2c00, v19, v9 op_sel_hi:[0,1,1]
	s_delay_alu instid0(VALU_DEP_2) | instskip(SKIP_1) | instid1(VALU_DEP_1)
	v_add_f32_e32 v27, v16, v27
	v_pk_fma_f16 v16, v39, v22, 0
	v_pk_fma_f16 v16, v40, v23, v16
	s_delay_alu instid0(VALU_DEP_1) | instskip(NEXT) | instid1(VALU_DEP_1)
	v_pk_fma_f16 v16, v41, v24, v16
	v_pk_fma_f16 v16, v17, v25, v16
	s_delay_alu instid0(VALU_DEP_1) | instskip(SKIP_2) | instid1(VALU_DEP_2)
	v_cvt_f32_f16_e32 v17, v16
	v_lshrrev_b32_e32 v16, 16, v16
	v_fmac_f32_e32 v28, v27, v32
	v_cvt_f32_f16_e32 v16, v16
	s_delay_alu instid0(VALU_DEP_1) | instskip(SKIP_1) | instid1(VALU_DEP_1)
	v_add_f32_e32 v38, v16, v17
	v_pk_fma_f16 v16, v42, v22, 0
	v_pk_fma_f16 v16, v43, v23, v16
	s_delay_alu instid0(VALU_DEP_1) | instskip(NEXT) | instid1(VALU_DEP_1)
	v_pk_fma_f16 v16, v44, v24, v16
	v_pk_fma_f16 v17, v18, v25, v16
	s_delay_alu instid0(VALU_DEP_1) | instskip(SKIP_1) | instid1(VALU_DEP_1)
	v_cvt_f32_f16_e32 v16, v17
	v_lshrrev_b32_e32 v17, 16, v17
	v_cvt_f32_f16_e32 v18, v17
	v_pk_fma_f16 v17, v45, v22, 0
	s_delay_alu instid0(VALU_DEP_1) | instskip(NEXT) | instid1(VALU_DEP_1)
	v_pk_fma_f16 v17, v46, v23, v17
	v_pk_fma_f16 v17, v47, v24, v17
	s_delay_alu instid0(VALU_DEP_1) | instskip(SKIP_1) | instid1(VALU_DEP_2)
	v_pk_fma_f16 v17, v19, v25, v17
	v_add_nc_u64_e32 v[24:25], s[6:7], v[20:21]
	v_lshrrev_b32_e32 v19, 16, v17
	v_cvt_f32_f16_e32 v17, v17
	global_load_b128 v[20:23], v[24:25], off
	v_fmac_f32_e32 v31, v38, v33
	s_wait_xcnt 0x0
	v_add_nc_u64_e32 v[24:25], s[6:7], v[24:25]
	v_cvt_f32_f16_e32 v19, v19
	s_delay_alu instid0(VALU_DEP_1) | instskip(NEXT) | instid1(VALU_DEP_1)
	v_pk_add_f32 v[12:13], v[16:17], v[18:19]
	v_pk_fma_f32 v[4:5], v[12:13], v[6:7], v[4:5]
	s_wait_loadcnt 0x0
	v_and_or_b32 v27, v20, s5, 0x64006400
	v_and_or_b32 v38, v20, s12, 0x64006400
	v_lshrrev_b32_e32 v20, 8, v20
	s_delay_alu instid0(VALU_DEP_3) | instskip(NEXT) | instid1(VALU_DEP_3)
	v_pk_add_f16 v27, v34, v27
	v_pk_fma_f16 v40, 0x2c00, v38, v8 op_sel_hi:[0,1,1]
	s_delay_alu instid0(VALU_DEP_3) | instskip(SKIP_2) | instid1(VALU_DEP_3)
	v_and_or_b32 v39, v20, s5, 0x64006400
	v_and_or_b32 v38, v21, s5, 0x64006400
	;; [unrolled: 1-line block ×3, first 2 shown]
	v_pk_add_f16 v42, v34, v39
	v_and_or_b32 v39, v21, s12, 0x64006400
	s_delay_alu instid0(VALU_DEP_4)
	v_pk_add_f16 v43, v36, v38
	v_and_or_b32 v38, v22, s5, 0x64006400
	v_lshrrev_b32_e32 v21, 8, v21
	v_pk_fma_f16 v20, 0x2c00, v20, v8 op_sel_hi:[0,1,1]
	v_pk_fma_f16 v44, 0x2c00, v39, v3 op_sel_hi:[0,1,1]
	v_and_or_b32 v39, v22, s12, 0x64006400
	v_pk_add_f16 v46, v35, v38
	v_and_or_b32 v38, v23, s5, 0x64006400
	v_lshrrev_b32_e32 v22, 8, v22
	v_and_or_b32 v41, v21, s5, 0x64006400
	v_pk_fma_f16 v47, 0x2c00, v39, v10 op_sel_hi:[0,1,1]
	v_and_or_b32 v39, v23, s12, 0x64006400
	v_pk_add_f16 v49, v37, v38
	v_lshrrev_b32_e32 v23, 8, v23
	v_pk_add_f16 v45, v36, v41
	v_and_or_b32 v41, v22, s5, 0x64006400
	v_pk_fma_f16 v50, 0x2c00, v39, v9 op_sel_hi:[0,1,1]
	ds_load_2addr_b32 v[38:39], v26 offset0:8 offset1:9
	v_and_or_b32 v21, v21, s12, 0x64006400
	v_and_or_b32 v22, v22, s12, 0x64006400
	v_pk_add_f16 v48, v35, v41
	v_and_or_b32 v41, v23, s5, 0x64006400
	s_delay_alu instid0(VALU_DEP_4) | instskip(NEXT) | instid1(VALU_DEP_4)
	v_pk_fma_f16 v21, 0x2c00, v21, v3 op_sel_hi:[0,1,1]
	v_pk_fma_f16 v22, 0x2c00, v22, v10 op_sel_hi:[0,1,1]
	s_delay_alu instid0(VALU_DEP_3) | instskip(SKIP_2) | instid1(VALU_DEP_1)
	v_pk_add_f16 v51, v37, v41
	s_wait_dscnt 0x0
	v_pk_fma_f16 v27, v27, v38, 0
	v_pk_fma_f16 v27, v40, v39, v27
	ds_load_2addr_b32 v[40:41], v26 offset0:10 offset1:11
	s_wait_dscnt 0x0
	v_pk_fma_f16 v27, v42, v40, v27
	s_delay_alu instid0(VALU_DEP_1) | instskip(NEXT) | instid1(VALU_DEP_1)
	v_pk_fma_f16 v20, v20, v41, v27
	v_cvt_f32_f16_e32 v27, v20
	v_lshrrev_b32_e32 v20, 16, v20
	v_and_or_b32 v23, v23, s12, 0x64006400
	s_delay_alu instid0(VALU_DEP_2) | instskip(NEXT) | instid1(VALU_DEP_2)
	v_cvt_f32_f16_e32 v20, v20
	v_pk_fma_f16 v23, 0x2c00, v23, v9 op_sel_hi:[0,1,1]
	s_delay_alu instid0(VALU_DEP_2) | instskip(SKIP_1) | instid1(VALU_DEP_1)
	v_add_f32_e32 v27, v20, v27
	v_pk_fma_f16 v20, v43, v38, 0
	v_pk_fma_f16 v20, v44, v39, v20
	s_delay_alu instid0(VALU_DEP_1) | instskip(NEXT) | instid1(VALU_DEP_1)
	v_pk_fma_f16 v20, v45, v40, v20
	v_pk_fma_f16 v20, v21, v41, v20
	s_delay_alu instid0(VALU_DEP_1) | instskip(SKIP_2) | instid1(VALU_DEP_2)
	v_cvt_f32_f16_e32 v21, v20
	v_lshrrev_b32_e32 v20, 16, v20
	v_fmac_f32_e32 v28, v27, v32
	v_cvt_f32_f16_e32 v20, v20
	s_delay_alu instid0(VALU_DEP_1) | instskip(SKIP_1) | instid1(VALU_DEP_1)
	v_add_f32_e32 v42, v20, v21
	v_pk_fma_f16 v20, v46, v38, 0
	v_pk_fma_f16 v20, v47, v39, v20
	s_delay_alu instid0(VALU_DEP_1) | instskip(NEXT) | instid1(VALU_DEP_1)
	v_pk_fma_f16 v20, v48, v40, v20
	v_pk_fma_f16 v21, v22, v41, v20
	s_delay_alu instid0(VALU_DEP_1) | instskip(SKIP_1) | instid1(VALU_DEP_1)
	v_cvt_f32_f16_e32 v20, v21
	v_lshrrev_b32_e32 v21, 16, v21
	v_cvt_f32_f16_e32 v22, v21
	v_pk_fma_f16 v21, v49, v38, 0
	s_delay_alu instid0(VALU_DEP_1) | instskip(NEXT) | instid1(VALU_DEP_1)
	v_pk_fma_f16 v21, v50, v39, v21
	v_pk_fma_f16 v21, v51, v40, v21
	s_delay_alu instid0(VALU_DEP_1) | instskip(SKIP_4) | instid1(VALU_DEP_2)
	v_pk_fma_f16 v21, v23, v41, v21
	global_load_b128 v[38:41], v[24:25], off
	v_fmac_f32_e32 v31, v42, v33
	v_lshrrev_b32_e32 v23, 16, v21
	v_cvt_f32_f16_e32 v21, v21
	v_cvt_f32_f16_e32 v23, v23
	s_delay_alu instid0(VALU_DEP_1) | instskip(NEXT) | instid1(VALU_DEP_1)
	v_pk_add_f32 v[12:13], v[20:21], v[22:23]
	v_pk_fma_f32 v[4:5], v[12:13], v[6:7], v[4:5]
	s_wait_loadcnt 0x0
	v_lshrrev_b32_e32 v27, 8, v38
	v_and_or_b32 v24, v38, s5, 0x64006400
	v_and_or_b32 v25, v38, s12, 0x64006400
	;; [unrolled: 1-line block ×3, first 2 shown]
	s_delay_alu instid0(VALU_DEP_4) | instskip(NEXT) | instid1(VALU_DEP_4)
	v_and_or_b32 v38, v27, s5, 0x64006400
	v_pk_add_f16 v24, v34, v24
	s_delay_alu instid0(VALU_DEP_4)
	v_pk_fma_f16 v25, 0x2c00, v25, v8 op_sel_hi:[0,1,1]
	v_and_or_b32 v27, v27, s12, 0x64006400
	v_pk_fma_f16 v43, 0x2c00, v43, v3 op_sel_hi:[0,1,1]
	v_pk_add_f16 v42, v34, v38
	v_and_or_b32 v38, v39, s5, 0x64006400
	v_lshrrev_b32_e32 v39, 8, v39
	v_pk_fma_f16 v27, 0x2c00, v27, v8 op_sel_hi:[0,1,1]
	s_delay_alu instid0(VALU_DEP_3) | instskip(NEXT) | instid1(VALU_DEP_3)
	v_pk_add_f16 v45, v36, v38
	v_and_or_b32 v44, v39, s5, 0x64006400
	v_and_or_b32 v39, v39, s12, 0x64006400
	;; [unrolled: 1-line block ×3, first 2 shown]
	s_delay_alu instid0(VALU_DEP_3) | instskip(NEXT) | instid1(VALU_DEP_3)
	v_pk_add_f16 v44, v36, v44
	v_pk_fma_f16 v46, 0x2c00, v39, v3 op_sel_hi:[0,1,1]
	v_and_or_b32 v39, v40, s12, 0x64006400
	v_lshrrev_b32_e32 v40, 8, v40
	v_pk_add_f16 v48, v35, v38
	v_and_or_b32 v38, v41, s5, 0x64006400
	s_delay_alu instid0(VALU_DEP_4) | instskip(NEXT) | instid1(VALU_DEP_4)
	v_pk_fma_f16 v49, 0x2c00, v39, v10 op_sel_hi:[0,1,1]
	v_and_or_b32 v47, v40, s5, 0x64006400
	v_and_or_b32 v40, v40, s12, 0x64006400
	;; [unrolled: 1-line block ×3, first 2 shown]
	v_pk_add_f16 v51, v37, v38
	s_delay_alu instid0(VALU_DEP_4) | instskip(NEXT) | instid1(VALU_DEP_4)
	v_pk_add_f16 v47, v35, v47
	v_pk_fma_f16 v50, 0x2c00, v40, v10 op_sel_hi:[0,1,1]
	v_lshrrev_b32_e32 v40, 8, v41
	v_pk_fma_f16 v52, 0x2c00, v39, v9 op_sel_hi:[0,1,1]
	ds_load_2addr_b32 v[38:39], v26 offset0:12 offset1:13
	v_and_or_b32 v41, v40, s5, 0x64006400
	v_and_or_b32 v40, v40, s12, 0x64006400
	s_delay_alu instid0(VALU_DEP_2) | instskip(NEXT) | instid1(VALU_DEP_2)
	v_pk_add_f16 v53, v37, v41
	v_pk_fma_f16 v54, 0x2c00, v40, v9 op_sel_hi:[0,1,1]
	ds_load_2addr_b32 v[40:41], v26 offset0:14 offset1:15
	s_wait_dscnt 0x1
	v_pk_fma_f16 v24, v24, v38, 0
	s_delay_alu instid0(VALU_DEP_1) | instskip(SKIP_1) | instid1(VALU_DEP_1)
	v_pk_fma_f16 v24, v25, v39, v24
	s_wait_dscnt 0x0
	v_pk_fma_f16 v24, v42, v40, v24
	s_delay_alu instid0(VALU_DEP_1) | instskip(NEXT) | instid1(VALU_DEP_1)
	v_pk_fma_f16 v24, v27, v41, v24
	v_cvt_f32_f16_e32 v25, v24
	v_lshrrev_b32_e32 v24, 16, v24
	s_delay_alu instid0(VALU_DEP_1) | instskip(NEXT) | instid1(VALU_DEP_1)
	v_cvt_f32_f16_e32 v24, v24
	v_add_f32_e32 v42, v24, v25
	v_pk_fma_f16 v24, v45, v38, 0
	s_delay_alu instid0(VALU_DEP_1) | instskip(NEXT) | instid1(VALU_DEP_1)
	v_pk_fma_f16 v24, v43, v39, v24
	v_pk_fma_f16 v24, v44, v40, v24
	s_delay_alu instid0(VALU_DEP_1) | instskip(NEXT) | instid1(VALU_DEP_1)
	v_pk_fma_f16 v24, v46, v41, v24
	v_cvt_f32_f16_e32 v25, v24
	v_lshrrev_b32_e32 v24, 16, v24
	v_fmac_f32_e32 v28, v42, v32
	s_delay_alu instid0(VALU_DEP_2) | instskip(NEXT) | instid1(VALU_DEP_1)
	v_cvt_f32_f16_e32 v24, v24
	v_add_f32_e32 v43, v24, v25
	v_pk_fma_f16 v24, v48, v38, 0
	s_delay_alu instid0(VALU_DEP_1) | instskip(NEXT) | instid1(VALU_DEP_1)
	v_pk_fma_f16 v24, v49, v39, v24
	v_pk_fma_f16 v24, v47, v40, v24
	s_delay_alu instid0(VALU_DEP_1) | instskip(NEXT) | instid1(VALU_DEP_1)
	v_pk_fma_f16 v25, v50, v41, v24
	v_cvt_f32_f16_e32 v24, v25
	v_lshrrev_b32_e32 v25, 16, v25
	v_fmac_f32_e32 v31, v43, v33
	s_delay_alu instid0(VALU_DEP_2) | instskip(SKIP_1) | instid1(VALU_DEP_1)
	v_cvt_f32_f16_e32 v26, v25
	v_pk_fma_f16 v25, v51, v38, 0
	v_pk_fma_f16 v25, v52, v39, v25
	s_delay_alu instid0(VALU_DEP_1) | instskip(NEXT) | instid1(VALU_DEP_1)
	v_pk_fma_f16 v25, v53, v40, v25
	v_pk_fma_f16 v25, v54, v41, v25
	s_delay_alu instid0(VALU_DEP_1) | instskip(SKIP_1) | instid1(VALU_DEP_2)
	v_lshrrev_b32_e32 v27, 16, v25
	v_cvt_f32_f16_e32 v25, v25
	v_cvt_f32_f16_e32 v27, v27
	s_delay_alu instid0(VALU_DEP_1) | instskip(NEXT) | instid1(VALU_DEP_1)
	v_pk_add_f32 v[12:13], v[24:25], v[26:27]
	v_pk_fma_f32 v[4:5], v[12:13], v[6:7], v[4:5]
	s_cbranch_scc1 .LBB17_10
.LBB17_8:                               ; =>This Inner Loop Header: Depth=1
	s_cmp_lg_u32 s15, s21
	s_cbranch_scc1 .LBB17_7
; %bb.9:                                ;   in Loop: Header=BB17_8 Depth=1
	s_add_co_i32 s18, s18, 1
	s_add_co_i32 s21, s21, s17
	s_mul_i32 s13, s18, s4
	s_delay_alu instid0(SALU_CYCLE_1) | instskip(SKIP_2) | instid1(SALU_CYCLE_1)
	s_ashr_i32 s22, s13, 31
	v_add_nc_u32_e32 v6, s13, v2
	s_lshr_b32 s22, s22, 29
	s_add_co_i32 s22, s13, s22
	s_delay_alu instid0(SALU_CYCLE_1) | instskip(NEXT) | instid1(SALU_CYCLE_1)
	s_ashr_i32 s22, s22, 3
	v_add_nc_u32_e32 v3, s22, v11
	global_load_b32 v3, v3, s[2:3] scale_offset
	s_wait_loadcnt 0x0
	v_dual_ashrrev_i32 v7, 31, v6 :: v_dual_lshrrev_b32 v3, v29, v3
	s_delay_alu instid0(VALU_DEP_1) | instskip(NEXT) | instid1(VALU_DEP_2)
	v_lshl_add_u64 v[6:7], v[6:7], 1, s[8:9]
	v_dual_lshrrev_b32 v8, 4, v3 :: v_dual_lshrrev_b32 v9, 12, v3
	global_load_b64 v[6:7], v[6:7], off
	v_dual_lshrrev_b32 v10, 8, v3 :: v_dual_bitop2_b32 v3, 15, v3 bitop3:0x40
	v_and_b32_e32 v8, 15, v8
	s_delay_alu instid0(VALU_DEP_2) | instskip(NEXT) | instid1(VALU_DEP_3)
	v_and_b32_e32 v10, 15, v10
	v_dual_add_nc_u32 v3, v3, v30 :: v_dual_bitop2_b32 v9, 15, v9 bitop3:0x40
	s_delay_alu instid0(VALU_DEP_3) | instskip(NEXT) | instid1(VALU_DEP_2)
	v_add_nc_u32_e32 v8, v8, v30
	v_cvt_f32_ubyte0_e32 v12, v3
	v_mad_u32_u24 v34, v3, s20, 0xe400e400
	s_delay_alu instid0(VALU_DEP_3) | instskip(SKIP_1) | instid1(VALU_DEP_2)
	v_cvt_f32_ubyte0_e32 v13, v8
	v_mad_u32_u24 v36, v8, s20, 0xe400e400
	v_cvt_pk_f16_f32 v12, v12, v13
	s_delay_alu instid0(VALU_DEP_1) | instskip(NEXT) | instid1(VALU_DEP_1)
	v_pk_add_f16 v12, 0xd400, v12 op_sel_hi:[0,1] neg_lo:[0,1] neg_hi:[0,1]
	v_and_b32_e32 v8, 0xffff, v12
	s_delay_alu instid0(VALU_DEP_1)
	v_mul_u32_u24_e32 v8, 0x10001, v8
	s_wait_loadcnt 0x0
	v_dual_lshrrev_b32 v17, 16, v7 :: v_dual_add_nc_u32 v9, v9, v30
	v_add_nc_u32_e32 v10, v10, v30
	v_lshrrev_b32_e32 v16, 16, v6
	v_cvt_f32_f16_e32 v32, v6
	v_cvt_f32_f16_e32 v6, v7
	v_cvt_f32_ubyte0_e32 v14, v9
	v_cvt_f32_ubyte0_e32 v15, v10
	v_mad_u32_u24 v35, v10, s20, 0xe400e400
	v_lshrrev_b32_e32 v10, 16, v12
	v_cvt_f32_f16_e32 v33, v16
	v_cvt_f32_f16_e32 v7, v17
	v_cvt_pk_f16_f32 v13, v15, v14
	v_mad_u32_u24 v37, v9, s20, 0xe400e400
	s_delay_alu instid0(VALU_DEP_2) | instskip(NEXT) | instid1(VALU_DEP_1)
	v_pk_add_f16 v3, 0xd400, v13 op_sel_hi:[0,1] neg_lo:[0,1] neg_hi:[0,1]
	v_and_b32_e32 v12, 0xffff, v3
	v_lshrrev_b32_e32 v13, 16, v3
	v_mul_u32_u24_e32 v3, 0x10001, v10
	s_delay_alu instid0(VALU_DEP_3) | instskip(NEXT) | instid1(VALU_DEP_3)
	v_mul_u32_u24_e32 v10, 0x10001, v12
	v_mul_u32_u24_e32 v9, 0x10001, v13
	s_branch .LBB17_7
.LBB17_10:
	v_mad_u32 v0, s4, s14, v2
	v_cvt_pk_f16_f32 v6, v28, v31
	s_mov_b32 s0, 0
	s_delay_alu instid0(VALU_DEP_2) | instskip(SKIP_1) | instid1(VALU_DEP_1)
	v_ashrrev_i32_e32 v1, 31, v0
	s_wait_kmcnt 0x0
	v_lshl_add_u64 v[0:1], v[0:1], 1, s[10:11]
	global_load_b32 v3, v[0:1], off
.LBB17_11:                              ; =>This Inner Loop Header: Depth=1
	s_wait_loadcnt 0x0
	v_pk_add_f16 v2, v6, v3
	global_atomic_cmpswap_b32 v2, v[0:1], v[2:3], off th:TH_ATOMIC_RETURN scope:SCOPE_DEV
	s_wait_loadcnt 0x0
	v_cmp_eq_u32_e32 vcc_lo, v3, v2
	v_mov_b32_e32 v3, v2
	s_or_b32 s0, vcc_lo, s0
	s_delay_alu instid0(SALU_CYCLE_1)
	s_and_not1_b32 exec_lo, exec_lo, s0
	s_cbranch_execnz .LBB17_11
; %bb.12:
	s_or_b32 exec_lo, exec_lo, s0
	global_load_b32 v3, v[0:1], off offset:4
	v_cvt_pk_f16_f32 v4, v4, v5
	s_mov_b32 s0, 0
.LBB17_13:                              ; =>This Inner Loop Header: Depth=1
	s_wait_loadcnt 0x0
	s_delay_alu instid0(VALU_DEP_1)
	v_pk_add_f16 v2, v4, v3
	global_atomic_cmpswap_b32 v2, v[0:1], v[2:3], off offset:4 th:TH_ATOMIC_RETURN scope:SCOPE_DEV
	s_wait_loadcnt 0x0
	v_cmp_eq_u32_e32 vcc_lo, v3, v2
	v_mov_b32_e32 v3, v2
	s_or_b32 s0, vcc_lo, s0
	s_delay_alu instid0(SALU_CYCLE_1)
	s_and_not1_b32 exec_lo, exec_lo, s0
	s_cbranch_execnz .LBB17_13
.LBB17_14:
	s_endpgm
	.section	.rodata,"a",@progbits
	.p2align	6, 0x0
	.amdhsa_kernel _ZN4vllm4gptq33gemm_half_q_half_gptq_4bit_kernelILb1ELi1EEEvPK6__halfPKjS6_S4_PS2_iiiibPKi
		.amdhsa_group_segment_fixed_size 256
		.amdhsa_private_segment_fixed_size 0
		.amdhsa_kernarg_size 72
		.amdhsa_user_sgpr_count 2
		.amdhsa_user_sgpr_dispatch_ptr 0
		.amdhsa_user_sgpr_queue_ptr 0
		.amdhsa_user_sgpr_kernarg_segment_ptr 1
		.amdhsa_user_sgpr_dispatch_id 0
		.amdhsa_user_sgpr_kernarg_preload_length 0
		.amdhsa_user_sgpr_kernarg_preload_offset 0
		.amdhsa_user_sgpr_private_segment_size 0
		.amdhsa_wavefront_size32 1
		.amdhsa_uses_dynamic_stack 0
		.amdhsa_enable_private_segment 0
		.amdhsa_system_sgpr_workgroup_id_x 1
		.amdhsa_system_sgpr_workgroup_id_y 1
		.amdhsa_system_sgpr_workgroup_id_z 1
		.amdhsa_system_sgpr_workgroup_info 0
		.amdhsa_system_vgpr_workitem_id 0
		.amdhsa_next_free_vgpr 55
		.amdhsa_next_free_sgpr 23
		.amdhsa_named_barrier_count 0
		.amdhsa_reserve_vcc 1
		.amdhsa_float_round_mode_32 0
		.amdhsa_float_round_mode_16_64 0
		.amdhsa_float_denorm_mode_32 3
		.amdhsa_float_denorm_mode_16_64 3
		.amdhsa_fp16_overflow 0
		.amdhsa_memory_ordered 1
		.amdhsa_forward_progress 1
		.amdhsa_inst_pref_size 36
		.amdhsa_round_robin_scheduling 0
		.amdhsa_exception_fp_ieee_invalid_op 0
		.amdhsa_exception_fp_denorm_src 0
		.amdhsa_exception_fp_ieee_div_zero 0
		.amdhsa_exception_fp_ieee_overflow 0
		.amdhsa_exception_fp_ieee_underflow 0
		.amdhsa_exception_fp_ieee_inexact 0
		.amdhsa_exception_int_div_zero 0
	.end_amdhsa_kernel
	.section	.text._ZN4vllm4gptq33gemm_half_q_half_gptq_4bit_kernelILb1ELi1EEEvPK6__halfPKjS6_S4_PS2_iiiibPKi,"axG",@progbits,_ZN4vllm4gptq33gemm_half_q_half_gptq_4bit_kernelILb1ELi1EEEvPK6__halfPKjS6_S4_PS2_iiiibPKi,comdat
.Lfunc_end17:
	.size	_ZN4vllm4gptq33gemm_half_q_half_gptq_4bit_kernelILb1ELi1EEEvPK6__halfPKjS6_S4_PS2_iiiibPKi, .Lfunc_end17-_ZN4vllm4gptq33gemm_half_q_half_gptq_4bit_kernelILb1ELi1EEEvPK6__halfPKjS6_S4_PS2_iiiibPKi
                                        ; -- End function
	.set _ZN4vllm4gptq33gemm_half_q_half_gptq_4bit_kernelILb1ELi1EEEvPK6__halfPKjS6_S4_PS2_iiiibPKi.num_vgpr, 55
	.set _ZN4vllm4gptq33gemm_half_q_half_gptq_4bit_kernelILb1ELi1EEEvPK6__halfPKjS6_S4_PS2_iiiibPKi.num_agpr, 0
	.set _ZN4vllm4gptq33gemm_half_q_half_gptq_4bit_kernelILb1ELi1EEEvPK6__halfPKjS6_S4_PS2_iiiibPKi.numbered_sgpr, 23
	.set _ZN4vllm4gptq33gemm_half_q_half_gptq_4bit_kernelILb1ELi1EEEvPK6__halfPKjS6_S4_PS2_iiiibPKi.num_named_barrier, 0
	.set _ZN4vllm4gptq33gemm_half_q_half_gptq_4bit_kernelILb1ELi1EEEvPK6__halfPKjS6_S4_PS2_iiiibPKi.private_seg_size, 0
	.set _ZN4vllm4gptq33gemm_half_q_half_gptq_4bit_kernelILb1ELi1EEEvPK6__halfPKjS6_S4_PS2_iiiibPKi.uses_vcc, 1
	.set _ZN4vllm4gptq33gemm_half_q_half_gptq_4bit_kernelILb1ELi1EEEvPK6__halfPKjS6_S4_PS2_iiiibPKi.uses_flat_scratch, 0
	.set _ZN4vllm4gptq33gemm_half_q_half_gptq_4bit_kernelILb1ELi1EEEvPK6__halfPKjS6_S4_PS2_iiiibPKi.has_dyn_sized_stack, 0
	.set _ZN4vllm4gptq33gemm_half_q_half_gptq_4bit_kernelILb1ELi1EEEvPK6__halfPKjS6_S4_PS2_iiiibPKi.has_recursion, 0
	.set _ZN4vllm4gptq33gemm_half_q_half_gptq_4bit_kernelILb1ELi1EEEvPK6__halfPKjS6_S4_PS2_iiiibPKi.has_indirect_call, 0
	.section	.AMDGPU.csdata,"",@progbits
; Kernel info:
; codeLenInByte = 4520
; TotalNumSgprs: 25
; NumVgprs: 55
; ScratchSize: 0
; MemoryBound: 0
; FloatMode: 240
; IeeeMode: 1
; LDSByteSize: 256 bytes/workgroup (compile time only)
; SGPRBlocks: 0
; VGPRBlocks: 3
; NumSGPRsForWavesPerEU: 25
; NumVGPRsForWavesPerEU: 55
; NamedBarCnt: 0
; Occupancy: 16
; WaveLimiterHint : 0
; COMPUTE_PGM_RSRC2:SCRATCH_EN: 0
; COMPUTE_PGM_RSRC2:USER_SGPR: 2
; COMPUTE_PGM_RSRC2:TRAP_HANDLER: 0
; COMPUTE_PGM_RSRC2:TGID_X_EN: 1
; COMPUTE_PGM_RSRC2:TGID_Y_EN: 1
; COMPUTE_PGM_RSRC2:TGID_Z_EN: 1
; COMPUTE_PGM_RSRC2:TIDIG_COMP_CNT: 0
	.section	.text._ZN4vllm4gptq33gemm_half_q_half_gptq_8bit_kernelILb1ELi1EEEvPK6__halfPKjS6_S4_PS2_iiiibPKi,"axG",@progbits,_ZN4vllm4gptq33gemm_half_q_half_gptq_8bit_kernelILb1ELi1EEEvPK6__halfPKjS6_S4_PS2_iiiibPKi,comdat
	.protected	_ZN4vllm4gptq33gemm_half_q_half_gptq_8bit_kernelILb1ELi1EEEvPK6__halfPKjS6_S4_PS2_iiiibPKi ; -- Begin function _ZN4vllm4gptq33gemm_half_q_half_gptq_8bit_kernelILb1ELi1EEEvPK6__halfPKjS6_S4_PS2_iiiibPKi
	.globl	_ZN4vllm4gptq33gemm_half_q_half_gptq_8bit_kernelILb1ELi1EEEvPK6__halfPKjS6_S4_PS2_iiiibPKi
	.p2align	8
	.type	_ZN4vllm4gptq33gemm_half_q_half_gptq_8bit_kernelILb1ELi1EEEvPK6__halfPKjS6_S4_PS2_iiiibPKi,@function
_ZN4vllm4gptq33gemm_half_q_half_gptq_8bit_kernelILb1ELi1EEEvPK6__halfPKjS6_S4_PS2_iiiibPKi: ; @_ZN4vllm4gptq33gemm_half_q_half_gptq_8bit_kernelILb1ELi1EEEvPK6__halfPKjS6_S4_PS2_iiiibPKi
; %bb.0:
	s_load_b128 s[4:7], s[0:1], 0x2c
	s_bfe_u32 s2, ttmp6, 0x40014
	s_lshr_b32 s3, ttmp7, 16
	s_add_co_i32 s2, s2, 1
	s_bfe_u32 s9, ttmp6, 0x40010
	s_mul_i32 s2, s3, s2
	s_bfe_u32 s8, ttmp6, 0x40008
	s_and_b32 s10, ttmp7, 0xffff
	s_add_co_i32 s9, s9, 1
	s_add_co_i32 s8, s8, s2
	s_mul_i32 s2, s10, s9
	s_bfe_u32 s9, ttmp6, 0x40004
	s_getreg_b32 s17, hwreg(HW_REG_IB_STS2, 6, 4)
	s_add_co_i32 s9, s9, s2
	s_cmp_eq_u32 s17, 0
	s_mov_b32 s12, exec_lo
	s_cselect_b32 s2, s3, s8
	s_cselect_b32 s14, s10, s9
	s_lshl_b32 s15, s2, 7
	s_delay_alu instid0(SALU_CYCLE_1) | instskip(NEXT) | instid1(SALU_CYCLE_1)
	s_add_co_i32 s2, s15, 0x80
	v_cvt_f64_u32_e32 v[2:3], s2
	s_load_b64 s[2:3], s[0:1], 0x10
	s_wait_kmcnt 0x0
	v_cvt_f64_i32_e32 v[4:5], s5
	s_delay_alu instid0(VALU_DEP_1) | instskip(NEXT) | instid1(VALU_DEP_1)
	v_min_num_f64_e32 v[2:3], v[2:3], v[4:5]
	v_cvt_i32_f64_e32 v1, v[2:3]
	v_add_nc_u32_e32 v2, s15, v0
	s_delay_alu instid0(VALU_DEP_2) | instskip(NEXT) | instid1(VALU_DEP_2)
	v_readfirstlane_b32 s16, v1
	v_cmpx_lt_u32_e64 v2, v1
	s_cbranch_execz .LBB18_4
; %bb.1:
	s_clause 0x1
	s_load_b64 s[10:11], s[0:1], 0x40
	s_load_b64 s[8:9], s[0:1], 0x0
	v_mov_b32_e32 v3, 0
	s_wait_kmcnt 0x0
	s_cmp_eq_u64 s[10:11], 0
	s_cbranch_scc1 .LBB18_3
; %bb.2:
	s_delay_alu instid0(VALU_DEP_1)
	v_lshl_add_u64 v[2:3], v[2:3], 2, s[10:11]
	global_load_b32 v2, v[2:3], off
	s_wait_loadcnt 0x0
	v_ashrrev_i32_e32 v3, 31, v2
.LBB18_3:
	s_mul_i32 s10, s5, s14
	s_delay_alu instid0(SALU_CYCLE_1) | instskip(NEXT) | instid1(SALU_CYCLE_1)
	s_ashr_i32 s11, s10, 31
	s_lshl_b64 s[10:11], s[10:11], 1
	s_delay_alu instid0(SALU_CYCLE_1) | instskip(NEXT) | instid1(SALU_CYCLE_1)
	s_add_nc_u64 s[8:9], s[8:9], s[10:11]
	v_lshl_add_u64 v[2:3], v[2:3], 1, s[8:9]
	global_load_u16 v1, v[2:3], off
	s_wait_xcnt 0x0
	v_lshlrev_b32_e32 v2, 1, v0
	s_wait_loadcnt 0x0
	ds_store_b16 v2, v1
.LBB18_4:
	s_or_b32 exec_lo, exec_lo, s12
	s_clause 0x1
	s_load_b64 s[12:13], s[0:1], 0x8
	s_load_b128 s[8:11], s[0:1], 0x18
	s_wait_xcnt 0x0
	s_bfe_u32 s0, ttmp6, 0x4000c
	s_and_b32 s1, ttmp6, 15
	s_add_co_i32 s0, s0, 1
	v_lshlrev_b32_e32 v0, 2, v0
	s_mul_i32 s0, ttmp9, s0
	s_delay_alu instid0(SALU_CYCLE_1)
	s_add_co_i32 s1, s1, s0
	s_cmp_eq_u32 s17, 0
	s_cselect_b32 s0, ttmp9, s1
	s_mov_b32 s1, 0
	v_lshl_add_u32 v16, s0, 9, v0
	s_mov_b32 s0, exec_lo
	s_delay_alu instid0(VALU_DEP_1)
	v_cmpx_gt_i32_e64 s4, v16
	s_cbranch_execz .LBB18_16
; %bb.5:
	s_abs_i32 s17, s6
	s_cmp_ge_i32 s15, s16
	s_cvt_f32_u32 s0, s17
	s_wait_dscnt 0x0
	s_barrier_signal -1
	s_barrier_wait -1
	v_rcp_iflag_f32_e32 v0, s0
	v_nop
	s_delay_alu instid0(TRANS32_DEP_1)
	v_readfirstlane_b32 s0, v0
	s_cbranch_scc1 .LBB18_10
; %bb.6:
	s_mul_f32 s0, s0, 0x4f7ffffe
	s_ashr_i32 s6, s6, 31
	v_dual_mov_b32 v10, 0 :: v_dual_ashrrev_i32 v17, 31, v16
	s_delay_alu instid0(SALU_CYCLE_1) | instskip(SKIP_2) | instid1(SALU_CYCLE_1)
	s_cvt_u32_f32 s18, s0
	s_sub_co_i32 s0, 0, s17
	v_dual_mov_b32 v11, 0 :: v_dual_mov_b32 v12, 0
	s_mul_i32 s19, s0, s18
	s_abs_i32 s0, s5
	s_mul_hi_u32 s20, s18, s19
	s_mov_b32 s19, s1
	s_add_co_i32 s18, s18, s20
	s_ashr_i32 s5, s5, 31
	s_mul_u64 s[18:19], s[0:1], s[18:19]
	s_xor_b32 s5, s5, s6
	s_mul_i32 s18, s19, s17
	s_add_co_i32 s6, s19, 1
	s_sub_co_i32 s0, s0, s18
	v_mov_b32_e32 v13, 0
	s_sub_co_i32 s18, s0, s17
	s_cmp_ge_u32 s0, s17
	s_cselect_b32 s6, s6, s19
	s_cselect_b32 s0, s18, s0
	s_add_co_i32 s18, s6, 1
	s_cmp_ge_u32 s0, s17
	s_cselect_b32 s0, s18, s6
	s_delay_alu instid0(SALU_CYCLE_1) | instskip(NEXT) | instid1(SALU_CYCLE_1)
	s_xor_b32 s0, s0, s5
	s_sub_co_i32 s0, s0, s5
	s_bitcmp1_b32 s7, 0
	s_cvt_f32_u32 s5, s0
	s_cselect_b32 s6, -1, 0
	s_sub_co_i32 s7, 0, s0
	s_xor_b32 s18, s6, -1
	v_rcp_iflag_f32_e32 v0, s5
	v_cndmask_b32_e64 v23, 0, 1, s18
	s_delay_alu instid0(TRANS32_DEP_1) | instskip(SKIP_1) | instid1(SALU_CYCLE_3)
	v_readfirstlane_b32 s5, v0
	s_mul_f32 s5, s5, 0x4f7ffffe
	s_cvt_u32_f32 s5, s5
	s_delay_alu instid0(SALU_CYCLE_3) | instskip(NEXT) | instid1(SALU_CYCLE_1)
	s_mul_i32 s7, s7, s5
	s_mul_hi_u32 s7, s5, s7
	s_delay_alu instid0(SALU_CYCLE_1) | instskip(NEXT) | instid1(SALU_CYCLE_1)
	s_add_co_i32 s5, s5, s7
	s_mul_hi_u32 s5, s15, s5
	s_delay_alu instid0(SALU_CYCLE_1) | instskip(NEXT) | instid1(SALU_CYCLE_1)
	s_mul_i32 s7, s5, s0
	s_sub_co_i32 s6, s15, s7
	s_add_co_i32 s7, s5, 1
	s_sub_co_i32 s17, s6, s0
	s_cmp_ge_u32 s6, s0
	s_cselect_b32 s5, s7, s5
	s_cselect_b32 s6, s17, s6
	s_add_co_i32 s7, s5, 1
	s_cmp_ge_u32 s6, s0
	s_cselect_b32 s17, s7, s5
	s_add_co_i32 s18, s0, s15
	s_mul_i32 s5, s17, s4
	s_delay_alu instid0(SALU_CYCLE_1) | instskip(SKIP_1) | instid1(SALU_CYCLE_1)
	v_dual_ashrrev_i32 v22, 2, v16 :: v_dual_add_nc_u32 v0, s5, v16
	s_ashr_i32 s6, s5, 31
	s_lshr_b32 s6, s6, 30
	s_delay_alu instid0(SALU_CYCLE_1) | instskip(NEXT) | instid1(VALU_DEP_1)
	s_add_co_i32 s6, s5, s6
	v_ashrrev_i32_e32 v1, 31, v0
	s_ashr_i32 s6, s6, 2
	s_lshr_b32 s5, s15, 2
	v_add_nc_u32_e32 v2, s6, v22
	s_mul_i32 s6, s4, s5
	s_wait_kmcnt 0x0
	v_lshl_add_u64 v[0:1], v[0:1], 1, s[8:9]
	s_ashr_i32 s7, s6, 31
	s_ashr_i32 s5, s4, 31
	global_load_b32 v2, v2, s[2:3] scale_offset
	s_lshl_b64 s[6:7], s[6:7], 2
	global_load_b64 v[18:19], v[0:1], off
	s_add_nc_u64 s[6:7], s[12:13], s[6:7]
	s_lshl_b64 s[12:13], s[4:5], 2
	v_lshl_add_u64 v[20:21], v[16:17], 2, s[6:7]
	s_lshl_b64 s[6:7], s[4:5], 5
	s_wait_loadcnt 0x1
	v_and_b32_e32 v17, 0xff, v2
	v_bfe_u32 v24, v2, 8, 8
	v_bfe_u32 v25, v2, 16, 8
	v_lshrrev_b32_e32 v26, 24, v2
	s_branch .LBB18_8
.LBB18_7:                               ;   in Loop: Header=BB18_8 Depth=1
	v_add_nc_u64_e32 v[8:9], s[12:13], v[20:21]
	global_load_b128 v[4:7], v[20:21], off
	v_dual_mov_b32 v31, s1 :: v_dual_add_nc_u32 v30, v17, v23
	v_add_nc_u32_e32 v29, v24, v23
	s_add_co_i32 s15, s15, 32
	s_add_co_i32 s1, s1, 64
	global_load_b128 v[0:3], v[8:9], off
	s_wait_xcnt 0x0
	v_add_nc_u64_e32 v[8:9], s[12:13], v[8:9]
	v_add_nc_u64_e32 v[20:21], s[6:7], v[20:21]
	s_cmp_ge_i32 s15, s16
	s_wait_loadcnt 0x1
	v_and_b32_e32 v27, 0xff, v4
	v_bfe_u32 v28, v4, 8, 8
	v_and_b32_e32 v52, 0xff, v5
	v_bfe_u32 v53, v5, 8, 8
	;; [unrolled: 2-line block ×3, first 2 shown]
	s_wait_loadcnt 0x0
	v_and_b32_e32 v61, 0xff, v0
	v_bfe_u32 v62, v0, 8, 8
	v_bfe_u32 v63, v0, 16, 8
	v_dual_lshrrev_b32 v14, 24, v0 :: v_dual_lshrrev_b32 v34, 24, v1
	v_and_b32_e32 v64, 0xff, v1
	v_bfe_u32 v65, v1, 8, 8
	v_bfe_u32 v66, v1, 16, 8
	v_and_b32_e32 v67, 0xff, v2
	v_bfe_u32 v68, v2, 8, 8
	v_bfe_u32 v69, v2, 16, 8
	v_dual_lshrrev_b32 v35, 24, v2 :: v_dual_lshrrev_b32 v49, 24, v3
	v_and_b32_e32 v70, 0xff, v3
	v_bfe_u32 v71, v3, 8, 8
	v_bfe_u32 v50, v3, 16, 8
	global_load_b128 v[0:3], v[8:9], off
	v_bfe_u32 v56, v6, 8, 8
	v_bfe_u32 v51, v4, 16, 8
	v_dual_lshrrev_b32 v4, 24, v4 :: v_dual_lshrrev_b32 v5, 24, v5
	v_bfe_u32 v57, v6, 16, 8
	v_lshrrev_b32_e32 v6, 24, v6
	v_and_b32_e32 v58, 0xff, v7
	v_bfe_u32 v59, v7, 8, 8
	v_bfe_u32 v60, v7, 16, 8
	v_dual_lshrrev_b32 v7, 24, v7 :: v_dual_sub_nc_u32 v4, v4, v30
	v_sub_nc_u32_e32 v51, v51, v30
	s_delay_alu instid0(VALU_DEP_2) | instskip(NEXT) | instid1(VALU_DEP_2)
	v_cvt_f32_i32_e32 v4, v4
	v_cvt_f32_i32_e32 v51, v51
	s_delay_alu instid0(VALU_DEP_2) | instskip(NEXT) | instid1(VALU_DEP_2)
	v_cvt_f16_f32_e32 v4, v4
	v_cvt_f16_f32_e32 v51, v51
	s_wait_loadcnt 0x0
	v_and_b32_e32 v47, 0xff, v0
	v_bfe_u32 v48, v0, 8, 8
	v_bfe_u32 v37, v0, 16, 8
	v_dual_lshrrev_b32 v15, 24, v0 :: v_dual_lshrrev_b32 v32, 24, v1
	v_and_b32_e32 v45, 0xff, v1
	v_bfe_u32 v46, v1, 8, 8
	v_bfe_u32 v38, v1, 16, 8
	v_dual_sub_nc_u32 v0, v27, v30 :: v_dual_sub_nc_u32 v1, v28, v30
	v_and_b32_e32 v43, 0xff, v2
	v_bfe_u32 v44, v2, 8, 8
	v_bfe_u32 v39, v2, 16, 8
	s_delay_alu instid0(VALU_DEP_4)
	v_cvt_f32_i32_e32 v0, v0
	v_cvt_f32_i32_e32 v1, v1
	v_dual_lshrrev_b32 v33, 24, v2 :: v_dual_lshrrev_b32 v36, 24, v3
	v_and_b32_e32 v41, 0xff, v3
	v_bfe_u32 v42, v3, 8, 8
	v_bfe_u32 v40, v3, 16, 8
	v_cvt_f16_f32_e32 v27, v0
	v_cvt_f16_f32_e32 v28, v1
	ds_load_b128 v[0:3], v31
	v_dual_sub_nc_u32 v37, v37, v30 :: v_dual_sub_nc_u32 v15, v15, v30
	s_delay_alu instid0(VALU_DEP_1) | instskip(NEXT) | instid1(VALU_DEP_2)
	v_cvt_f32_i32_e32 v37, v37
	v_cvt_f32_i32_e32 v15, v15
	s_delay_alu instid0(VALU_DEP_2) | instskip(NEXT) | instid1(VALU_DEP_2)
	v_cvt_f16_f32_e32 v37, v37
	v_cvt_f16_f32_e32 v15, v15
	s_wait_dscnt 0x0
	v_fma_mix_f32 v27, v27, v0, 0 op_sel_hi:[1,1,0]
	s_delay_alu instid0(VALU_DEP_1) | instskip(SKIP_1) | instid1(VALU_DEP_2)
	v_fma_mix_f32 v72, v28, v0, v27 op_sel:[0,1,0] op_sel_hi:[1,1,0]
	v_dual_sub_nc_u32 v27, v52, v29 :: v_dual_sub_nc_u32 v28, v53, v29
	v_fma_mix_f32 v51, v51, v1, v72 op_sel_hi:[1,1,0]
	s_delay_alu instid0(VALU_DEP_2) | instskip(NEXT) | instid1(VALU_DEP_3)
	v_cvt_f32_i32_e32 v27, v27
	v_cvt_f32_i32_e32 v28, v28
	s_delay_alu instid0(VALU_DEP_3) | instskip(NEXT) | instid1(VALU_DEP_3)
	v_fma_mix_f32 v4, v4, v1, v51 op_sel:[0,1,0] op_sel_hi:[1,1,0]
	v_cvt_f16_f32_e32 v27, v27
	s_delay_alu instid0(VALU_DEP_3) | instskip(NEXT) | instid1(VALU_DEP_2)
	v_cvt_f16_f32_e32 v28, v28
	v_fma_mix_f32 v27, v27, v0, 0 op_sel_hi:[1,1,0]
	s_delay_alu instid0(VALU_DEP_1) | instskip(SKIP_2) | instid1(VALU_DEP_2)
	v_fma_mix_f32 v52, v28, v0, v27 op_sel:[0,1,0] op_sel_hi:[1,1,0]
	v_dual_add_nc_u32 v28, v25, v23 :: v_dual_sub_nc_u32 v54, v54, v29
	v_dual_sub_nc_u32 v5, v5, v29 :: v_dual_sub_nc_u32 v46, v46, v29
	v_dual_sub_nc_u32 v38, v38, v29 :: v_dual_sub_nc_u32 v39, v39, v28
	;; [unrolled: 1-line block ×3, first 2 shown]
	s_delay_alu instid0(VALU_DEP_4) | instskip(SKIP_2) | instid1(VALU_DEP_4)
	v_cvt_f32_i32_e32 v54, v54
	v_sub_nc_u32_e32 v6, v6, v28
	v_cvt_f32_i32_e32 v5, v5
	v_cvt_f32_i32_e32 v27, v27
	;; [unrolled: 1-line block ×3, first 2 shown]
	v_cvt_f16_f32_e32 v54, v54
	v_cvt_f32_i32_e32 v6, v6
	v_cvt_f16_f32_e32 v5, v5
	v_cvt_f16_f32_e32 v27, v27
	;; [unrolled: 1-line block ×3, first 2 shown]
	v_fma_mix_f32 v52, v54, v1, v52 op_sel_hi:[1,1,0]
	v_sub_nc_u32_e32 v54, v57, v28
	v_cvt_f16_f32_e32 v6, v6
	v_fma_mix_f32 v27, v27, v0, 0 op_sel_hi:[1,1,0]
	v_sub_nc_u32_e32 v35, v35, v28
	v_fma_mix_f32 v5, v5, v1, v52 op_sel:[0,1,0] op_sel_hi:[1,1,0]
	v_cvt_f32_i32_e32 v54, v54
	v_sub_nc_u32_e32 v43, v43, v28
	v_fma_mix_f32 v53, v53, v0, v27 op_sel:[0,1,0] op_sel_hi:[1,1,0]
	v_add_nc_u32_e32 v27, v26, v23
	v_sub_nc_u32_e32 v14, v14, v30
	v_cvt_f16_f32_e32 v54, v54
	v_cvt_f32_i32_e32 v35, v35
	s_delay_alu instid0(VALU_DEP_4) | instskip(SKIP_1) | instid1(VALU_DEP_4)
	v_dual_sub_nc_u32 v44, v44, v28 :: v_dual_sub_nc_u32 v41, v41, v27
	v_dual_sub_nc_u32 v55, v58, v27 :: v_dual_sub_nc_u32 v56, v59, v27
	v_fma_mix_f32 v53, v54, v1, v53 op_sel_hi:[1,1,0]
	v_dual_sub_nc_u32 v54, v60, v27 :: v_dual_sub_nc_u32 v7, v7, v27
	s_delay_alu instid0(VALU_DEP_3) | instskip(NEXT) | instid1(VALU_DEP_4)
	v_cvt_f32_i32_e32 v55, v55
	v_cvt_f32_i32_e32 v56, v56
	s_delay_alu instid0(VALU_DEP_4) | instskip(NEXT) | instid1(VALU_DEP_4)
	v_fma_mix_f32 v6, v6, v1, v53 op_sel:[0,1,0] op_sel_hi:[1,1,0]
	v_cvt_f32_i32_e32 v54, v54
	v_cvt_f32_i32_e32 v7, v7
	v_cvt_f16_f32_e32 v55, v55
	v_cvt_f16_f32_e32 v56, v56
	v_sub_nc_u32_e32 v50, v50, v27
	v_cvt_f16_f32_e32 v54, v54
	v_cvt_f16_f32_e32 v7, v7
	v_fma_mix_f32 v55, v55, v0, 0 op_sel_hi:[1,1,0]
	v_sub_nc_u32_e32 v49, v49, v27
	v_cvt_f32_i32_e32 v50, v50
	v_cvt_f32_i32_e32 v14, v14
	v_cvt_f16_f32_e32 v35, v35
	v_fma_mix_f32 v0, v56, v0, v55 op_sel:[0,1,0] op_sel_hi:[1,1,0]
	v_cvt_f32_i32_e32 v49, v49
	v_cvt_f16_f32_e32 v50, v50
	v_cvt_f16_f32_e32 v14, v14
	v_cvt_f32_i32_e32 v43, v43
	v_fma_mix_f32 v0, v54, v1, v0 op_sel_hi:[1,1,0]
	v_sub_nc_u32_e32 v42, v42, v27
	v_cvt_f32_i32_e32 v41, v41
	v_cvt_f32_i32_e32 v46, v46
	;; [unrolled: 1-line block ×3, first 2 shown]
	v_fma_mix_f32 v0, v7, v1, v0 op_sel:[0,1,0] op_sel_hi:[1,1,0]
	v_sub_nc_u32_e32 v1, v61, v30
	v_cvt_f16_f32_e32 v43, v43
	v_cvt_f32_i32_e32 v42, v42
	v_cvt_f16_f32_e32 v41, v41
	v_sub_nc_u32_e32 v40, v40, v27
	v_cvt_f32_i32_e32 v1, v1
	v_cvt_f16_f32_e32 v46, v46
	v_cvt_f16_f32_e32 v44, v44
	;; [unrolled: 1-line block ×3, first 2 shown]
	v_cvt_f32_i32_e32 v38, v38
	v_cvt_f16_f32_e32 v1, v1
	v_cvt_f32_i32_e32 v39, v39
	v_cvt_f32_i32_e32 v40, v40
	v_dual_sub_nc_u32 v32, v32, v29 :: v_dual_sub_nc_u32 v33, v33, v28
	s_delay_alu instid0(VALU_DEP_4)
	v_fma_mix_f32 v1, v1, v2, v4 op_sel_hi:[1,1,0]
	v_sub_nc_u32_e32 v4, v64, v29
	v_cvt_f16_f32_e32 v38, v38
	v_cvt_f16_f32_e32 v39, v39
	;; [unrolled: 1-line block ×3, first 2 shown]
	v_cvt_f32_i32_e32 v32, v32
	v_cvt_f32_i32_e32 v4, v4
	;; [unrolled: 1-line block ×3, first 2 shown]
	v_dual_sub_nc_u32 v53, v69, v28 :: v_dual_sub_nc_u32 v52, v66, v29
	s_delay_alu instid0(VALU_DEP_4) | instskip(NEXT) | instid1(VALU_DEP_4)
	v_cvt_f16_f32_e32 v32, v32
	v_cvt_f16_f32_e32 v4, v4
	s_delay_alu instid0(VALU_DEP_4) | instskip(NEXT) | instid1(VALU_DEP_4)
	v_cvt_f16_f32_e32 v33, v33
	v_cvt_f32_i32_e32 v53, v53
	v_cvt_f32_i32_e32 v52, v52
	v_sub_nc_u32_e32 v45, v45, v29
	v_fma_mix_f32 v7, v4, v2, v5 op_sel_hi:[1,1,0]
	v_sub_nc_u32_e32 v4, v67, v28
	s_delay_alu instid0(VALU_DEP_3) | instskip(NEXT) | instid1(VALU_DEP_2)
	v_cvt_f32_i32_e32 v45, v45
	v_cvt_f32_i32_e32 v4, v4
	s_delay_alu instid0(VALU_DEP_2) | instskip(NEXT) | instid1(VALU_DEP_2)
	v_cvt_f16_f32_e32 v45, v45
	v_cvt_f16_f32_e32 v4, v4
	s_delay_alu instid0(VALU_DEP_1) | instskip(SKIP_1) | instid1(VALU_DEP_1)
	v_fma_mix_f32 v51, v4, v2, v6 op_sel_hi:[1,1,0]
	v_sub_nc_u32_e32 v4, v70, v27
	v_cvt_f32_i32_e32 v4, v4
	s_delay_alu instid0(VALU_DEP_1) | instskip(NEXT) | instid1(VALU_DEP_1)
	v_cvt_f16_f32_e32 v4, v4
	v_fma_mix_f32 v4, v4, v2, v0 op_sel_hi:[1,1,0]
	v_sub_nc_u32_e32 v0, v62, v30
	s_delay_alu instid0(VALU_DEP_1) | instskip(NEXT) | instid1(VALU_DEP_1)
	v_cvt_f32_i32_e32 v0, v0
	v_cvt_f16_f32_e32 v0, v0
	s_delay_alu instid0(VALU_DEP_1) | instskip(SKIP_1) | instid1(VALU_DEP_1)
	v_fma_mix_f32 v5, v0, v2, v1 op_sel:[0,1,0] op_sel_hi:[1,1,0]
	v_dual_sub_nc_u32 v0, v65, v29 :: v_dual_sub_nc_u32 v1, v63, v30
	v_cvt_f32_i32_e32 v0, v0
	s_delay_alu instid0(VALU_DEP_1) | instskip(NEXT) | instid1(VALU_DEP_1)
	v_cvt_f16_f32_e32 v0, v0
	v_fma_mix_f32 v6, v0, v2, v7 op_sel:[0,1,0] op_sel_hi:[1,1,0]
	v_sub_nc_u32_e32 v0, v68, v28
	s_delay_alu instid0(VALU_DEP_1) | instskip(NEXT) | instid1(VALU_DEP_1)
	v_cvt_f32_i32_e32 v0, v0
	v_cvt_f16_f32_e32 v0, v0
	s_delay_alu instid0(VALU_DEP_1) | instskip(SKIP_2) | instid1(VALU_DEP_2)
	v_fma_mix_f32 v7, v0, v2, v51 op_sel:[0,1,0] op_sel_hi:[1,1,0]
	v_sub_nc_u32_e32 v0, v71, v27
	v_cvt_f32_i32_e32 v51, v1
	v_cvt_f32_i32_e32 v54, v0
	v_add_nc_u64_e32 v[0:1], s[12:13], v[8:9]
	s_delay_alu instid0(VALU_DEP_3) | instskip(SKIP_3) | instid1(VALU_DEP_1)
	v_cvt_f16_f32_e32 v9, v51
	v_cvt_f16_f32_e32 v51, v52
	;; [unrolled: 1-line block ×4, first 2 shown]
	v_fma_mix_f32 v2, v8, v2, v4 op_sel:[0,1,0] op_sel_hi:[1,1,0]
	v_fma_mix_f32 v8, v9, v3, v5 op_sel_hi:[1,1,0]
	v_fma_mix_f32 v9, v51, v3, v6 op_sel_hi:[1,1,0]
	;; [unrolled: 1-line block ×3, first 2 shown]
	global_load_b128 v[4:7], v[0:1], off
	v_sub_nc_u32_e32 v34, v34, v29
	v_fma_mix_f32 v2, v50, v3, v2 op_sel_hi:[1,1,0]
	v_fma_mix_f32 v53, v14, v3, v8 op_sel:[0,1,0] op_sel_hi:[1,1,0]
	v_fma_mix_f32 v55, v35, v3, v51 op_sel:[0,1,0] op_sel_hi:[1,1,0]
	v_cvt_f16_f32_e32 v8, v49
	s_delay_alu instid0(VALU_DEP_1)
	v_fma_mix_f32 v56, v8, v3, v2 op_sel:[0,1,0] op_sel_hi:[1,1,0]
	s_wait_loadcnt 0x0
	v_lshrrev_b32_e32 v50, 24, v4
	v_cvt_f32_i32_e32 v34, v34
	v_and_b32_e32 v72, 0xff, v4
	v_bfe_u32 v69, v4, 8, 8
	v_bfe_u32 v66, v4, 16, 8
	v_and_b32_e32 v73, 0xff, v5
	v_bfe_u32 v70, v5, 8, 8
	v_bfe_u32 v67, v5, 16, 8
	v_dual_lshrrev_b32 v51, 24, v5 :: v_dual_lshrrev_b32 v52, 24, v6
	v_add_nc_u64_e32 v[4:5], s[12:13], v[0:1]
	v_cvt_f16_f32_e32 v34, v34
	v_and_b32_e32 v74, 0xff, v6
	v_bfe_u32 v71, v6, 8, 8
	v_bfe_u32 v68, v6, 16, 8
	v_and_b32_e32 v75, 0xff, v7
	v_fma_mix_f32 v54, v34, v3, v9 op_sel:[0,1,0] op_sel_hi:[1,1,0]
	global_load_b128 v[0:3], v[4:5], off
	v_lshrrev_b32_e32 v49, 24, v7
	v_bfe_u32 v76, v7, 8, 8
	v_bfe_u32 v77, v7, 16, 8
	v_sub_nc_u32_e32 v36, v36, v27
	s_wait_xcnt 0x0
	v_add_nc_u64_e32 v[4:5], s[12:13], v[4:5]
	s_delay_alu instid0(VALU_DEP_2) | instskip(NEXT) | instid1(VALU_DEP_1)
	v_cvt_f32_i32_e32 v36, v36
	v_cvt_f16_f32_e32 v36, v36
	s_wait_loadcnt 0x0
	v_and_b32_e32 v64, 0xff, v0
	v_bfe_u32 v65, v0, 8, 8
	v_bfe_u32 v63, v0, 16, 8
	v_lshrrev_b32_e32 v62, 24, v0
	v_and_b32_e32 v60, 0xff, v1
	v_bfe_u32 v61, v1, 8, 8
	v_bfe_u32 v57, v1, 16, 8
	v_dual_lshrrev_b32 v6, 24, v1 :: v_dual_lshrrev_b32 v7, 24, v2
	v_dual_lshrrev_b32 v34, 24, v3 :: v_dual_sub_nc_u32 v0, v47, v30
	v_sub_nc_u32_e32 v1, v48, v30
	v_and_b32_e32 v59, 0xff, v2
	v_bfe_u32 v58, v2, 8, 8
	v_bfe_u32 v9, v2, 16, 8
	v_cvt_f32_i32_e32 v0, v0
	v_cvt_f32_i32_e32 v1, v1
	v_and_b32_e32 v14, 0xff, v3
	v_bfe_u32 v8, v3, 8, 8
	v_bfe_u32 v35, v3, 16, 8
	v_cvt_f16_f32_e32 v47, v0
	v_cvt_f16_f32_e32 v48, v1
	ds_load_b128 v[0:3], v31 offset:16
	v_dual_sub_nc_u32 v9, v9, v28 :: v_dual_sub_nc_u32 v8, v8, v27
	s_delay_alu instid0(VALU_DEP_1) | instskip(NEXT) | instid1(VALU_DEP_2)
	v_cvt_f32_i32_e32 v9, v9
	v_cvt_f32_i32_e32 v8, v8
	s_delay_alu instid0(VALU_DEP_2) | instskip(NEXT) | instid1(VALU_DEP_2)
	v_cvt_f16_f32_e32 v9, v9
	v_cvt_f16_f32_e32 v8, v8
	s_wait_dscnt 0x0
	v_fma_mix_f32 v47, v47, v0, 0 op_sel_hi:[1,1,0]
	v_fma_mix_f32 v45, v45, v0, 0 op_sel_hi:[1,1,0]
	;; [unrolled: 1-line block ×4, first 2 shown]
	s_delay_alu instid0(VALU_DEP_4) | instskip(NEXT) | instid1(VALU_DEP_4)
	v_fma_mix_f32 v47, v48, v0, v47 op_sel:[0,1,0] op_sel_hi:[1,1,0]
	v_fma_mix_f32 v45, v46, v0, v45 op_sel:[0,1,0] op_sel_hi:[1,1,0]
	s_delay_alu instid0(VALU_DEP_4) | instskip(NEXT) | instid1(VALU_DEP_4)
	v_fma_mix_f32 v43, v44, v0, v43 op_sel:[0,1,0] op_sel_hi:[1,1,0]
	v_fma_mix_f32 v0, v42, v0, v41 op_sel:[0,1,0] op_sel_hi:[1,1,0]
	s_delay_alu instid0(VALU_DEP_4) | instskip(NEXT) | instid1(VALU_DEP_4)
	v_fma_mix_f32 v37, v37, v1, v47 op_sel_hi:[1,1,0]
	v_fma_mix_f32 v38, v38, v1, v45 op_sel_hi:[1,1,0]
	s_delay_alu instid0(VALU_DEP_4) | instskip(NEXT) | instid1(VALU_DEP_4)
	v_fma_mix_f32 v39, v39, v1, v43 op_sel_hi:[1,1,0]
	v_fma_mix_f32 v0, v40, v1, v0 op_sel_hi:[1,1,0]
	s_delay_alu instid0(VALU_DEP_4) | instskip(NEXT) | instid1(VALU_DEP_4)
	v_fma_mix_f32 v15, v15, v1, v37 op_sel:[0,1,0] op_sel_hi:[1,1,0]
	v_fma_mix_f32 v32, v32, v1, v38 op_sel:[0,1,0] op_sel_hi:[1,1,0]
	s_delay_alu instid0(VALU_DEP_4) | instskip(NEXT) | instid1(VALU_DEP_4)
	v_fma_mix_f32 v33, v33, v1, v39 op_sel:[0,1,0] op_sel_hi:[1,1,0]
	v_fma_mix_f32 v0, v36, v1, v0 op_sel:[0,1,0] op_sel_hi:[1,1,0]
	v_dual_sub_nc_u32 v1, v72, v30 :: v_dual_sub_nc_u32 v36, v51, v29
	v_sub_nc_u32_e32 v38, v52, v28
	s_delay_alu instid0(VALU_DEP_2) | instskip(NEXT) | instid1(VALU_DEP_1)
	v_cvt_f32_i32_e32 v1, v1
	v_cvt_f16_f32_e32 v1, v1
	s_delay_alu instid0(VALU_DEP_1) | instskip(SKIP_1) | instid1(VALU_DEP_1)
	v_fma_mix_f32 v1, v1, v2, v15 op_sel_hi:[1,1,0]
	v_sub_nc_u32_e32 v15, v73, v29
	v_cvt_f32_i32_e32 v15, v15
	s_delay_alu instid0(VALU_DEP_1) | instskip(NEXT) | instid1(VALU_DEP_1)
	v_cvt_f16_f32_e32 v15, v15
	v_fma_mix_f32 v15, v15, v2, v32 op_sel_hi:[1,1,0]
	v_sub_nc_u32_e32 v32, v74, v28
	s_delay_alu instid0(VALU_DEP_1) | instskip(NEXT) | instid1(VALU_DEP_1)
	v_cvt_f32_i32_e32 v32, v32
	v_cvt_f16_f32_e32 v32, v32
	s_delay_alu instid0(VALU_DEP_1) | instskip(SKIP_1) | instid1(VALU_DEP_1)
	v_fma_mix_f32 v32, v32, v2, v33 op_sel_hi:[1,1,0]
	v_sub_nc_u32_e32 v33, v75, v27
	v_cvt_f32_i32_e32 v33, v33
	s_delay_alu instid0(VALU_DEP_1) | instskip(NEXT) | instid1(VALU_DEP_1)
	v_cvt_f16_f32_e32 v33, v33
	v_fma_mix_f32 v0, v33, v2, v0 op_sel_hi:[1,1,0]
	v_sub_nc_u32_e32 v33, v69, v30
	s_delay_alu instid0(VALU_DEP_1) | instskip(NEXT) | instid1(VALU_DEP_1)
	v_cvt_f32_i32_e32 v33, v33
	v_cvt_f16_f32_e32 v33, v33
	s_delay_alu instid0(VALU_DEP_1) | instskip(SKIP_1) | instid1(VALU_DEP_1)
	v_fma_mix_f32 v1, v33, v2, v1 op_sel:[0,1,0] op_sel_hi:[1,1,0]
	v_sub_nc_u32_e32 v33, v70, v29
	v_cvt_f32_i32_e32 v33, v33
	s_delay_alu instid0(VALU_DEP_1) | instskip(NEXT) | instid1(VALU_DEP_1)
	v_cvt_f16_f32_e32 v33, v33
	v_fma_mix_f32 v15, v33, v2, v15 op_sel:[0,1,0] op_sel_hi:[1,1,0]
	v_sub_nc_u32_e32 v33, v71, v28
	s_delay_alu instid0(VALU_DEP_1) | instskip(NEXT) | instid1(VALU_DEP_1)
	v_cvt_f32_i32_e32 v33, v33
	v_cvt_f16_f32_e32 v33, v33
	s_delay_alu instid0(VALU_DEP_1) | instskip(SKIP_1) | instid1(VALU_DEP_1)
	v_fma_mix_f32 v32, v33, v2, v32 op_sel:[0,1,0] op_sel_hi:[1,1,0]
	v_sub_nc_u32_e32 v33, v76, v27
	v_cvt_f32_i32_e32 v33, v33
	s_delay_alu instid0(VALU_DEP_1) | instskip(NEXT) | instid1(VALU_DEP_1)
	v_cvt_f16_f32_e32 v33, v33
	v_fma_mix_f32 v0, v33, v2, v0 op_sel:[0,1,0] op_sel_hi:[1,1,0]
	v_sub_nc_u32_e32 v2, v66, v30
	v_sub_nc_u32_e32 v33, v50, v30
	s_delay_alu instid0(VALU_DEP_2) | instskip(NEXT) | instid1(VALU_DEP_1)
	v_cvt_f32_i32_e32 v2, v2
	v_cvt_f16_f32_e32 v2, v2
	s_delay_alu instid0(VALU_DEP_1) | instskip(SKIP_1) | instid1(VALU_DEP_1)
	v_fma_mix_f32 v1, v2, v3, v1 op_sel_hi:[1,1,0]
	v_sub_nc_u32_e32 v2, v67, v29
	v_cvt_f32_i32_e32 v2, v2
	s_delay_alu instid0(VALU_DEP_1) | instskip(NEXT) | instid1(VALU_DEP_1)
	v_cvt_f16_f32_e32 v2, v2
	v_fma_mix_f32 v2, v2, v3, v15 op_sel_hi:[1,1,0]
	v_sub_nc_u32_e32 v15, v68, v28
	global_load_b128 v[66:69], v[4:5], off
	s_wait_xcnt 0x0
	v_add_nc_u64_e32 v[4:5], s[12:13], v[4:5]
	v_cvt_f32_i32_e32 v15, v15
	s_delay_alu instid0(VALU_DEP_1) | instskip(NEXT) | instid1(VALU_DEP_1)
	v_cvt_f16_f32_e32 v15, v15
	v_fma_mix_f32 v15, v15, v3, v32 op_sel_hi:[1,1,0]
	v_sub_nc_u32_e32 v32, v77, v27
	s_delay_alu instid0(VALU_DEP_1) | instskip(SKIP_3) | instid1(VALU_DEP_4)
	v_cvt_f32_i32_e32 v37, v32
	v_cvt_f32_i32_e32 v32, v33
	;; [unrolled: 1-line block ×4, first 2 shown]
	v_cvt_f16_f32_e32 v37, v37
	s_delay_alu instid0(VALU_DEP_4) | instskip(NEXT) | instid1(VALU_DEP_4)
	v_cvt_f16_f32_e32 v32, v32
	v_cvt_f16_f32_e32 v33, v33
	s_delay_alu instid0(VALU_DEP_4) | instskip(NEXT) | instid1(VALU_DEP_4)
	v_cvt_f16_f32_e32 v36, v36
	v_fma_mix_f32 v0, v37, v3, v0 op_sel_hi:[1,1,0]
	s_delay_alu instid0(VALU_DEP_4) | instskip(SKIP_3) | instid1(VALU_DEP_4)
	v_fma_mix_f32 v32, v32, v3, v1 op_sel:[0,1,0] op_sel_hi:[1,1,0]
	v_sub_nc_u32_e32 v1, v49, v27
	v_fma_mix_f32 v33, v33, v3, v2 op_sel:[0,1,0] op_sel_hi:[1,1,0]
	v_fma_mix_f32 v15, v36, v3, v15 op_sel:[0,1,0] op_sel_hi:[1,1,0]
	v_fma_mixlo_f16 v32, v32, v18, 0 op_sel_hi:[0,1,0]
	s_wait_loadcnt 0x0
	v_lshrrev_b32_e32 v50, 24, v66
	v_cvt_f32_i32_e32 v1, v1
	v_lshrrev_b32_e32 v38, 24, v69
	v_and_b32_e32 v71, 0xff, v66
	v_bfe_u32 v48, v66, 8, 8
	v_bfe_u32 v49, v66, 16, 8
	v_cvt_f16_f32_e32 v1, v1
	v_and_b32_e32 v51, 0xff, v67
	v_bfe_u32 v52, v67, 8, 8
	v_and_b32_e32 v45, 0xff, v68
	v_and_b32_e32 v39, 0xff, v69
	v_fma_mix_f32 v70, v1, v3, v0 op_sel:[0,1,0] op_sel_hi:[1,1,0]
	v_dual_sub_nc_u32 v0, v64, v30 :: v_dual_sub_nc_u32 v1, v65, v30
	s_delay_alu instid0(VALU_DEP_3) | instskip(SKIP_1) | instid1(VALU_DEP_3)
	v_dual_sub_nc_u32 v34, v34, v27 :: v_dual_sub_nc_u32 v39, v39, v27
	v_bfe_u32 v43, v67, 16, 8
	v_cvt_f32_i32_e32 v0, v0
	s_delay_alu instid0(VALU_DEP_4)
	v_cvt_f32_i32_e32 v1, v1
	v_bfe_u32 v46, v68, 8, 8
	v_bfe_u32 v40, v69, 8, 8
	v_sub_nc_u32_e32 v45, v45, v28
	v_cvt_f16_f32_e32 v36, v0
	v_cvt_f16_f32_e32 v37, v1
	ds_load_b128 v[0:3], v31 offset:32
	v_cvt_f32_i32_e32 v34, v34
	v_dual_lshrrev_b32 v44, 24, v67 :: v_dual_lshrrev_b32 v42, 24, v68
	v_bfe_u32 v47, v68, 16, 8
	v_bfe_u32 v41, v69, 16, 8
	s_delay_alu instid0(VALU_DEP_3) | instskip(SKIP_2) | instid1(VALU_DEP_4)
	v_dual_sub_nc_u32 v43, v43, v29 :: v_dual_sub_nc_u32 v44, v44, v29
	v_sub_nc_u32_e32 v46, v46, v28
	v_cvt_f32_i32_e32 v45, v45
	v_dual_sub_nc_u32 v40, v40, v27 :: v_dual_sub_nc_u32 v41, v41, v27
	v_cvt_f32_i32_e32 v39, v39
	v_cvt_f16_f32_e32 v34, v34
	v_dual_sub_nc_u32 v47, v47, v28 :: v_dual_sub_nc_u32 v42, v42, v28
	v_cvt_f32_i32_e32 v43, v43
	v_cvt_f32_i32_e32 v46, v46
	v_cvt_f16_f32_e32 v45, v45
	v_cvt_f32_i32_e32 v40, v40
	s_wait_dscnt 0x0
	v_fma_mix_f32 v36, v36, v0, 0 op_sel_hi:[1,1,0]
	v_cvt_f16_f32_e32 v39, v39
	v_cvt_f32_i32_e32 v44, v44
	v_cvt_f32_i32_e32 v47, v47
	v_cvt_f16_f32_e32 v43, v43
	v_fma_mix_f32 v36, v37, v0, v36 op_sel:[0,1,0] op_sel_hi:[1,1,0]
	v_sub_nc_u32_e32 v37, v63, v30
	v_cvt_f16_f32_e32 v46, v46
	v_cvt_f32_i32_e32 v41, v41
	v_cvt_f16_f32_e32 v40, v40
	v_cvt_f16_f32_e32 v44, v44
	v_cvt_f32_i32_e32 v37, v37
	v_cvt_f16_f32_e32 v47, v47
	v_cvt_f32_i32_e32 v42, v42
	v_cvt_f16_f32_e32 v41, v41
	s_delay_alu instid0(VALU_DEP_4) | instskip(NEXT) | instid1(VALU_DEP_3)
	v_cvt_f16_f32_e32 v37, v37
	v_cvt_f16_f32_e32 v42, v42
	s_delay_alu instid0(VALU_DEP_2) | instskip(SKIP_2) | instid1(VALU_DEP_2)
	v_fma_mix_f32 v63, v37, v1, v36 op_sel_hi:[1,1,0]
	v_fma_mixlo_f16 v36, v53, v18, 0 op_sel_hi:[0,1,0]
	v_sub_nc_u32_e32 v53, v57, v29
	v_add_f16_e32 v13, v13, v36
	v_fma_mixlo_f16 v36, v54, v18, 0 op_sel:[0,1,0] op_sel_hi:[0,1,0]
	v_sub_nc_u32_e32 v54, v58, v28
	s_delay_alu instid0(VALU_DEP_3) | instskip(NEXT) | instid1(VALU_DEP_3)
	v_add_f16_e32 v37, v13, v32
	v_add_f16_e32 v12, v12, v36
	v_fma_mixlo_f16 v36, v55, v19, 0 op_sel_hi:[0,1,0]
	v_fma_mixlo_f16 v13, v33, v18, 0 op_sel:[0,1,0] op_sel_hi:[0,1,0]
	v_cvt_f32_i32_e32 v54, v54
	s_delay_alu instid0(VALU_DEP_3) | instskip(SKIP_1) | instid1(VALU_DEP_1)
	v_add_f16_e32 v11, v11, v36
	v_fma_mixlo_f16 v36, v56, v19, 0 op_sel:[0,1,0] op_sel_hi:[0,1,0]
	v_add_f16_e32 v10, v10, v36
	v_add_f16_e32 v36, v12, v13
	v_fma_mixlo_f16 v12, v15, v19, 0 op_sel_hi:[0,1,0]
	v_dual_sub_nc_u32 v13, v61, v29 :: v_dual_sub_nc_u32 v15, v59, v28
	s_delay_alu instid0(VALU_DEP_2) | instskip(SKIP_2) | instid1(VALU_DEP_4)
	v_add_f16_e32 v33, v11, v12
	v_fma_mixlo_f16 v11, v70, v19, 0 op_sel:[0,1,0] op_sel_hi:[0,1,0]
	v_sub_nc_u32_e32 v12, v60, v29
	v_cvt_f32_i32_e32 v13, v13
	s_delay_alu instid0(VALU_DEP_3) | instskip(SKIP_1) | instid1(VALU_DEP_4)
	v_add_f16_e32 v32, v10, v11
	v_dual_sub_nc_u32 v10, v62, v30 :: v_dual_sub_nc_u32 v11, v71, v30
	v_cvt_f32_i32_e32 v12, v12
	s_delay_alu instid0(VALU_DEP_4) | instskip(SKIP_1) | instid1(VALU_DEP_4)
	v_cvt_f16_f32_e32 v55, v13
	v_cvt_f32_i32_e32 v13, v15
	v_cvt_f32_i32_e32 v10, v10
	;; [unrolled: 1-line block ×3, first 2 shown]
	v_cvt_f16_f32_e32 v12, v12
	v_cvt_f32_i32_e32 v15, v53
	v_cvt_f16_f32_e32 v53, v13
	v_cvt_f16_f32_e32 v10, v10
	;; [unrolled: 1-line block ×3, first 2 shown]
	v_fma_mix_f32 v56, v12, v0, 0 op_sel_hi:[1,1,0]
	v_cvt_f16_f32_e32 v12, v15
	v_cvt_f16_f32_e32 v13, v54
	v_fma_mix_f32 v10, v10, v1, v63 op_sel:[0,1,0] op_sel_hi:[1,1,0]
	v_fma_mix_f32 v54, v53, v0, 0 op_sel_hi:[1,1,0]
	v_fma_mix_f32 v15, v55, v0, v56 op_sel:[0,1,0] op_sel_hi:[1,1,0]
	v_sub_nc_u32_e32 v55, v14, v27
	s_delay_alu instid0(VALU_DEP_4) | instskip(NEXT) | instid1(VALU_DEP_4)
	v_fma_mix_f32 v53, v11, v2, v10 op_sel_hi:[1,1,0]
	v_fma_mix_f32 v10, v13, v0, v54 op_sel:[0,1,0] op_sel_hi:[1,1,0]
	s_delay_alu instid0(VALU_DEP_4)
	v_fma_mix_f32 v56, v12, v1, v15 op_sel_hi:[1,1,0]
	global_load_b128 v[12:15], v[4:5], off
	v_cvt_f32_i32_e32 v11, v55
	s_wait_xcnt 0x0
	v_add_nc_u64_e32 v[4:5], s[12:13], v[4:5]
	v_fma_mix_f32 v54, v9, v1, v10 op_sel_hi:[1,1,0]
	s_delay_alu instid0(VALU_DEP_3) | instskip(NEXT) | instid1(VALU_DEP_1)
	v_cvt_f16_f32_e32 v11, v11
	v_fma_mix_f32 v11, v11, v0, 0 op_sel_hi:[1,1,0]
	s_delay_alu instid0(VALU_DEP_1) | instskip(SKIP_4) | instid1(VALU_DEP_2)
	v_fma_mix_f32 v0, v8, v0, v11 op_sel:[0,1,0] op_sel_hi:[1,1,0]
	global_load_b128 v[8:11], v[4:5], off
	s_wait_xcnt 0x0
	v_dual_sub_nc_u32 v4, v6, v29 :: v_dual_sub_nc_u32 v5, v7, v28
	v_sub_nc_u32_e32 v6, v35, v27
	v_cvt_f32_i32_e32 v4, v4
	s_delay_alu instid0(VALU_DEP_3) | instskip(NEXT) | instid1(VALU_DEP_3)
	v_cvt_f32_i32_e32 v5, v5
	v_cvt_f32_i32_e32 v6, v6
	s_delay_alu instid0(VALU_DEP_3) | instskip(NEXT) | instid1(VALU_DEP_3)
	v_cvt_f16_f32_e32 v4, v4
	v_cvt_f16_f32_e32 v5, v5
	s_delay_alu instid0(VALU_DEP_3) | instskip(NEXT) | instid1(VALU_DEP_3)
	v_cvt_f16_f32_e32 v6, v6
	v_fma_mix_f32 v35, v4, v1, v56 op_sel:[0,1,0] op_sel_hi:[1,1,0]
	s_delay_alu instid0(VALU_DEP_3) | instskip(NEXT) | instid1(VALU_DEP_3)
	v_fma_mix_f32 v54, v5, v1, v54 op_sel:[0,1,0] op_sel_hi:[1,1,0]
	v_fma_mix_f32 v0, v6, v1, v0 op_sel_hi:[1,1,0]
	ds_load_b128 v[4:7], v31 offset:48
	v_dual_sub_nc_u32 v31, v48, v30 :: v_dual_sub_nc_u32 v48, v49, v30
	v_dual_sub_nc_u32 v49, v50, v30 :: v_dual_sub_nc_u32 v50, v51, v29
	v_sub_nc_u32_e32 v51, v52, v29
	s_delay_alu instid0(VALU_DEP_3) | instskip(NEXT) | instid1(VALU_DEP_4)
	v_cvt_f32_i32_e32 v31, v31
	v_cvt_f32_i32_e32 v48, v48
	v_fma_mix_f32 v0, v34, v1, v0 op_sel:[0,1,0] op_sel_hi:[1,1,0]
	v_cvt_f32_i32_e32 v50, v50
	v_cvt_f32_i32_e32 v51, v51
	v_cvt_f16_f32_e32 v31, v31
	v_cvt_f32_i32_e32 v49, v49
	v_cvt_f16_f32_e32 v48, v48
	v_cvt_f16_f32_e32 v50, v50
	;; [unrolled: 1-line block ×3, first 2 shown]
	v_fma_mix_f32 v1, v45, v2, v54 op_sel_hi:[1,1,0]
	v_sub_nc_u32_e32 v34, v38, v27
	v_fma_mix_f32 v31, v31, v2, v53 op_sel:[0,1,0] op_sel_hi:[1,1,0]
	v_fma_mix_f32 v35, v50, v2, v35 op_sel_hi:[1,1,0]
	v_fma_mix_f32 v0, v39, v2, v0 op_sel_hi:[1,1,0]
	v_cvt_f16_f32_e32 v49, v49
	v_fma_mix_f32 v1, v46, v2, v1 op_sel:[0,1,0] op_sel_hi:[1,1,0]
	v_cvt_f32_i32_e32 v34, v34
	v_fma_mix_f32 v35, v51, v2, v35 op_sel:[0,1,0] op_sel_hi:[1,1,0]
	v_fma_mix_f32 v31, v48, v3, v31 op_sel_hi:[1,1,0]
	v_fma_mix_f32 v0, v40, v2, v0 op_sel:[0,1,0] op_sel_hi:[1,1,0]
	v_fma_mix_f32 v1, v47, v3, v1 op_sel_hi:[1,1,0]
	v_cvt_f16_f32_e32 v2, v34
	v_fma_mix_f32 v35, v43, v3, v35 op_sel_hi:[1,1,0]
	v_fma_mix_f32 v31, v49, v3, v31 op_sel:[0,1,0] op_sel_hi:[1,1,0]
	v_fma_mix_f32 v0, v41, v3, v0 op_sel_hi:[1,1,0]
	v_fma_mix_f32 v1, v42, v3, v1 op_sel:[0,1,0] op_sel_hi:[1,1,0]
	s_delay_alu instid0(VALU_DEP_4) | instskip(NEXT) | instid1(VALU_DEP_4)
	v_fma_mix_f32 v34, v44, v3, v35 op_sel:[0,1,0] op_sel_hi:[1,1,0]
	v_fma_mixlo_f16 v31, v31, v18, 0 op_sel_hi:[0,1,0]
	s_delay_alu instid0(VALU_DEP_4) | instskip(NEXT) | instid1(VALU_DEP_4)
	v_fma_mix_f32 v2, v2, v3, v0 op_sel:[0,1,0] op_sel_hi:[1,1,0]
	v_fma_mixlo_f16 v0, v1, v19, 0 op_sel_hi:[0,1,0]
	s_delay_alu instid0(VALU_DEP_4) | instskip(NEXT) | instid1(VALU_DEP_4)
	v_fma_mixlo_f16 v34, v34, v18, 0 op_sel:[0,1,0] op_sel_hi:[0,1,0]
	v_add_f16_e32 v1, v37, v31
	s_delay_alu instid0(VALU_DEP_4) | instskip(NEXT) | instid1(VALU_DEP_4)
	v_fma_mixlo_f16 v2, v2, v19, 0 op_sel:[0,1,0] op_sel_hi:[0,1,0]
	v_add_f16_e32 v0, v33, v0
	s_delay_alu instid0(VALU_DEP_2)
	v_add_f16_e32 v2, v32, v2
	s_wait_loadcnt 0x1
	v_and_b32_e32 v35, 0xff, v12
	v_bfe_u32 v38, v12, 16, 8
	v_and_b32_e32 v40, 0xff, v13
	v_bfe_u32 v41, v13, 16, 8
	v_bfe_u32 v45, v14, 16, 8
	v_sub_nc_u32_e32 v3, v35, v30
	v_bfe_u32 v35, v12, 8, 8
	v_sub_nc_u32_e32 v37, v38, v30
	v_and_b32_e32 v47, 0xff, v15
	v_sub_nc_u32_e32 v45, v45, v28
	v_cvt_f32_i32_e32 v31, v3
	v_sub_nc_u32_e32 v35, v35, v30
	v_add_f16_e32 v3, v36, v34
	v_cvt_f32_i32_e32 v34, v37
	v_bfe_u32 v48, v15, 8, 8
	v_cvt_f16_f32_e32 v36, v31
	v_cvt_f32_i32_e32 v31, v35
	s_wait_loadcnt 0x0
	v_and_b32_e32 v38, 0xff, v8
	v_lshrrev_b32_e32 v12, 24, v12
	v_bfe_u32 v39, v8, 8, 8
	v_bfe_u32 v43, v9, 8, 8
	v_cvt_f16_f32_e32 v37, v31
	v_bfe_u32 v50, v10, 8, 8
	v_sub_nc_u32_e32 v35, v12, v30
	v_cvt_f16_f32_e32 v12, v34
	v_sub_nc_u32_e32 v34, v38, v30
	v_bfe_u32 v38, v8, 16, 8
	v_lshrrev_b32_e32 v8, 24, v8
	v_cvt_f32_i32_e32 v31, v35
	v_sub_nc_u32_e32 v35, v39, v30
	v_cvt_f32_i32_e32 v34, v34
	s_delay_alu instid0(VALU_DEP_4) | instskip(SKIP_1) | instid1(VALU_DEP_4)
	v_dual_sub_nc_u32 v38, v38, v30 :: v_dual_sub_nc_u32 v39, v8, v30
	v_and_b32_e32 v46, 0xff, v10
	v_cvt_f32_i32_e32 v35, v35
	s_delay_alu instid0(VALU_DEP_4) | instskip(NEXT) | instid1(VALU_DEP_4)
	v_cvt_f16_f32_e32 v30, v34
	v_cvt_f32_i32_e32 v34, v38
	v_cvt_f32_i32_e32 v38, v39
	v_sub_nc_u32_e32 v39, v40, v29
	v_bfe_u32 v40, v13, 8, 8
	v_cvt_f16_f32_e32 v8, v35
	v_cvt_f16_f32_e32 v35, v34
	;; [unrolled: 1-line block ×3, first 2 shown]
	v_cvt_f32_i32_e32 v38, v39
	v_dual_sub_nc_u32 v39, v40, v29 :: v_dual_sub_nc_u32 v40, v41, v29
	v_lshrrev_b32_e32 v13, 24, v13
	v_and_b32_e32 v41, 0xff, v9
	s_delay_alu instid0(VALU_DEP_4) | instskip(SKIP_2) | instid1(VALU_DEP_4)
	v_cvt_f16_f32_e32 v42, v38
	v_bfe_u32 v51, v10, 16, 8
	v_dual_sub_nc_u32 v50, v50, v28 :: v_dual_lshrrev_b32 v10, 24, v10
	v_sub_nc_u32_e32 v41, v41, v29
	v_cvt_f32_i32_e32 v38, v39
	v_cvt_f32_i32_e32 v39, v40
	v_dual_sub_nc_u32 v40, v13, v29 :: v_dual_sub_nc_u32 v46, v46, v28
	v_dual_sub_nc_u32 v51, v51, v28 :: v_dual_sub_nc_u32 v10, v10, v28
	s_delay_alu instid0(VALU_DEP_4) | instskip(NEXT) | instid1(VALU_DEP_4)
	v_cvt_f16_f32_e32 v44, v38
	v_cvt_f16_f32_e32 v13, v39
	s_delay_alu instid0(VALU_DEP_4)
	v_cvt_f32_i32_e32 v38, v40
	v_cvt_f32_i32_e32 v39, v41
	v_sub_nc_u32_e32 v40, v43, v29
	v_bfe_u32 v41, v9, 16, 8
	v_lshrrev_b32_e32 v43, 24, v9
	v_bfe_u32 v49, v15, 16, 8
	v_cvt_f16_f32_e32 v9, v39
	v_cvt_f32_i32_e32 v39, v40
	s_delay_alu instid0(VALU_DEP_4) | instskip(SKIP_3) | instid1(VALU_DEP_3)
	v_dual_sub_nc_u32 v40, v41, v29 :: v_dual_sub_nc_u32 v29, v43, v29
	v_and_b32_e32 v41, 0xff, v14
	v_bfe_u32 v43, v14, 8, 8
	v_dual_lshrrev_b32 v14, 24, v14 :: v_dual_sub_nc_u32 v48, v48, v27
	v_dual_lshrrev_b32 v15, 24, v15 :: v_dual_sub_nc_u32 v41, v41, v28
	s_delay_alu instid0(VALU_DEP_2) | instskip(SKIP_1) | instid1(VALU_DEP_4)
	v_dual_sub_nc_u32 v43, v43, v28 :: v_dual_sub_nc_u32 v14, v14, v28
	v_sub_nc_u32_e32 v28, v47, v27
	v_cvt_f32_i32_e32 v48, v48
	s_delay_alu instid0(VALU_DEP_4) | instskip(NEXT) | instid1(VALU_DEP_4)
	v_cvt_f32_i32_e32 v41, v41
	v_cvt_f32_i32_e32 v43, v43
	v_dual_sub_nc_u32 v49, v49, v27 :: v_dual_sub_nc_u32 v15, v15, v27
	v_cvt_f32_i32_e32 v28, v28
	s_delay_alu instid0(VALU_DEP_4) | instskip(NEXT) | instid1(VALU_DEP_4)
	v_cvt_f16_f32_e32 v41, v41
	v_cvt_f16_f32_e32 v43, v43
	v_cvt_f32_i32_e32 v45, v45
	v_cvt_f32_i32_e32 v47, v51
	v_cvt_f16_f32_e32 v28, v28
	s_wait_dscnt 0x0
	v_fma_mix_f32 v36, v36, v4, 0 op_sel_hi:[1,1,0]
	v_cvt_f16_f32_e32 v48, v48
	v_cvt_f32_i32_e32 v49, v49
	v_and_b32_e32 v51, 0xff, v11
	v_fma_mix_f32 v42, v42, v4, 0 op_sel_hi:[1,1,0]
	v_fma_mix_f32 v41, v41, v4, 0 op_sel_hi:[1,1,0]
	;; [unrolled: 1-line block ×3, first 2 shown]
	v_cvt_f16_f32_e32 v45, v45
	v_cvt_f32_i32_e32 v14, v14
	v_fma_mix_f32 v36, v37, v4, v36 op_sel:[0,1,0] op_sel_hi:[1,1,0]
	v_bfe_u32 v37, v11, 8, 8
	v_cvt_f16_f32_e32 v49, v49
	v_cvt_f32_i32_e32 v15, v15
	v_sub_nc_u32_e32 v51, v51, v27
	v_fma_mix_f32 v42, v44, v4, v42 op_sel:[0,1,0] op_sel_hi:[1,1,0]
	v_fma_mix_f32 v41, v43, v4, v41 op_sel:[0,1,0] op_sel_hi:[1,1,0]
	;; [unrolled: 1-line block ×3, first 2 shown]
	v_cvt_f16_f32_e32 v31, v31
	v_cvt_f16_f32_e32 v38, v38
	v_cvt_f32_i32_e32 v46, v46
	v_cvt_f16_f32_e32 v14, v14
	v_sub_nc_u32_e32 v37, v37, v27
	v_bfe_u32 v44, v11, 16, 8
	v_cvt_f16_f32_e32 v15, v15
	v_cvt_f32_i32_e32 v51, v51
	v_fma_mix_f32 v12, v12, v5, v36 op_sel_hi:[1,1,0]
	v_fma_mix_f32 v13, v13, v5, v42 op_sel_hi:[1,1,0]
	v_fma_mix_f32 v28, v45, v5, v41 op_sel_hi:[1,1,0]
	v_fma_mix_f32 v4, v49, v5, v4 op_sel_hi:[1,1,0]
	v_cvt_f16_f32_e32 v46, v46
	v_cvt_f32_i32_e32 v50, v50
	v_cvt_f32_i32_e32 v37, v37
	v_cvt_f16_f32_e32 v51, v51
	v_fma_mix_f32 v12, v31, v5, v12 op_sel:[0,1,0] op_sel_hi:[1,1,0]
	v_fma_mix_f32 v13, v38, v5, v13 op_sel:[0,1,0] op_sel_hi:[1,1,0]
	v_fma_mix_f32 v14, v14, v5, v28 op_sel:[0,1,0] op_sel_hi:[1,1,0]
	v_lshrrev_b32_e32 v11, 24, v11
	v_sub_nc_u32_e32 v44, v44, v27
	v_fma_mix_f32 v4, v15, v5, v4 op_sel:[0,1,0] op_sel_hi:[1,1,0]
	v_cvt_f16_f32_e32 v39, v39
	v_cvt_f32_i32_e32 v40, v40
	v_cvt_f16_f32_e32 v50, v50
	v_cvt_f16_f32_e32 v37, v37
	v_fma_mix_f32 v5, v30, v6, v12 op_sel_hi:[1,1,0]
	v_fma_mix_f32 v9, v9, v6, v13 op_sel_hi:[1,1,0]
	;; [unrolled: 1-line block ×3, first 2 shown]
	v_sub_nc_u32_e32 v11, v11, v27
	v_cvt_f32_i32_e32 v43, v44
	v_fma_mix_f32 v4, v51, v6, v4 op_sel_hi:[1,1,0]
	v_cvt_f32_i32_e32 v29, v29
	v_cvt_f16_f32_e32 v40, v40
	v_cvt_f32_i32_e32 v10, v10
	v_cvt_f16_f32_e32 v47, v47
	v_cvt_f16_f32_e32 v36, v43
	v_fma_mix_f32 v5, v8, v6, v5 op_sel:[0,1,0] op_sel_hi:[1,1,0]
	v_fma_mix_f32 v8, v39, v6, v9 op_sel:[0,1,0] op_sel_hi:[1,1,0]
	;; [unrolled: 1-line block ×3, first 2 shown]
	v_cvt_f32_i32_e32 v11, v11
	v_fma_mix_f32 v4, v37, v6, v4 op_sel:[0,1,0] op_sel_hi:[1,1,0]
	v_cvt_f16_f32_e32 v29, v29
	v_cvt_f16_f32_e32 v10, v10
	v_fma_mix_f32 v5, v35, v7, v5 op_sel_hi:[1,1,0]
	v_fma_mix_f32 v6, v40, v7, v8 op_sel_hi:[1,1,0]
	;; [unrolled: 1-line block ×3, first 2 shown]
	v_cvt_f16_f32_e32 v9, v11
	v_fma_mix_f32 v4, v36, v7, v4 op_sel_hi:[1,1,0]
	v_fma_mix_f32 v5, v34, v7, v5 op_sel:[0,1,0] op_sel_hi:[1,1,0]
	v_fma_mix_f32 v6, v29, v7, v6 op_sel:[0,1,0] op_sel_hi:[1,1,0]
	;; [unrolled: 1-line block ×3, first 2 shown]
	s_delay_alu instid0(VALU_DEP_4) | instskip(NEXT) | instid1(VALU_DEP_4)
	v_fma_mix_f32 v4, v9, v7, v4 op_sel:[0,1,0] op_sel_hi:[1,1,0]
	v_fma_mixlo_f16 v5, v5, v18, 0 op_sel_hi:[0,1,0]
	s_delay_alu instid0(VALU_DEP_4) | instskip(NEXT) | instid1(VALU_DEP_4)
	v_fma_mixlo_f16 v6, v6, v18, 0 op_sel:[0,1,0] op_sel_hi:[0,1,0]
	v_fma_mixlo_f16 v7, v8, v19, 0 op_sel_hi:[0,1,0]
	s_delay_alu instid0(VALU_DEP_4) | instskip(NEXT) | instid1(VALU_DEP_4)
	v_fma_mixlo_f16 v4, v4, v19, 0 op_sel:[0,1,0] op_sel_hi:[0,1,0]
	v_add_f16_e32 v13, v1, v5
	s_delay_alu instid0(VALU_DEP_4) | instskip(NEXT) | instid1(VALU_DEP_4)
	v_add_f16_e32 v12, v3, v6
	v_add_f16_e32 v11, v0, v7
	s_delay_alu instid0(VALU_DEP_4)
	v_add_f16_e32 v10, v2, v4
	s_cbranch_scc1 .LBB18_11
.LBB18_8:                               ; =>This Inner Loop Header: Depth=1
	s_cmp_lg_u32 s15, s18
	s_cbranch_scc1 .LBB18_7
; %bb.9:                                ;   in Loop: Header=BB18_8 Depth=1
	s_add_co_i32 s17, s17, 1
	s_add_co_i32 s18, s18, s0
	s_mul_i32 s5, s17, s4
	s_delay_alu instid0(SALU_CYCLE_1) | instskip(SKIP_3) | instid1(SALU_CYCLE_1)
	s_ashr_i32 s19, s5, 31
	s_wait_xcnt 0x0
	v_add_nc_u32_e32 v0, s5, v16
	s_lshr_b32 s19, s19, 30
	s_add_co_i32 s19, s5, s19
	s_delay_alu instid0(SALU_CYCLE_1) | instskip(NEXT) | instid1(SALU_CYCLE_1)
	s_ashr_i32 s5, s19, 2
	v_add_nc_u32_e32 v2, s5, v22
	global_load_b32 v2, v2, s[2:3] scale_offset
	s_wait_loadcnt 0x0
	v_dual_ashrrev_i32 v1, 31, v0 :: v_dual_lshrrev_b32 v26, 24, v2
	s_delay_alu instid0(VALU_DEP_1)
	v_lshl_add_u64 v[0:1], v[0:1], 1, s[8:9]
	v_and_b32_e32 v17, 0xff, v2
	v_bfe_u32 v24, v2, 8, 8
	v_bfe_u32 v25, v2, 16, 8
	global_load_b64 v[18:19], v[0:1], off
	s_branch .LBB18_7
.LBB18_10:
	v_dual_mov_b32 v4, 0 :: v_dual_mov_b32 v6, 0
	v_mov_b32_e32 v5, 0
	s_branch .LBB18_12
.LBB18_11:
	s_delay_alu instid0(VALU_DEP_2) | instskip(SKIP_1) | instid1(VALU_DEP_3)
	v_and_b32_e32 v5, 0xffff, v11
	v_perm_b32 v6, v12, v13, 0x5040100
	v_lshlrev_b32_e32 v4, 16, v10
.LBB18_12:
	v_mad_u32 v0, s4, s14, v16
	s_mov_b32 s0, 0
	s_delay_alu instid0(VALU_DEP_1) | instskip(SKIP_1) | instid1(VALU_DEP_1)
	v_ashrrev_i32_e32 v1, 31, v0
	s_wait_kmcnt 0x0
	v_lshl_add_u64 v[0:1], v[0:1], 1, s[10:11]
	global_load_b32 v3, v[0:1], off
.LBB18_13:                              ; =>This Inner Loop Header: Depth=1
	s_wait_loadcnt 0x0
	v_pk_add_f16 v2, v6, v3
	global_atomic_cmpswap_b32 v2, v[0:1], v[2:3], off th:TH_ATOMIC_RETURN scope:SCOPE_DEV
	s_wait_loadcnt 0x0
	v_cmp_eq_u32_e32 vcc_lo, v3, v2
	v_mov_b32_e32 v3, v2
	s_or_b32 s0, vcc_lo, s0
	s_delay_alu instid0(SALU_CYCLE_1)
	s_and_not1_b32 exec_lo, exec_lo, s0
	s_cbranch_execnz .LBB18_13
; %bb.14:
	s_or_b32 exec_lo, exec_lo, s0
	global_load_b32 v3, v[0:1], off offset:4
	v_or_b32_e32 v4, v4, v5
	s_mov_b32 s0, 0
.LBB18_15:                              ; =>This Inner Loop Header: Depth=1
	s_wait_loadcnt 0x0
	s_delay_alu instid0(VALU_DEP_1)
	v_pk_add_f16 v2, v4, v3
	global_atomic_cmpswap_b32 v2, v[0:1], v[2:3], off offset:4 th:TH_ATOMIC_RETURN scope:SCOPE_DEV
	s_wait_loadcnt 0x0
	v_cmp_eq_u32_e32 vcc_lo, v3, v2
	v_mov_b32_e32 v3, v2
	s_or_b32 s0, vcc_lo, s0
	s_delay_alu instid0(SALU_CYCLE_1)
	s_and_not1_b32 exec_lo, exec_lo, s0
	s_cbranch_execnz .LBB18_15
.LBB18_16:
	s_endpgm
	.section	.rodata,"a",@progbits
	.p2align	6, 0x0
	.amdhsa_kernel _ZN4vllm4gptq33gemm_half_q_half_gptq_8bit_kernelILb1ELi1EEEvPK6__halfPKjS6_S4_PS2_iiiibPKi
		.amdhsa_group_segment_fixed_size 256
		.amdhsa_private_segment_fixed_size 0
		.amdhsa_kernarg_size 72
		.amdhsa_user_sgpr_count 2
		.amdhsa_user_sgpr_dispatch_ptr 0
		.amdhsa_user_sgpr_queue_ptr 0
		.amdhsa_user_sgpr_kernarg_segment_ptr 1
		.amdhsa_user_sgpr_dispatch_id 0
		.amdhsa_user_sgpr_kernarg_preload_length 0
		.amdhsa_user_sgpr_kernarg_preload_offset 0
		.amdhsa_user_sgpr_private_segment_size 0
		.amdhsa_wavefront_size32 1
		.amdhsa_uses_dynamic_stack 0
		.amdhsa_enable_private_segment 0
		.amdhsa_system_sgpr_workgroup_id_x 1
		.amdhsa_system_sgpr_workgroup_id_y 1
		.amdhsa_system_sgpr_workgroup_id_z 1
		.amdhsa_system_sgpr_workgroup_info 0
		.amdhsa_system_vgpr_workitem_id 0
		.amdhsa_next_free_vgpr 78
		.amdhsa_next_free_sgpr 21
		.amdhsa_named_barrier_count 0
		.amdhsa_reserve_vcc 1
		.amdhsa_float_round_mode_32 0
		.amdhsa_float_round_mode_16_64 0
		.amdhsa_float_denorm_mode_32 3
		.amdhsa_float_denorm_mode_16_64 3
		.amdhsa_fp16_overflow 0
		.amdhsa_memory_ordered 1
		.amdhsa_forward_progress 1
		.amdhsa_inst_pref_size 45
		.amdhsa_round_robin_scheduling 0
		.amdhsa_exception_fp_ieee_invalid_op 0
		.amdhsa_exception_fp_denorm_src 0
		.amdhsa_exception_fp_ieee_div_zero 0
		.amdhsa_exception_fp_ieee_overflow 0
		.amdhsa_exception_fp_ieee_underflow 0
		.amdhsa_exception_fp_ieee_inexact 0
		.amdhsa_exception_int_div_zero 0
	.end_amdhsa_kernel
	.section	.text._ZN4vllm4gptq33gemm_half_q_half_gptq_8bit_kernelILb1ELi1EEEvPK6__halfPKjS6_S4_PS2_iiiibPKi,"axG",@progbits,_ZN4vllm4gptq33gemm_half_q_half_gptq_8bit_kernelILb1ELi1EEEvPK6__halfPKjS6_S4_PS2_iiiibPKi,comdat
.Lfunc_end18:
	.size	_ZN4vllm4gptq33gemm_half_q_half_gptq_8bit_kernelILb1ELi1EEEvPK6__halfPKjS6_S4_PS2_iiiibPKi, .Lfunc_end18-_ZN4vllm4gptq33gemm_half_q_half_gptq_8bit_kernelILb1ELi1EEEvPK6__halfPKjS6_S4_PS2_iiiibPKi
                                        ; -- End function
	.set _ZN4vllm4gptq33gemm_half_q_half_gptq_8bit_kernelILb1ELi1EEEvPK6__halfPKjS6_S4_PS2_iiiibPKi.num_vgpr, 78
	.set _ZN4vllm4gptq33gemm_half_q_half_gptq_8bit_kernelILb1ELi1EEEvPK6__halfPKjS6_S4_PS2_iiiibPKi.num_agpr, 0
	.set _ZN4vllm4gptq33gemm_half_q_half_gptq_8bit_kernelILb1ELi1EEEvPK6__halfPKjS6_S4_PS2_iiiibPKi.numbered_sgpr, 21
	.set _ZN4vllm4gptq33gemm_half_q_half_gptq_8bit_kernelILb1ELi1EEEvPK6__halfPKjS6_S4_PS2_iiiibPKi.num_named_barrier, 0
	.set _ZN4vllm4gptq33gemm_half_q_half_gptq_8bit_kernelILb1ELi1EEEvPK6__halfPKjS6_S4_PS2_iiiibPKi.private_seg_size, 0
	.set _ZN4vllm4gptq33gemm_half_q_half_gptq_8bit_kernelILb1ELi1EEEvPK6__halfPKjS6_S4_PS2_iiiibPKi.uses_vcc, 1
	.set _ZN4vllm4gptq33gemm_half_q_half_gptq_8bit_kernelILb1ELi1EEEvPK6__halfPKjS6_S4_PS2_iiiibPKi.uses_flat_scratch, 0
	.set _ZN4vllm4gptq33gemm_half_q_half_gptq_8bit_kernelILb1ELi1EEEvPK6__halfPKjS6_S4_PS2_iiiibPKi.has_dyn_sized_stack, 0
	.set _ZN4vllm4gptq33gemm_half_q_half_gptq_8bit_kernelILb1ELi1EEEvPK6__halfPKjS6_S4_PS2_iiiibPKi.has_recursion, 0
	.set _ZN4vllm4gptq33gemm_half_q_half_gptq_8bit_kernelILb1ELi1EEEvPK6__halfPKjS6_S4_PS2_iiiibPKi.has_indirect_call, 0
	.section	.AMDGPU.csdata,"",@progbits
; Kernel info:
; codeLenInByte = 5692
; TotalNumSgprs: 23
; NumVgprs: 78
; ScratchSize: 0
; MemoryBound: 0
; FloatMode: 240
; IeeeMode: 1
; LDSByteSize: 256 bytes/workgroup (compile time only)
; SGPRBlocks: 0
; VGPRBlocks: 4
; NumSGPRsForWavesPerEU: 23
; NumVGPRsForWavesPerEU: 78
; NamedBarCnt: 0
; Occupancy: 12
; WaveLimiterHint : 0
; COMPUTE_PGM_RSRC2:SCRATCH_EN: 0
; COMPUTE_PGM_RSRC2:USER_SGPR: 2
; COMPUTE_PGM_RSRC2:TRAP_HANDLER: 0
; COMPUTE_PGM_RSRC2:TGID_X_EN: 1
; COMPUTE_PGM_RSRC2:TGID_Y_EN: 1
; COMPUTE_PGM_RSRC2:TGID_Z_EN: 1
; COMPUTE_PGM_RSRC2:TIDIG_COMP_CNT: 0
	.section	.text._ZN4vllm4gptq33gemm_half_q_half_gptq_2bit_kernelILb1ELi2EEEvPK6__halfPKjS6_S4_PS2_iiiibPKi,"axG",@progbits,_ZN4vllm4gptq33gemm_half_q_half_gptq_2bit_kernelILb1ELi2EEEvPK6__halfPKjS6_S4_PS2_iiiibPKi,comdat
	.protected	_ZN4vllm4gptq33gemm_half_q_half_gptq_2bit_kernelILb1ELi2EEEvPK6__halfPKjS6_S4_PS2_iiiibPKi ; -- Begin function _ZN4vllm4gptq33gemm_half_q_half_gptq_2bit_kernelILb1ELi2EEEvPK6__halfPKjS6_S4_PS2_iiiibPKi
	.globl	_ZN4vllm4gptq33gemm_half_q_half_gptq_2bit_kernelILb1ELi2EEEvPK6__halfPKjS6_S4_PS2_iiiibPKi
	.p2align	8
	.type	_ZN4vllm4gptq33gemm_half_q_half_gptq_2bit_kernelILb1ELi2EEEvPK6__halfPKjS6_S4_PS2_iiiibPKi,@function
_ZN4vllm4gptq33gemm_half_q_half_gptq_2bit_kernelILb1ELi2EEEvPK6__halfPKjS6_S4_PS2_iiiibPKi: ; @_ZN4vllm4gptq33gemm_half_q_half_gptq_2bit_kernelILb1ELi2EEEvPK6__halfPKjS6_S4_PS2_iiiibPKi
; %bb.0:
	s_load_b128 s[4:7], s[0:1], 0x2c
	s_bfe_u32 s2, ttmp6, 0x40010
	s_and_b32 s3, ttmp7, 0xffff
	s_add_co_i32 s2, s2, 1
	s_bfe_u32 s9, ttmp6, 0x40014
	s_mul_i32 s2, s3, s2
	s_bfe_u32 s8, ttmp6, 0x40004
	s_lshr_b32 s10, ttmp7, 16
	s_add_co_i32 s9, s9, 1
	s_add_co_i32 s8, s8, s2
	s_mul_i32 s2, s10, s9
	s_bfe_u32 s9, ttmp6, 0x40008
	s_getreg_b32 s17, hwreg(HW_REG_IB_STS2, 6, 4)
	s_add_co_i32 s9, s9, s2
	s_cmp_eq_u32 s17, 0
	s_mov_b32 s12, exec_lo
	s_cselect_b32 s2, s10, s9
	s_cselect_b32 s8, s3, s8
	s_lshl_b32 s15, s2, 7
	s_lshl_b32 s14, s8, 1
	s_add_co_i32 s2, s15, 0x80
	s_delay_alu instid0(SALU_CYCLE_1) | instskip(SKIP_3) | instid1(VALU_DEP_1)
	v_cvt_f64_u32_e32 v[2:3], s2
	s_load_b64 s[2:3], s[0:1], 0x10
	s_wait_kmcnt 0x0
	v_cvt_f64_i32_e32 v[4:5], s5
	v_min_num_f64_e32 v[2:3], v[2:3], v[4:5]
	s_delay_alu instid0(VALU_DEP_1) | instskip(SKIP_1) | instid1(VALU_DEP_2)
	v_cvt_i32_f64_e32 v1, v[2:3]
	v_add_nc_u32_e32 v2, s15, v0
	v_readfirstlane_b32 s16, v1
	s_delay_alu instid0(VALU_DEP_2)
	v_cmpx_lt_u32_e64 v2, v1
	s_cbranch_execz .LBB19_6
; %bb.1:
	s_clause 0x1
	s_load_b64 s[10:11], s[0:1], 0x40
	s_load_b64 s[8:9], s[0:1], 0x0
	v_mov_b32_e32 v3, 0
	s_delay_alu instid0(VALU_DEP_1)
	v_mov_b64_e32 v[6:7], v[2:3]
	s_wait_kmcnt 0x0
	v_lshl_add_u64 v[4:5], v[2:3], 2, s[10:11]
	s_cmp_lg_u64 s[10:11], 0
	s_cselect_b32 s13, -1, 0
	s_cmp_eq_u64 s[10:11], 0
	s_cbranch_scc1 .LBB19_3
; %bb.2:
	global_load_b32 v6, v[4:5], off
	s_wait_loadcnt 0x0
	v_ashrrev_i32_e32 v7, 31, v6
.LBB19_3:
	s_mul_i32 s10, s14, s5
	v_lshlrev_b32_e32 v1, 1, v0
	s_ashr_i32 s11, s10, 31
	s_and_not1_b32 vcc_lo, exec_lo, s13
	s_lshl_b64 s[18:19], s[10:11], 1
	s_delay_alu instid0(SALU_CYCLE_1) | instskip(NEXT) | instid1(SALU_CYCLE_1)
	s_add_nc_u64 s[18:19], s[8:9], s[18:19]
	v_lshl_add_u64 v[6:7], v[6:7], 1, s[18:19]
	global_load_u16 v6, v[6:7], off
	s_wait_loadcnt 0x0
	ds_store_b16 v1, v6
	s_cbranch_vccnz .LBB19_5
; %bb.4:
	global_load_b32 v2, v[4:5], off
	s_wait_loadcnt 0x0
	v_ashrrev_i32_e32 v3, 31, v2
.LBB19_5:
	s_add_co_i32 s10, s10, s5
	s_delay_alu instid0(SALU_CYCLE_1) | instskip(NEXT) | instid1(SALU_CYCLE_1)
	s_ashr_i32 s11, s10, 31
	s_lshl_b64 s[10:11], s[10:11], 1
	s_delay_alu instid0(SALU_CYCLE_1) | instskip(NEXT) | instid1(SALU_CYCLE_1)
	s_add_nc_u64 s[8:9], s[8:9], s[10:11]
	v_lshl_add_u64 v[2:3], v[2:3], 1, s[8:9]
	global_load_u16 v2, v[2:3], off
	s_wait_loadcnt 0x0
	ds_store_b16 v1, v2 offset:256
.LBB19_6:
	s_or_b32 exec_lo, exec_lo, s12
	s_clause 0x1
	s_load_b64 s[12:13], s[0:1], 0x8
	s_load_b128 s[8:11], s[0:1], 0x18
	s_wait_xcnt 0x0
	s_bfe_u32 s0, ttmp6, 0x4000c
	s_and_b32 s1, ttmp6, 15
	s_add_co_i32 s0, s0, 1
	v_lshlrev_b32_e32 v1, 2, v0
	s_mul_i32 s0, ttmp9, s0
	s_delay_alu instid0(SALU_CYCLE_1)
	s_add_co_i32 s1, s1, s0
	s_cmp_eq_u32 s17, 0
	s_cselect_b32 s0, ttmp9, s1
	s_mov_b32 s1, 0
	v_lshl_add_u32 v2, s0, 9, v1
	s_mov_b32 s0, exec_lo
	s_delay_alu instid0(VALU_DEP_1)
	v_cmpx_gt_i32_e64 s4, v2
	s_cbranch_execz .LBB19_20
; %bb.7:
	s_abs_i32 s17, s6
	v_dual_mov_b32 v12, 0 :: v_dual_mov_b32 v10, 0
	s_cvt_f32_u32 s0, s17
	v_dual_mov_b32 v9, 0 :: v_dual_mov_b32 v8, 0
	s_cmp_ge_i32 s15, s16
	s_delay_alu instid0(SALU_CYCLE_1) | instskip(SKIP_4) | instid1(TRANS32_DEP_1)
	v_rcp_iflag_f32_e32 v1, s0
	s_wait_dscnt 0x0
	s_barrier_signal -1
	s_barrier_wait -1
	v_nop
	v_readfirstlane_b32 s0, v1
	s_cbranch_scc1 .LBB19_12
; %bb.8:
	s_mul_f32 s0, s0, 0x4f7ffffe
	s_ashr_i32 s6, s6, 31
	v_dual_mov_b32 v8, 0 :: v_dual_ashrrev_i32 v3, 31, v2
	v_mov_b32_e32 v9, 0
	s_cvt_u32_f32 s18, s0
	s_sub_co_i32 s0, 0, s17
	v_dual_mov_b32 v10, 0 :: v_dual_lshlrev_b32 v7, 3, v0
	s_delay_alu instid0(SALU_CYCLE_1)
	s_mul_i32 s19, s0, s18
	s_abs_i32 s0, s5
	s_mul_hi_u32 s20, s18, s19
	s_mov_b32 s19, s1
	s_add_co_i32 s18, s18, s20
	s_ashr_i32 s5, s5, 31
	s_mul_u64 s[18:19], s[0:1], s[18:19]
	s_xor_b32 s5, s5, s6
	s_mul_i32 s18, s19, s17
	s_add_co_i32 s6, s19, 1
	s_sub_co_i32 s0, s0, s18
	v_and_b32_e32 v13, 24, v7
	s_sub_co_i32 s18, s0, s17
	s_cmp_ge_u32 s0, s17
	v_mov_b32_e32 v12, 0
	s_cselect_b32 s6, s6, s19
	s_cselect_b32 s0, s18, s0
	s_add_co_i32 s18, s6, 1
	s_cmp_ge_u32 s0, s17
	s_mov_b32 s19, 0x30003
	s_cselect_b32 s0, s18, s6
	s_mov_b32 s18, 0x10001
	s_xor_b32 s0, s0, s5
	s_delay_alu instid0(SALU_CYCLE_1)
	s_sub_co_i32 s0, s0, s5
	s_bitcmp1_b32 s7, 0
	s_cvt_f32_u32 s5, s0
	s_cselect_b32 s6, -1, 0
	s_sub_co_i32 s7, 0, s0
	s_xor_b32 s20, s6, -1
	v_rcp_iflag_f32_e32 v1, s5
	v_cndmask_b32_e64 v14, 0, 1, s20
	s_mov_b32 s20, 0xc000c0
	s_delay_alu instid0(TRANS32_DEP_1) | instskip(SKIP_1) | instid1(SALU_CYCLE_3)
	v_readfirstlane_b32 s5, v1
	s_mul_f32 s5, s5, 0x4f7ffffe
	s_cvt_u32_f32 s5, s5
	s_delay_alu instid0(SALU_CYCLE_3) | instskip(NEXT) | instid1(SALU_CYCLE_1)
	s_mul_i32 s7, s7, s5
	s_mul_hi_u32 s7, s5, s7
	s_delay_alu instid0(SALU_CYCLE_1) | instskip(NEXT) | instid1(SALU_CYCLE_1)
	s_add_co_i32 s5, s5, s7
	s_mul_hi_u32 s5, s15, s5
	s_delay_alu instid0(SALU_CYCLE_1) | instskip(NEXT) | instid1(SALU_CYCLE_1)
	s_mul_i32 s7, s5, s0
	s_sub_co_i32 s6, s15, s7
	s_add_co_i32 s7, s5, 1
	s_sub_co_i32 s17, s6, s0
	s_cmp_ge_u32 s6, s0
	s_cselect_b32 s5, s7, s5
	s_cselect_b32 s6, s17, s6
	s_add_co_i32 s7, s5, 1
	s_cmp_ge_u32 s6, s0
	s_cselect_b32 s17, s7, s5
	s_delay_alu instid0(SALU_CYCLE_1) | instskip(NEXT) | instid1(SALU_CYCLE_1)
	s_mul_i32 s5, s17, s4
	v_dual_lshrrev_b32 v1, 28, v3 :: v_dual_add_nc_u32 v4, s5, v2
	s_ashr_i32 s6, s5, 31
	s_delay_alu instid0(SALU_CYCLE_1) | instskip(NEXT) | instid1(VALU_DEP_1)
	s_lshr_b32 s6, s6, 28
	v_add_nc_u32_e32 v1, v2, v1
	s_add_co_i32 s6, s5, s6
	v_ashrrev_i32_e32 v5, 31, v4
	s_ashr_i32 s6, s6, 4
	s_lshr_b32 s5, s15, 4
	v_ashrrev_i32_e32 v11, 4, v1
	s_wait_kmcnt 0x0
	v_lshl_add_u64 v[4:5], v[4:5], 1, s[8:9]
	s_delay_alu instid0(VALU_DEP_2)
	v_add_nc_u32_e32 v1, s6, v11
	s_mul_i32 s6, s4, s5
	global_load_b64 v[4:5], v[4:5], off
	s_ashr_i32 s7, s6, 31
	s_ashr_i32 s5, s4, 31
	global_load_b32 v6, v1, s[2:3] scale_offset
	s_lshl_b64 s[6:7], s[6:7], 2
	s_delay_alu instid0(SALU_CYCLE_1)
	s_add_nc_u64 s[6:7], s[12:13], s[6:7]
	s_add_co_i32 s12, s0, s15
	s_wait_xcnt 0x0
	v_lshl_add_u64 v[0:1], v[2:3], 2, s[6:7]
	s_lshl_b64 s[6:7], s[4:5], 2
	s_mov_b32 s5, 0xc000c
	s_mov_b32 s13, 0x300030
	s_delay_alu instid0(VALU_DEP_1) | instskip(SKIP_3) | instid1(VALU_DEP_2)
	v_add_nc_u64_e32 v[0:1], 8, v[0:1]
	s_wait_loadcnt 0x0
	v_lshrrev_b32_e32 v7, v7, v6
	v_bfe_u32 v3, v6, v13, 2
	v_bfe_u32 v15, v7, 2, 2
	;; [unrolled: 1-line block ×4, first 2 shown]
	s_branch .LBB19_10
.LBB19_9:                               ;   in Loop: Header=BB19_10 Depth=1
	v_dual_add_nc_u32 v6, v3, v14 :: v_dual_mov_b32 v58, s1
	s_add_co_i32 s15, s15, 16
	s_add_co_i32 s1, s1, 32
	s_cmp_ge_i32 s15, s16
	s_delay_alu instid0(VALU_DEP_1) | instskip(NEXT) | instid1(VALU_DEP_1)
	v_cvt_f32_i32_e32 v7, v6
	v_cvt_f16_f32_e32 v7, v7
	s_delay_alu instid0(VALU_DEP_1) | instskip(SKIP_2) | instid1(VALU_DEP_3)
	v_sub_f16_e32 v18, 0xdc00, v7
	v_sub_f16_e32 v19, 0xd400, v7
	;; [unrolled: 1-line block ×3, first 2 shown]
	v_and_b32_e32 v18, 0xffff, v18
	s_delay_alu instid0(VALU_DEP_2) | instskip(NEXT) | instid1(VALU_DEP_2)
	v_and_b32_e32 v7, 0xffff, v7
	v_mul_u32_u24_e32 v22, 0x10001, v18
	v_and_b32_e32 v18, 0xffff, v19
	s_delay_alu instid0(VALU_DEP_3) | instskip(NEXT) | instid1(VALU_DEP_2)
	v_mul_u32_u24_e32 v7, 0x10001, v7
	v_mul_u32_u24_e32 v23, 0x10001, v18
	v_add_nc_u32_e32 v18, v15, v14
	s_delay_alu instid0(VALU_DEP_1) | instskip(SKIP_1) | instid1(VALU_DEP_2)
	v_cvt_f32_i32_e32 v19, v18
	v_and_b32_e32 v18, 0x1bff, v18
	v_cvt_f16_f32_e32 v19, v19
	s_delay_alu instid0(VALU_DEP_2) | instskip(NEXT) | instid1(VALU_DEP_2)
	v_mad_u32_u24 v24, v18, s18, 0xe400e400
	v_sub_f16_e32 v20, 0xdc00, v19
	v_sub_f16_e32 v21, 0xd400, v19
	;; [unrolled: 1-line block ×3, first 2 shown]
	s_delay_alu instid0(VALU_DEP_3) | instskip(NEXT) | instid1(VALU_DEP_1)
	v_and_b32_e32 v18, 0xffff, v20
	v_mul_u32_u24_e32 v25, 0x10001, v18
	s_delay_alu instid0(VALU_DEP_4) | instskip(NEXT) | instid1(VALU_DEP_1)
	v_and_b32_e32 v18, 0xffff, v21
	v_mul_u32_u24_e32 v26, 0x10001, v18
	v_and_b32_e32 v18, 0xffff, v19
	s_delay_alu instid0(VALU_DEP_1) | instskip(SKIP_2) | instid1(VALU_DEP_2)
	v_mul_u32_u24_e32 v27, 0x10001, v18
	v_add_nc_u32_e32 v18, v16, v14
	v_and_b32_e32 v6, 0x1bff, v6
	v_cvt_f32_i32_e32 v19, v18
	v_and_b32_e32 v18, 0x1bff, v18
	s_delay_alu instid0(VALU_DEP_3) | instskip(NEXT) | instid1(VALU_DEP_3)
	v_mad_u32_u24 v6, v6, s18, 0xe400e400
	v_cvt_f16_f32_e32 v19, v19
	s_delay_alu instid0(VALU_DEP_3) | instskip(NEXT) | instid1(VALU_DEP_2)
	v_mad_u32_u24 v28, v18, s18, 0xe400e400
	v_sub_f16_e32 v20, 0xdc00, v19
	v_sub_f16_e32 v21, 0xd400, v19
	;; [unrolled: 1-line block ×3, first 2 shown]
	s_delay_alu instid0(VALU_DEP_3) | instskip(NEXT) | instid1(VALU_DEP_1)
	v_and_b32_e32 v18, 0xffff, v20
	v_mul_u32_u24_e32 v29, 0x10001, v18
	s_delay_alu instid0(VALU_DEP_4) | instskip(NEXT) | instid1(VALU_DEP_1)
	v_and_b32_e32 v18, 0xffff, v21
	v_mul_u32_u24_e32 v30, 0x10001, v18
	v_and_b32_e32 v18, 0xffff, v19
	s_delay_alu instid0(VALU_DEP_1) | instskip(SKIP_1) | instid1(VALU_DEP_1)
	v_mul_u32_u24_e32 v31, 0x10001, v18
	v_add_nc_u32_e32 v18, v17, v14
	v_cvt_f32_i32_e32 v19, v18
	v_and_b32_e32 v18, 0x1bff, v18
	s_delay_alu instid0(VALU_DEP_2) | instskip(NEXT) | instid1(VALU_DEP_2)
	v_cvt_f16_f32_e32 v19, v19
	v_mad_u32_u24 v48, v18, s18, 0xe400e400
	s_delay_alu instid0(VALU_DEP_2) | instskip(SKIP_2) | instid1(VALU_DEP_3)
	v_sub_f16_e32 v20, 0xdc00, v19
	v_sub_f16_e32 v21, 0xd400, v19
	;; [unrolled: 1-line block ×3, first 2 shown]
	v_and_b32_e32 v18, 0xffff, v20
	s_delay_alu instid0(VALU_DEP_1) | instskip(NEXT) | instid1(VALU_DEP_4)
	v_mul_u32_u24_e32 v49, 0x10001, v18
	v_and_b32_e32 v18, 0xffff, v21
	s_delay_alu instid0(VALU_DEP_1) | instskip(SKIP_1) | instid1(VALU_DEP_1)
	v_mul_u32_u24_e32 v50, 0x10001, v18
	v_and_b32_e32 v18, 0xffff, v19
	v_mul_u32_u24_e32 v51, 0x10001, v18
	global_load_b128 v[18:21], v[0:1], off offset:-8
	s_wait_xcnt 0x0
	v_add_nc_u64_e32 v[0:1], s[6:7], v[0:1]
	s_wait_loadcnt 0x0
	v_and_or_b32 v32, v18, s19, 0x64006400
	v_and_or_b32 v33, v18, s5, 0x64006400
	v_and_or_b32 v34, v18, s13, 0x64006400
	v_and_or_b32 v35, v18, s20, 0x64006400
	v_lshrrev_b32_e32 v18, 8, v18
	v_pk_add_f16 v56, v6, v32
	v_pk_fma_f16 v57, 0x3400, v33, v22 op_sel_hi:[0,1,1]
	v_pk_fma_f16 v46, 0x2c00, v34, v23 op_sel_hi:[0,1,1]
	;; [unrolled: 1-line block ×3, first 2 shown]
	v_and_or_b32 v36, v18, s19, 0x64006400
	v_and_or_b32 v37, v18, s5, 0x64006400
	;; [unrolled: 1-line block ×4, first 2 shown]
	s_delay_alu instid0(VALU_DEP_4) | instskip(NEXT) | instid1(VALU_DEP_4)
	v_pk_add_f16 v36, v6, v36
	v_pk_fma_f16 v37, 0x3400, v37, v22 op_sel_hi:[0,1,1]
	v_and_or_b32 v6, v19, s19, 0x64006400
	s_delay_alu instid0(VALU_DEP_4)
	v_pk_fma_f16 v35, 0x2400, v18, v7 op_sel_hi:[0,1,1]
	v_and_or_b32 v7, v19, s5, 0x64006400
	v_and_or_b32 v18, v19, s13, 0x64006400
	v_and_or_b32 v22, v19, s20, 0x64006400
	v_lshrrev_b32_e32 v19, 8, v19
	v_pk_fma_f16 v34, 0x2c00, v38, v23 op_sel_hi:[0,1,1]
	v_pk_add_f16 v38, v24, v6
	v_pk_fma_f16 v39, 0x3400, v7, v25 op_sel_hi:[0,1,1]
	v_pk_fma_f16 v40, 0x2c00, v18, v26 op_sel_hi:[0,1,1]
	v_and_or_b32 v23, v19, s19, 0x64006400
	v_and_or_b32 v32, v19, s5, 0x64006400
	v_and_or_b32 v33, v19, s13, 0x64006400
	v_and_or_b32 v19, v19, s20, 0x64006400
	v_and_or_b32 v6, v20, s19, 0x64006400
	v_and_or_b32 v7, v20, s5, 0x64006400
	v_and_or_b32 v18, v20, s13, 0x64006400
	v_pk_fma_f16 v41, 0x2400, v22, v27 op_sel_hi:[0,1,1]
	v_pk_fma_f16 v45, 0x2400, v19, v27 op_sel_hi:[0,1,1]
	v_and_or_b32 v19, v20, s20, 0x64006400
	v_lshrrev_b32_e32 v20, 8, v20
	v_pk_add_f16 v42, v24, v23
	v_pk_fma_f16 v43, 0x3400, v32, v25 op_sel_hi:[0,1,1]
	v_pk_add_f16 v24, v28, v6
	v_pk_fma_f16 v25, 0x3400, v7, v29 op_sel_hi:[0,1,1]
	v_and_or_b32 v22, v20, s19, 0x64006400
	v_and_or_b32 v23, v20, s5, 0x64006400
	;; [unrolled: 1-line block ×6, first 2 shown]
	v_pk_fma_f16 v44, 0x2c00, v33, v26 op_sel_hi:[0,1,1]
	v_pk_fma_f16 v26, 0x2c00, v18, v30 op_sel_hi:[0,1,1]
	;; [unrolled: 1-line block ×5, first 2 shown]
	v_lshrrev_b32_e32 v20, 8, v21
	v_pk_add_f16 v32, v48, v6
	v_pk_fma_f16 v33, 0x3400, v7, v49 op_sel_hi:[0,1,1]
	ds_load_2addr_b32 v[6:7], v58 offset1:1
	v_and_or_b32 v18, v21, s13, 0x64006400
	v_and_or_b32 v19, v21, s20, 0x64006400
	;; [unrolled: 1-line block ×4, first 2 shown]
	v_pk_add_f16 v28, v28, v22
	v_pk_fma_f16 v29, 0x3400, v23, v29 op_sel_hi:[0,1,1]
	v_pk_fma_f16 v23, 0x2c00, v18, v50 op_sel_hi:[0,1,1]
	;; [unrolled: 1-line block ×5, first 2 shown]
	ds_load_2addr_b32 v[50:51], v58 offset0:2 offset1:3
	ds_load_2addr_b32 v[54:55], v58 offset0:6 offset1:7
	v_and_or_b32 v21, v20, s19, 0x64006400
	v_and_or_b32 v52, v20, s5, 0x64006400
	s_delay_alu instid0(VALU_DEP_2) | instskip(NEXT) | instid1(VALU_DEP_2)
	v_pk_add_f16 v21, v48, v21
	v_pk_fma_f16 v20, 0x3400, v52, v49 op_sel_hi:[0,1,1]
	ds_load_2addr_b32 v[52:53], v58 offset0:4 offset1:5
	s_wait_dscnt 0x3
	v_pk_fma_f16 v48, v56, v6, 0
	s_delay_alu instid0(VALU_DEP_1) | instskip(SKIP_1) | instid1(VALU_DEP_1)
	v_pk_fma_f16 v48, v57, v7, v48
	s_wait_dscnt 0x2
	v_pk_fma_f16 v48, v46, v50, v48
	s_delay_alu instid0(VALU_DEP_1) | instskip(SKIP_1) | instid1(VALU_DEP_1)
	v_pk_fma_f16 v48, v47, v51, v48
	s_wait_dscnt 0x0
	v_pk_fma_f16 v48, v36, v52, v48
	s_delay_alu instid0(VALU_DEP_1) | instskip(NEXT) | instid1(VALU_DEP_1)
	v_pk_fma_f16 v48, v37, v53, v48
	v_pk_fma_f16 v48, v34, v54, v48
	s_delay_alu instid0(VALU_DEP_1) | instskip(SKIP_1) | instid1(VALU_DEP_1)
	v_pk_fma_f16 v59, v35, v55, v48
	v_pk_fma_f16 v48, v38, v6, 0
	;; [unrolled: 1-line block ×3, first 2 shown]
	s_delay_alu instid0(VALU_DEP_1) | instskip(NEXT) | instid1(VALU_DEP_1)
	v_pk_fma_f16 v48, v40, v50, v48
	v_pk_fma_f16 v48, v41, v51, v48
	s_delay_alu instid0(VALU_DEP_1) | instskip(NEXT) | instid1(VALU_DEP_1)
	v_pk_fma_f16 v48, v42, v52, v48
	v_pk_fma_f16 v48, v43, v53, v48
	;; [unrolled: 3-line block ×3, first 2 shown]
	v_pk_fma_f16 v48, v24, v6, 0
	v_pk_fma_f16 v6, v32, v6, 0
	s_delay_alu instid0(VALU_DEP_2) | instskip(NEXT) | instid1(VALU_DEP_2)
	v_pk_fma_f16 v48, v25, v7, v48
	v_pk_fma_f16 v6, v33, v7, v6
	s_delay_alu instid0(VALU_DEP_2) | instskip(NEXT) | instid1(VALU_DEP_2)
	;; [unrolled: 3-line block ×7, first 2 shown]
	v_pk_fma_f16 v48, v31, v55, v48
	v_pk_fma_f16 v49, v18, v55, v6
	ds_load_2addr_b32 v[6:7], v58 offset0:64 offset1:65
	s_wait_dscnt 0x0
	v_pk_fma_f16 v50, v56, v6, 0
	v_pk_fma_f16 v24, v24, v6, 0
	s_delay_alu instid0(VALU_DEP_2) | instskip(SKIP_4) | instid1(VALU_DEP_2)
	v_pk_fma_f16 v52, v57, v7, v50
	ds_load_2addr_b32 v[50:51], v58 offset0:66 offset1:67
	v_pk_fma_f16 v24, v25, v7, v24
	s_wait_dscnt 0x0
	v_pk_fma_f16 v46, v46, v50, v52
	v_pk_fma_f16 v24, v26, v50, v24
	s_delay_alu instid0(VALU_DEP_2) | instskip(SKIP_4) | instid1(VALU_DEP_2)
	v_pk_fma_f16 v52, v47, v51, v46
	ds_load_2addr_b32 v[46:47], v58 offset0:68 offset1:69
	v_pk_fma_f16 v24, v27, v51, v24
	;; [unrolled: 7-line block ×3, first 2 shown]
	s_wait_dscnt 0x0
	v_pk_fma_f16 v34, v34, v36, v52
	v_pk_fma_f16 v24, v30, v36, v24
	s_delay_alu instid0(VALU_DEP_2) | instskip(SKIP_4) | instid1(VALU_DEP_4)
	v_pk_fma_f16 v34, v35, v37, v34
	v_pk_fma_f16 v35, v38, v6, 0
	;; [unrolled: 1-line block ×3, first 2 shown]
	v_pack_b32_f16 v38, v59, v60
	v_pk_fma_f16 v24, v31, v37, v24
	v_pk_fma_f16 v35, v39, v7, v35
	s_delay_alu instid0(VALU_DEP_4) | instskip(SKIP_2) | instid1(VALU_DEP_4)
	v_pk_fma_f16 v6, v33, v7, v6
	v_perm_b32 v39, v60, v59, 0x7060302
	v_pack_b32_f16 v7, v48, v49
	v_pk_fma_f16 v35, v40, v50, v35
	s_delay_alu instid0(VALU_DEP_4) | instskip(NEXT) | instid1(VALU_DEP_4)
	v_pk_fma_f16 v6, v23, v50, v6
	v_pk_add_f16 v38, v38, v39
	s_delay_alu instid0(VALU_DEP_3) | instskip(NEXT) | instid1(VALU_DEP_3)
	v_pk_fma_f16 v35, v41, v51, v35
	v_pk_fma_f16 v6, v22, v51, v6
	s_delay_alu instid0(VALU_DEP_3) | instskip(NEXT) | instid1(VALU_DEP_3)
	v_pk_fma_f16 v12, v38, v4, v12
	v_pk_fma_f16 v35, v42, v46, v35
	s_delay_alu instid0(VALU_DEP_3) | instskip(NEXT) | instid1(VALU_DEP_2)
	v_pk_fma_f16 v6, v21, v46, v6
	v_pk_fma_f16 v35, v43, v47, v35
	s_delay_alu instid0(VALU_DEP_2) | instskip(NEXT) | instid1(VALU_DEP_2)
	v_pk_fma_f16 v6, v20, v47, v6
	v_pk_fma_f16 v35, v44, v36, v35
	s_delay_alu instid0(VALU_DEP_2) | instskip(NEXT) | instid1(VALU_DEP_2)
	v_pk_fma_f16 v6, v19, v36, v6
	v_pk_fma_f16 v35, v45, v37, v35
	s_delay_alu instid0(VALU_DEP_2) | instskip(SKIP_1) | instid1(VALU_DEP_3)
	v_pk_fma_f16 v6, v18, v37, v6
	v_perm_b32 v18, v49, v48, 0x7060302
	v_pack_b32_f16 v38, v34, v35
	v_perm_b32 v34, v35, v34, 0x7060302
	s_delay_alu instid0(VALU_DEP_3) | instskip(NEXT) | instid1(VALU_DEP_2)
	v_pk_add_f16 v7, v7, v18
	v_pk_add_f16 v34, v38, v34
	s_delay_alu instid0(VALU_DEP_2) | instskip(SKIP_2) | instid1(VALU_DEP_4)
	v_pk_fma_f16 v10, v7, v5, v10
	v_pack_b32_f16 v7, v24, v6
	v_perm_b32 v6, v6, v24, 0x7060302
	v_pk_fma_f16 v9, v34, v4, v9
	s_delay_alu instid0(VALU_DEP_2) | instskip(NEXT) | instid1(VALU_DEP_1)
	v_pk_add_f16 v6, v7, v6
	v_pk_fma_f16 v8, v6, v5, v8
	s_cbranch_scc1 .LBB19_12
.LBB19_10:                              ; =>This Inner Loop Header: Depth=1
	s_cmp_lg_u32 s15, s12
	s_cbranch_scc1 .LBB19_9
; %bb.11:                               ;   in Loop: Header=BB19_10 Depth=1
	s_add_co_i32 s17, s17, 1
	s_add_co_i32 s12, s12, s0
	s_mul_i32 s21, s17, s4
	s_delay_alu instid0(SALU_CYCLE_1) | instskip(SKIP_2) | instid1(SALU_CYCLE_1)
	s_ashr_i32 s22, s21, 31
	v_add_nc_u32_e32 v4, s21, v2
	s_lshr_b32 s22, s22, 28
	s_add_co_i32 s22, s21, s22
	s_delay_alu instid0(SALU_CYCLE_1) | instskip(NEXT) | instid1(SALU_CYCLE_1)
	s_ashr_i32 s22, s22, 4
	v_add_nc_u32_e32 v3, s22, v11
	global_load_b32 v3, v3, s[2:3] scale_offset
	s_wait_loadcnt 0x0
	v_dual_ashrrev_i32 v5, 31, v4 :: v_dual_lshrrev_b32 v6, v13, v3
	s_delay_alu instid0(VALU_DEP_1) | instskip(SKIP_1) | instid1(VALU_DEP_3)
	v_lshl_add_u64 v[4:5], v[4:5], 1, s[8:9]
	v_bfe_u32 v3, v3, v13, 2
	v_bfe_u32 v15, v6, 2, 2
	global_load_b64 v[4:5], v[4:5], off
	v_bfe_u32 v16, v6, 4, 2
	v_bfe_u32 v17, v6, 6, 2
	s_branch .LBB19_9
.LBB19_12:
	v_mad_u32 v0, s14, s4, v2
	s_mov_b32 s0, 0
	s_delay_alu instid0(VALU_DEP_1) | instskip(SKIP_1) | instid1(VALU_DEP_1)
	v_ashrrev_i32_e32 v1, 31, v0
	s_wait_kmcnt 0x0
	v_lshl_add_u64 v[2:3], v[0:1], 1, s[10:11]
	global_load_b32 v5, v[2:3], off
.LBB19_13:                              ; =>This Inner Loop Header: Depth=1
	s_wait_loadcnt 0x0
	v_pk_add_f16 v4, v12, v5
	global_atomic_cmpswap_b32 v1, v[2:3], v[4:5], off th:TH_ATOMIC_RETURN scope:SCOPE_DEV
	s_wait_loadcnt 0x0
	v_cmp_eq_u32_e32 vcc_lo, v5, v1
	v_mov_b32_e32 v5, v1
	s_or_b32 s0, vcc_lo, s0
	s_delay_alu instid0(SALU_CYCLE_1)
	s_and_not1_b32 exec_lo, exec_lo, s0
	s_cbranch_execnz .LBB19_13
; %bb.14:
	s_or_b32 exec_lo, exec_lo, s0
	global_load_b32 v5, v[2:3], off offset:4
	s_mov_b32 s0, 0
.LBB19_15:                              ; =>This Inner Loop Header: Depth=1
	s_wait_loadcnt 0x0
	v_pk_add_f16 v4, v10, v5
	global_atomic_cmpswap_b32 v1, v[2:3], v[4:5], off offset:4 th:TH_ATOMIC_RETURN scope:SCOPE_DEV
	s_wait_loadcnt 0x0
	v_cmp_eq_u32_e32 vcc_lo, v5, v1
	v_mov_b32_e32 v5, v1
	s_or_b32 s0, vcc_lo, s0
	s_delay_alu instid0(SALU_CYCLE_1)
	s_and_not1_b32 exec_lo, exec_lo, s0
	s_cbranch_execnz .LBB19_15
; %bb.16:
	s_or_b32 exec_lo, exec_lo, s0
	v_add_nc_u32_e32 v0, s4, v0
	s_mov_b32 s0, 0
	s_delay_alu instid0(VALU_DEP_1) | instskip(NEXT) | instid1(VALU_DEP_1)
	v_ashrrev_i32_e32 v1, 31, v0
	v_lshl_add_u64 v[0:1], v[0:1], 1, s[10:11]
	global_load_b32 v3, v[0:1], off
.LBB19_17:                              ; =>This Inner Loop Header: Depth=1
	s_wait_loadcnt 0x0
	v_pk_add_f16 v2, v9, v3
	global_atomic_cmpswap_b32 v2, v[0:1], v[2:3], off th:TH_ATOMIC_RETURN scope:SCOPE_DEV
	s_wait_loadcnt 0x0
	v_cmp_eq_u32_e32 vcc_lo, v3, v2
	v_mov_b32_e32 v3, v2
	s_or_b32 s0, vcc_lo, s0
	s_delay_alu instid0(SALU_CYCLE_1)
	s_and_not1_b32 exec_lo, exec_lo, s0
	s_cbranch_execnz .LBB19_17
; %bb.18:
	s_or_b32 exec_lo, exec_lo, s0
	global_load_b32 v3, v[0:1], off offset:4
	s_mov_b32 s0, 0
.LBB19_19:                              ; =>This Inner Loop Header: Depth=1
	s_wait_loadcnt 0x0
	v_pk_add_f16 v2, v8, v3
	global_atomic_cmpswap_b32 v2, v[0:1], v[2:3], off offset:4 th:TH_ATOMIC_RETURN scope:SCOPE_DEV
	s_wait_loadcnt 0x0
	v_cmp_eq_u32_e32 vcc_lo, v3, v2
	v_mov_b32_e32 v3, v2
	s_or_b32 s0, vcc_lo, s0
	s_delay_alu instid0(SALU_CYCLE_1)
	s_and_not1_b32 exec_lo, exec_lo, s0
	s_cbranch_execnz .LBB19_19
.LBB19_20:
	s_endpgm
	.section	.rodata,"a",@progbits
	.p2align	6, 0x0
	.amdhsa_kernel _ZN4vllm4gptq33gemm_half_q_half_gptq_2bit_kernelILb1ELi2EEEvPK6__halfPKjS6_S4_PS2_iiiibPKi
		.amdhsa_group_segment_fixed_size 512
		.amdhsa_private_segment_fixed_size 0
		.amdhsa_kernarg_size 72
		.amdhsa_user_sgpr_count 2
		.amdhsa_user_sgpr_dispatch_ptr 0
		.amdhsa_user_sgpr_queue_ptr 0
		.amdhsa_user_sgpr_kernarg_segment_ptr 1
		.amdhsa_user_sgpr_dispatch_id 0
		.amdhsa_user_sgpr_kernarg_preload_length 0
		.amdhsa_user_sgpr_kernarg_preload_offset 0
		.amdhsa_user_sgpr_private_segment_size 0
		.amdhsa_wavefront_size32 1
		.amdhsa_uses_dynamic_stack 0
		.amdhsa_enable_private_segment 0
		.amdhsa_system_sgpr_workgroup_id_x 1
		.amdhsa_system_sgpr_workgroup_id_y 1
		.amdhsa_system_sgpr_workgroup_id_z 1
		.amdhsa_system_sgpr_workgroup_info 0
		.amdhsa_system_vgpr_workitem_id 0
		.amdhsa_next_free_vgpr 61
		.amdhsa_next_free_sgpr 23
		.amdhsa_named_barrier_count 0
		.amdhsa_reserve_vcc 1
		.amdhsa_float_round_mode_32 0
		.amdhsa_float_round_mode_16_64 0
		.amdhsa_float_denorm_mode_32 3
		.amdhsa_float_denorm_mode_16_64 3
		.amdhsa_fp16_overflow 0
		.amdhsa_memory_ordered 1
		.amdhsa_forward_progress 1
		.amdhsa_inst_pref_size 29
		.amdhsa_round_robin_scheduling 0
		.amdhsa_exception_fp_ieee_invalid_op 0
		.amdhsa_exception_fp_denorm_src 0
		.amdhsa_exception_fp_ieee_div_zero 0
		.amdhsa_exception_fp_ieee_overflow 0
		.amdhsa_exception_fp_ieee_underflow 0
		.amdhsa_exception_fp_ieee_inexact 0
		.amdhsa_exception_int_div_zero 0
	.end_amdhsa_kernel
	.section	.text._ZN4vllm4gptq33gemm_half_q_half_gptq_2bit_kernelILb1ELi2EEEvPK6__halfPKjS6_S4_PS2_iiiibPKi,"axG",@progbits,_ZN4vllm4gptq33gemm_half_q_half_gptq_2bit_kernelILb1ELi2EEEvPK6__halfPKjS6_S4_PS2_iiiibPKi,comdat
.Lfunc_end19:
	.size	_ZN4vllm4gptq33gemm_half_q_half_gptq_2bit_kernelILb1ELi2EEEvPK6__halfPKjS6_S4_PS2_iiiibPKi, .Lfunc_end19-_ZN4vllm4gptq33gemm_half_q_half_gptq_2bit_kernelILb1ELi2EEEvPK6__halfPKjS6_S4_PS2_iiiibPKi
                                        ; -- End function
	.set _ZN4vllm4gptq33gemm_half_q_half_gptq_2bit_kernelILb1ELi2EEEvPK6__halfPKjS6_S4_PS2_iiiibPKi.num_vgpr, 61
	.set _ZN4vllm4gptq33gemm_half_q_half_gptq_2bit_kernelILb1ELi2EEEvPK6__halfPKjS6_S4_PS2_iiiibPKi.num_agpr, 0
	.set _ZN4vllm4gptq33gemm_half_q_half_gptq_2bit_kernelILb1ELi2EEEvPK6__halfPKjS6_S4_PS2_iiiibPKi.numbered_sgpr, 23
	.set _ZN4vllm4gptq33gemm_half_q_half_gptq_2bit_kernelILb1ELi2EEEvPK6__halfPKjS6_S4_PS2_iiiibPKi.num_named_barrier, 0
	.set _ZN4vllm4gptq33gemm_half_q_half_gptq_2bit_kernelILb1ELi2EEEvPK6__halfPKjS6_S4_PS2_iiiibPKi.private_seg_size, 0
	.set _ZN4vllm4gptq33gemm_half_q_half_gptq_2bit_kernelILb1ELi2EEEvPK6__halfPKjS6_S4_PS2_iiiibPKi.uses_vcc, 1
	.set _ZN4vllm4gptq33gemm_half_q_half_gptq_2bit_kernelILb1ELi2EEEvPK6__halfPKjS6_S4_PS2_iiiibPKi.uses_flat_scratch, 0
	.set _ZN4vllm4gptq33gemm_half_q_half_gptq_2bit_kernelILb1ELi2EEEvPK6__halfPKjS6_S4_PS2_iiiibPKi.has_dyn_sized_stack, 0
	.set _ZN4vllm4gptq33gemm_half_q_half_gptq_2bit_kernelILb1ELi2EEEvPK6__halfPKjS6_S4_PS2_iiiibPKi.has_recursion, 0
	.set _ZN4vllm4gptq33gemm_half_q_half_gptq_2bit_kernelILb1ELi2EEEvPK6__halfPKjS6_S4_PS2_iiiibPKi.has_indirect_call, 0
	.section	.AMDGPU.csdata,"",@progbits
; Kernel info:
; codeLenInByte = 3688
; TotalNumSgprs: 25
; NumVgprs: 61
; ScratchSize: 0
; MemoryBound: 0
; FloatMode: 240
; IeeeMode: 1
; LDSByteSize: 512 bytes/workgroup (compile time only)
; SGPRBlocks: 0
; VGPRBlocks: 3
; NumSGPRsForWavesPerEU: 25
; NumVGPRsForWavesPerEU: 61
; NamedBarCnt: 0
; Occupancy: 16
; WaveLimiterHint : 0
; COMPUTE_PGM_RSRC2:SCRATCH_EN: 0
; COMPUTE_PGM_RSRC2:USER_SGPR: 2
; COMPUTE_PGM_RSRC2:TRAP_HANDLER: 0
; COMPUTE_PGM_RSRC2:TGID_X_EN: 1
; COMPUTE_PGM_RSRC2:TGID_Y_EN: 1
; COMPUTE_PGM_RSRC2:TGID_Z_EN: 1
; COMPUTE_PGM_RSRC2:TIDIG_COMP_CNT: 0
	.section	.text._ZN4vllm4gptq33gemm_half_q_half_gptq_3bit_kernelILb1ELi2EEEvPK6__halfPKjS6_S4_PS2_iiiibPKi,"axG",@progbits,_ZN4vllm4gptq33gemm_half_q_half_gptq_3bit_kernelILb1ELi2EEEvPK6__halfPKjS6_S4_PS2_iiiibPKi,comdat
	.protected	_ZN4vllm4gptq33gemm_half_q_half_gptq_3bit_kernelILb1ELi2EEEvPK6__halfPKjS6_S4_PS2_iiiibPKi ; -- Begin function _ZN4vllm4gptq33gemm_half_q_half_gptq_3bit_kernelILb1ELi2EEEvPK6__halfPKjS6_S4_PS2_iiiibPKi
	.globl	_ZN4vllm4gptq33gemm_half_q_half_gptq_3bit_kernelILb1ELi2EEEvPK6__halfPKjS6_S4_PS2_iiiibPKi
	.p2align	8
	.type	_ZN4vllm4gptq33gemm_half_q_half_gptq_3bit_kernelILb1ELi2EEEvPK6__halfPKjS6_S4_PS2_iiiibPKi,@function
_ZN4vllm4gptq33gemm_half_q_half_gptq_3bit_kernelILb1ELi2EEEvPK6__halfPKjS6_S4_PS2_iiiibPKi: ; @_ZN4vllm4gptq33gemm_half_q_half_gptq_3bit_kernelILb1ELi2EEEvPK6__halfPKjS6_S4_PS2_iiiibPKi
; %bb.0:
	s_clause 0x1
	s_load_b128 s[4:7], s[0:1], 0x2c
	s_load_b64 s[12:13], s[0:1], 0x10
	s_bfe_u32 s2, ttmp6, 0x40010
	s_and_b32 s3, ttmp7, 0xffff
	s_add_co_i32 s2, s2, 1
	s_bfe_u32 s9, ttmp6, 0x40014
	s_mul_i32 s2, s3, s2
	s_bfe_u32 s8, ttmp6, 0x40004
	s_lshr_b32 s10, ttmp7, 16
	s_add_co_i32 s9, s9, 1
	s_add_co_i32 s8, s8, s2
	s_mul_i32 s2, s10, s9
	s_bfe_u32 s9, ttmp6, 0x40008
	s_getreg_b32 s19, hwreg(HW_REG_IB_STS2, 6, 4)
	s_add_co_i32 s9, s9, s2
	s_cmp_eq_u32 s19, 0
	s_cselect_b32 s2, s10, s9
	s_cselect_b32 s3, s3, s8
	s_lshl_b32 s17, s2, 7
	s_wait_kmcnt 0x0
	v_cvt_f64_i32_e32 v[4:5], s5
	s_add_co_i32 s2, s17, 0x80
	s_lshl_b32 s16, s3, 1
	v_cvt_f64_u32_e32 v[2:3], s2
	s_mov_b32 s10, exec_lo
	s_delay_alu instid0(VALU_DEP_1) | instskip(NEXT) | instid1(VALU_DEP_1)
	v_min_num_f64_e32 v[2:3], v[2:3], v[4:5]
	v_cvt_i32_f64_e32 v1, v[2:3]
	v_add_nc_u32_e32 v2, s17, v0
	s_delay_alu instid0(VALU_DEP_2) | instskip(NEXT) | instid1(VALU_DEP_2)
	v_readfirstlane_b32 s18, v1
	v_cmpx_lt_u32_e64 v2, v1
	s_cbranch_execz .LBB20_6
; %bb.1:
	s_clause 0x1
	s_load_b64 s[8:9], s[0:1], 0x40
	s_load_b64 s[2:3], s[0:1], 0x0
	v_mov_b32_e32 v3, 0
	s_delay_alu instid0(VALU_DEP_1)
	v_mov_b64_e32 v[6:7], v[2:3]
	s_wait_kmcnt 0x0
	v_lshl_add_u64 v[4:5], v[2:3], 2, s[8:9]
	s_cmp_lg_u64 s[8:9], 0
	s_cselect_b32 s11, -1, 0
	s_cmp_eq_u64 s[8:9], 0
	s_cbranch_scc1 .LBB20_3
; %bb.2:
	global_load_b32 v6, v[4:5], off
	s_wait_loadcnt 0x0
	v_ashrrev_i32_e32 v7, 31, v6
.LBB20_3:
	s_mul_i32 s8, s16, s5
	v_lshlrev_b32_e32 v1, 1, v0
	s_ashr_i32 s9, s8, 31
	s_and_not1_b32 vcc_lo, exec_lo, s11
	s_lshl_b64 s[14:15], s[8:9], 1
	s_delay_alu instid0(SALU_CYCLE_1) | instskip(NEXT) | instid1(SALU_CYCLE_1)
	s_add_nc_u64 s[14:15], s[2:3], s[14:15]
	v_lshl_add_u64 v[6:7], v[6:7], 1, s[14:15]
	global_load_u16 v6, v[6:7], off
	s_wait_loadcnt 0x0
	ds_store_b16 v1, v6
	s_cbranch_vccnz .LBB20_5
; %bb.4:
	global_load_b32 v2, v[4:5], off
	s_wait_loadcnt 0x0
	v_ashrrev_i32_e32 v3, 31, v2
.LBB20_5:
	s_add_co_i32 s8, s8, s5
	s_delay_alu instid0(SALU_CYCLE_1) | instskip(NEXT) | instid1(SALU_CYCLE_1)
	s_ashr_i32 s9, s8, 31
	s_lshl_b64 s[8:9], s[8:9], 1
	s_delay_alu instid0(SALU_CYCLE_1) | instskip(NEXT) | instid1(SALU_CYCLE_1)
	s_add_nc_u64 s[2:3], s[2:3], s[8:9]
	v_lshl_add_u64 v[2:3], v[2:3], 1, s[2:3]
	global_load_u16 v2, v[2:3], off
	s_wait_loadcnt 0x0
	ds_store_b16 v1, v2 offset:256
.LBB20_6:
	s_or_b32 exec_lo, exec_lo, s10
	s_clause 0x1
	s_load_b64 s[14:15], s[0:1], 0x8
	s_load_b128 s[8:11], s[0:1], 0x18
	s_wait_xcnt 0x0
	s_bfe_u32 s0, ttmp6, 0x4000c
	s_and_b32 s1, ttmp6, 15
	s_add_co_i32 s0, s0, 1
	v_lshlrev_b32_e32 v0, 2, v0
	s_mul_i32 s0, ttmp9, s0
	s_delay_alu instid0(SALU_CYCLE_1) | instskip(SKIP_2) | instid1(SALU_CYCLE_1)
	s_add_co_i32 s1, s1, s0
	s_cmp_eq_u32 s19, 0
	s_cselect_b32 s0, ttmp9, s1
	v_lshl_add_u32 v12, s0, 9, v0
	s_mov_b32 s0, exec_lo
	s_delay_alu instid0(VALU_DEP_1)
	v_cmpx_gt_i32_e64 s4, v12
	s_cbranch_execz .LBB20_52
; %bb.7:
	s_abs_i32 s0, s6
	s_abs_i32 s3, s5
	s_cvt_f32_u32 s1, s0
	s_sub_co_i32 s2, 0, s0
	v_and_b32_e32 v2, 28, v0
	s_wait_dscnt 0x0
	v_rcp_iflag_f32_e32 v1, s1
	s_barrier_signal -1
	s_barrier_wait -1
	v_cmp_lt_u32_e32 vcc_lo, 4, v2
                                        ; implicit-def: $vgpr0
	s_delay_alu instid0(TRANS32_DEP_1) | instskip(SKIP_1) | instid1(SALU_CYCLE_3)
	v_readfirstlane_b32 s1, v1
	s_mul_f32 s1, s1, 0x4f7ffffe
	s_cvt_u32_f32 s1, s1
	s_delay_alu instid0(SALU_CYCLE_3) | instskip(NEXT) | instid1(SALU_CYCLE_1)
	s_mul_i32 s2, s2, s1
	s_mul_hi_u32 s2, s1, s2
	s_delay_alu instid0(SALU_CYCLE_1) | instskip(SKIP_4) | instid1(SALU_CYCLE_1)
	s_add_co_i32 s1, s1, s2
	s_xor_b32 s2, s5, s6
	s_mul_hi_u32 s1, s3, s1
	s_ashr_i32 s2, s2, 31
	s_mul_i32 s5, s1, s0
	s_sub_co_i32 s3, s3, s5
	s_add_co_i32 s5, s1, 1
	s_sub_co_i32 s6, s3, s0
	s_cmp_ge_u32 s3, s0
	s_cselect_b32 s1, s5, s1
	s_cselect_b32 s3, s6, s3
	s_add_co_i32 s5, s1, 1
	s_cmp_ge_u32 s3, s0
	s_cselect_b32 s0, s5, s1
	s_delay_alu instid0(SALU_CYCLE_1) | instskip(NEXT) | instid1(SALU_CYCLE_1)
	s_xor_b32 s0, s0, s2
	s_sub_co_i32 s3, s0, s2
	s_delay_alu instid0(SALU_CYCLE_1) | instskip(SKIP_1) | instid1(SALU_CYCLE_2)
	s_cvt_f32_u32 s0, s3
	s_sub_co_i32 s1, 0, s3
	v_rcp_iflag_f32_e32 v1, s0
	v_nop
	s_delay_alu instid0(TRANS32_DEP_1) | instskip(SKIP_1) | instid1(SALU_CYCLE_3)
	v_readfirstlane_b32 s0, v1
                                        ; implicit-def: $vgpr1
	s_mul_f32 s0, s0, 0x4f7ffffe
	s_cvt_u32_f32 s0, s0
	s_delay_alu instid0(SALU_CYCLE_3) | instskip(NEXT) | instid1(SALU_CYCLE_1)
	s_mul_i32 s1, s1, s0
	s_mul_hi_u32 s1, s0, s1
	s_delay_alu instid0(SALU_CYCLE_1) | instskip(NEXT) | instid1(SALU_CYCLE_1)
	s_add_co_i32 s0, s0, s1
	s_mul_hi_u32 s0, s17, s0
	s_delay_alu instid0(SALU_CYCLE_1) | instskip(SKIP_2) | instid1(SALU_CYCLE_1)
	s_mul_i32 s1, s0, s3
	s_add_co_i32 s2, s0, 1
	s_sub_co_i32 s1, s17, s1
	s_sub_co_i32 s5, s1, s3
	s_cmp_ge_u32 s1, s3
	s_cselect_b32 s0, s2, s0
	s_cselect_b32 s1, s5, s1
	s_add_co_i32 s2, s0, 1
	s_cmp_ge_u32 s1, s3
	s_cselect_b32 s19, s2, s0
	s_and_saveexec_b32 s0, vcc_lo
	s_delay_alu instid0(SALU_CYCLE_1)
	s_xor_b32 s1, exec_lo, s0
	s_cbranch_execz .LBB20_21
; %bb.8:
	s_mov_b32 s2, exec_lo
                                        ; implicit-def: $vgpr1
                                        ; implicit-def: $vgpr0
	v_cmpx_ne_u32_e32 8, v2
	s_xor_b32 s2, exec_lo, s2
	s_cbranch_execz .LBB20_18
; %bb.9:
	s_mov_b32 s5, exec_lo
                                        ; implicit-def: $vgpr1
                                        ; implicit-def: $vgpr0
	v_cmpx_lt_u32_e32 16, v2
	s_xor_b32 s5, exec_lo, s5
	s_cbranch_execz .LBB20_15
; %bb.10:
	v_lshl_add_u32 v0, v12, 1, v12
	s_mul_i32 s6, s19, s4
	s_delay_alu instid0(SALU_CYCLE_1) | instskip(NEXT) | instid1(SALU_CYCLE_1)
	s_ashr_i32 s0, s6, 31
	s_lshr_b32 s0, s0, 27
	s_delay_alu instid0(VALU_DEP_1) | instskip(SKIP_1) | instid1(SALU_CYCLE_1)
	v_ashrrev_i32_e32 v1, 31, v0
	s_add_co_i32 s0, s6, s0
	s_ashr_i32 s0, s0, 5
	s_delay_alu instid0(VALU_DEP_1) | instskip(NEXT) | instid1(VALU_DEP_1)
	v_lshrrev_b32_e32 v1, 27, v1
	v_add_nc_u32_e32 v0, v0, v1
                                        ; implicit-def: $vgpr1
	s_delay_alu instid0(VALU_DEP_1) | instskip(NEXT) | instid1(VALU_DEP_1)
	v_ashrrev_i32_e32 v0, 5, v0
	v_mad_u32 v0, s0, 3, v0
	v_cmp_ne_u32_e64 s0, 20, v2
	global_load_b32 v3, v0, s[12:13] scale_offset
	s_wait_xcnt 0x0
	s_and_saveexec_b32 s20, s0
	s_delay_alu instid0(SALU_CYCLE_1)
	s_xor_b32 s0, exec_lo, s20
	s_cbranch_execz .LBB20_12
; %bb.11:
	v_mad_u32_u24 v0, v2, 3, 0xffffffc0
	s_wait_loadcnt 0x0
	s_delay_alu instid0(VALU_DEP_1)
	v_lshrrev_b32_e32 v1, v0, v3
                                        ; implicit-def: $vgpr0
                                        ; implicit-def: $vgpr3
.LBB20_12:
	s_and_not1_saveexec_b32 s0, s0
	s_cbranch_execz .LBB20_14
; %bb.13:
	v_ashrrev_i32_e32 v1, 31, v0
	s_delay_alu instid0(VALU_DEP_1) | instskip(SKIP_3) | instid1(VALU_DEP_1)
	v_lshl_add_u64 v[0:1], v[0:1], 2, s[12:13]
	global_load_b32 v0, v[0:1], off offset:4
	s_wait_loadcnt 0x0
	v_alignbit_b32 v0, v0, v3, 28
	v_and_b32_e32 v1, 0xfff, v0
.LBB20_14:
	s_or_b32 exec_lo, exec_lo, s0
	v_mov_b32_e32 v0, s6
.LBB20_15:
	s_and_not1_saveexec_b32 s0, s5
	s_cbranch_execz .LBB20_17
; %bb.16:
	v_lshl_add_u32 v0, v12, 1, v12
	s_mul_i32 s5, s19, s4
	s_delay_alu instid0(SALU_CYCLE_1) | instskip(NEXT) | instid1(SALU_CYCLE_1)
	s_ashr_i32 s6, s5, 31
	s_lshr_b32 s6, s6, 27
	s_delay_alu instid0(VALU_DEP_1) | instskip(SKIP_1) | instid1(SALU_CYCLE_1)
	v_ashrrev_i32_e32 v1, 31, v0
	s_add_co_i32 s6, s5, s6
	s_ashr_i32 s6, s6, 5
	s_delay_alu instid0(VALU_DEP_1) | instskip(NEXT) | instid1(VALU_DEP_1)
	v_lshrrev_b32_e32 v1, 27, v1
	v_add_nc_u32_e32 v0, v0, v1
	v_mad_u32_u24 v1, v2, 3, 0xffffffe0
	s_delay_alu instid0(VALU_DEP_2) | instskip(NEXT) | instid1(VALU_DEP_1)
	v_ashrrev_i32_e32 v0, 5, v0
	v_mad_u32 v0, s6, 3, v0
	global_load_b32 v0, v0, s[12:13] scale_offset
	s_wait_loadcnt 0x0
	v_dual_mov_b32 v0, s5 :: v_dual_lshrrev_b32 v1, v1, v0
.LBB20_17:
	s_or_b32 exec_lo, exec_lo, s0
.LBB20_18:
	s_and_not1_saveexec_b32 s0, s2
	s_cbranch_execz .LBB20_20
; %bb.19:
	v_lshl_add_u32 v0, v12, 1, v12
	s_mul_i32 s2, s19, s4
	s_delay_alu instid0(SALU_CYCLE_1) | instskip(NEXT) | instid1(SALU_CYCLE_1)
	s_ashr_i32 s5, s2, 31
	s_lshr_b32 s5, s5, 27
	s_delay_alu instid0(VALU_DEP_1) | instskip(SKIP_1) | instid1(SALU_CYCLE_1)
	v_ashrrev_i32_e32 v1, 31, v0
	s_add_co_i32 s5, s2, s5
	s_ashr_i32 s5, s5, 5
	s_delay_alu instid0(VALU_DEP_1) | instskip(NEXT) | instid1(VALU_DEP_1)
	v_lshrrev_b32_e32 v1, 27, v1
	v_add_nc_u32_e32 v0, v0, v1
	s_delay_alu instid0(VALU_DEP_1) | instskip(NEXT) | instid1(VALU_DEP_1)
	v_ashrrev_i32_e32 v0, 5, v0
	v_mad_u32 v0, s5, 3, v0
	s_delay_alu instid0(VALU_DEP_1) | instskip(NEXT) | instid1(VALU_DEP_1)
	v_ashrrev_i32_e32 v1, 31, v0
	v_lshl_add_u64 v[0:1], v[0:1], 2, s[12:13]
	global_load_b64 v[0:1], v[0:1], off
	s_wait_loadcnt 0x0
	v_perm_b32 v0, v0, v1, 0x2010007
	s_delay_alu instid0(VALU_DEP_1)
	v_and_b32_e32 v1, 0xfff, v0
	v_mov_b32_e32 v0, s2
.LBB20_20:
	s_or_b32 exec_lo, exec_lo, s0
.LBB20_21:
	s_or_saveexec_b32 s0, s1
	s_wait_loadcnt 0x0
	v_lshl_add_u32 v3, v12, 1, v12
	v_mul_u32_u24_e32 v22, 3, v2
	s_delay_alu instid0(VALU_DEP_2)
	v_ashrrev_i32_e32 v4, 31, v3
	s_xor_b32 exec_lo, exec_lo, s0
	s_cbranch_execz .LBB20_23
; %bb.22:
	s_delay_alu instid0(VALU_DEP_1) | instskip(SKIP_1) | instid1(SALU_CYCLE_1)
	v_lshrrev_b32_e32 v0, 27, v4
	s_mul_i32 s1, s19, s4
	s_ashr_i32 s2, s1, 31
	s_delay_alu instid0(SALU_CYCLE_1) | instskip(NEXT) | instid1(VALU_DEP_1)
	s_lshr_b32 s2, s2, 27
	v_add_nc_u32_e32 v0, v3, v0
	s_add_co_i32 s2, s1, s2
	s_delay_alu instid0(SALU_CYCLE_1) | instskip(NEXT) | instid1(VALU_DEP_1)
	s_ashr_i32 s2, s2, 5
	v_ashrrev_i32_e32 v0, 5, v0
	s_delay_alu instid0(VALU_DEP_1)
	v_mad_u32 v0, s2, 3, v0
	global_load_b32 v0, v0, s[12:13] scale_offset
	s_wait_loadcnt 0x0
	v_dual_mov_b32 v0, s1 :: v_dual_lshrrev_b32 v1, v22, v0
.LBB20_23:
	s_or_b32 exec_lo, exec_lo, s0
	v_dual_mov_b32 v25, 0 :: v_dual_mov_b32 v24, 0
	v_dual_mov_b32 v23, 0 :: v_dual_mov_b32 v13, 0
	s_cmp_ge_i32 s17, s18
	s_mov_b32 s20, 0
	s_cbranch_scc1 .LBB20_44
; %bb.24:
	v_dual_add_nc_u32 v6, v0, v12 :: v_dual_ashrrev_i32 v13, 31, v12
	s_lshr_b32 s0, s17, 5
	s_add_co_i32 s21, s3, s17
	s_mul_i32 s0, s0, s4
	s_delay_alu instid0(VALU_DEP_1)
	v_dual_ashrrev_i32 v7, 31, v6 :: v_dual_lshrrev_b32 v0, 27, v4
	s_mul_i32 s22, s0, 3
	v_bfe_u32 v30, v1, 9, 3
	s_ashr_i32 s23, s22, 31
	s_wait_kmcnt 0x0
	v_lshl_add_u64 v[6:7], v[6:7], 1, s[8:9]
	s_bitcmp1_b32 s7, 0
	v_dual_add_nc_u32 v0, v3, v0 :: v_dual_bitop2_b32 v33, 7, v1 bitop3:0x40
	s_cselect_b32 s0, -1, 0
	global_load_b64 v[16:17], v[6:7], off
	s_lshl_b64 s[6:7], s[22:23], 2
	s_xor_b32 s0, s0, -1
	s_add_nc_u64 s[6:7], s[14:15], s[6:7]
	v_cndmask_b32_e64 v26, 0, 1, s0
	v_bfe_u32 v31, v1, 6, 3
	v_bfe_u32 v32, v1, 3, 3
	v_cmp_ne_u32_e64 s0, 8, v2
	v_cmp_lt_u32_e64 s1, 16, v2
	v_cmp_ne_u32_e64 s2, 20, v2
	v_ashrrev_i32_e32 v27, 5, v0
	v_mad_u32_u24 v28, v2, 3, 0xffffffc0
	v_mad_u32_u24 v29, v2, 3, 0xffffffe0
	v_lshl_add_u64 v[14:15], v[12:13], 2, s[6:7]
	v_dual_mov_b32 v13, 0 :: v_dual_mov_b32 v23, 0
	v_dual_mov_b32 v24, 0 :: v_dual_mov_b32 v25, 0
	s_ashr_i32 s5, s4, 31
	s_mov_b32 s22, 0x70007
	s_mul_u64 s[6:7], s[4:5], 12
	s_lshl_b64 s[14:15], s[4:5], 2
	s_mov_b32 s5, 0x10001
	s_mov_b32 s23, 0x380038
	;; [unrolled: 1-line block ×3, first 2 shown]
	s_branch .LBB20_27
.LBB20_25:                              ;   in Loop: Header=BB20_27 Depth=1
	s_or_b32 exec_lo, exec_lo, s26
	s_delay_alu instid0(VALU_DEP_1) | instskip(SKIP_3) | instid1(VALU_DEP_4)
	v_dual_add_nc_u32 v0, s25, v12 :: v_dual_bitop2_b32 v33, 7, v2 bitop3:0x40
	v_bfe_u32 v32, v2, 3, 3
	v_bfe_u32 v31, v2, 6, 3
	;; [unrolled: 1-line block ×3, first 2 shown]
	v_ashrrev_i32_e32 v1, 31, v0
	s_add_co_i32 s21, s21, s3
	s_delay_alu instid0(VALU_DEP_1)
	v_lshl_add_u64 v[0:1], v[0:1], 1, s[8:9]
	s_wait_loadcnt 0x1
	global_load_b64 v[16:17], v[0:1], off
.LBB20_26:                              ;   in Loop: Header=BB20_27 Depth=1
	global_load_b128 v[8:11], v[14:15], off
	s_wait_xcnt 0x1
	v_add_nc_u64_e32 v[0:1], s[14:15], v[14:15]
	v_dual_add_nc_u32 v18, v33, v26 :: v_dual_add_nc_u32 v19, v32, v26
	v_dual_add_nc_u32 v20, v31, v26 :: v_dual_add_nc_u32 v21, v30, v26
	s_add_co_i32 s17, s17, 32
	s_delay_alu instid0(VALU_DEP_2)
	v_cvt_f32_u32_e32 v35, v18
	global_load_b128 v[4:7], v[0:1], off
	s_wait_xcnt 0x0
	v_add_nc_u64_e32 v[0:1], s[14:15], v[0:1]
	v_mad_u32_u24 v38, v18, s5, 0xe400e400
	v_cvt_f32_u32_e32 v18, v19
	v_mad_u32_u24 v36, v19, s5, 0xe400e400
	v_cvt_f32_u32_e32 v19, v20
	v_cvt_f32_u32_e32 v39, v21
	v_mov_b32_e32 v34, s20
	s_wait_loadcnt 0x3
	global_load_b128 v[0:3], v[0:1], off
	v_cvt_f16_f32_e32 v79, v35
	v_cvt_f16_f32_e32 v80, v18
	;; [unrolled: 1-line block ×4, first 2 shown]
	v_mad_u32_u24 v37, v20, s5, 0xe400e400
	v_mad_u32_u24 v35, v21, s5, 0xe400e400
	v_sub_f16_e32 v20, 0xd800, v79
	v_sub_f16_e32 v21, 0xd800, v80
	;; [unrolled: 1-line block ×5, first 2 shown]
	v_and_b32_e32 v41, 0xffff, v20
	v_and_b32_e32 v42, 0xffff, v21
	;; [unrolled: 1-line block ×4, first 2 shown]
	v_sub_f16_e32 v81, 0xcc00, v81
	v_mul_u32_u24_e32 v53, 0x10001, v41
	v_mul_u32_u24_e32 v52, 0x10001, v42
	;; [unrolled: 1-line block ×4, first 2 shown]
	v_sub_f16_e32 v86, 0xcc00, v86
	v_add_nc_u64_e32 v[14:15], s[6:7], v[14:15]
	s_add_co_i32 s20, s20, 64
	s_cmp_ge_i32 s17, s18
	s_delay_alu instid0(VALU_DEP_2) | instskip(NEXT) | instid1(VALU_DEP_1)
	v_and_b32_e32 v86, 0xffff, v86
	v_mul_u32_u24_e32 v86, 0x10001, v86
	s_wait_loadcnt 0x2
	v_lshrrev_b32_e32 v82, 6, v8
	ds_load_2addr_b32 v[18:19], v34 offset1:1
	ds_load_2addr_b32 v[20:21], v34 offset0:64 offset1:65
	v_and_or_b32 v39, v8, s22, 0x64006400
	v_and_or_b32 v40, v8, s23, 0x64006400
	v_dual_lshrrev_b32 v55, 15, v8 :: v_dual_lshrrev_b32 v83, 6, v9
	v_and_or_b32 v8, v9, s22, 0x64006400
	v_and_or_b32 v41, v9, s23, 0x64006400
	v_dual_lshrrev_b32 v54, 15, v9 :: v_dual_lshrrev_b32 v84, 6, v10
	;; [unrolled: 3-line block ×3, first 2 shown]
	v_and_or_b32 v10, v11, s22, 0x64006400
	v_and_or_b32 v43, v11, s23, 0x64006400
	s_wait_loadcnt 0x1
	v_dual_lshrrev_b32 v57, 15, v11 :: v_dual_lshrrev_b32 v60, 6, v4
	v_pk_add_f16 v76, v38, v39
	v_pk_add_f16 v78, v36, v8
	;; [unrolled: 1-line block ×4, first 2 shown]
	s_wait_loadcnt 0x0
	v_dual_lshrrev_b32 v72, 14, v7 :: v_dual_lshrrev_b32 v11, 6, v0
	v_and_or_b32 v10, v0, s22, 0x64006400
	v_and_or_b32 v67, v0, s23, 0x64006400
	v_dual_lshrrev_b32 v74, 13, v0 :: v_dual_lshrrev_b32 v47, 6, v1
	v_and_or_b32 v45, v1, s22, 0x64006400
	v_and_or_b32 v62, v1, s23, 0x64006400
	v_dual_lshrrev_b32 v69, 13, v1 :: v_dual_lshrrev_b32 v48, 6, v2
	ds_load_2addr_b32 v[8:9], v34 offset0:66 offset1:67
	ds_load_2addr_b32 v[0:1], v34 offset0:2 offset1:3
	v_pk_fma_f16 v77, 0x3000, v40, v53 op_sel_hi:[0,1,1]
	v_pk_fma_f16 v87, 0x3000, v41, v52 op_sel_hi:[0,1,1]
	v_pk_fma_f16 v89, 0x3000, v42, v51 op_sel_hi:[0,1,1]
	v_pk_fma_f16 v91, 0x3000, v43, v50 op_sel_hi:[0,1,1]
	v_and_or_b32 v64, v4, s22, 0x64006400
	v_and_or_b32 v65, v4, s23, 0x64006400
	v_dual_lshrrev_b32 v66, 14, v4 :: v_dual_lshrrev_b32 v42, 6, v5
	v_and_or_b32 v40, v5, s22, 0x64006400
	v_and_or_b32 v71, v5, s23, 0x64006400
	v_dual_lshrrev_b32 v68, 14, v5 :: v_dual_lshrrev_b32 v43, 6, v6
	;; [unrolled: 3-line block ×3, first 2 shown]
	v_and_or_b32 v39, v7, s22, 0x64006400
	v_and_or_b32 v75, v7, s23, 0x64006400
	s_wait_dscnt 0x3
	v_pk_fma_f16 v4, v76, v18, 0
	v_pk_fma_f16 v5, v78, v18, 0
	;; [unrolled: 1-line block ×4, first 2 shown]
	v_and_or_b32 v46, v2, s22, 0x64006400
	v_and_or_b32 v59, v2, s23, 0x64006400
	v_dual_lshrrev_b32 v63, 13, v2 :: v_dual_lshrrev_b32 v49, 6, v3
	v_and_or_b32 v18, v3, s22, 0x64006400
	v_and_or_b32 v58, v3, s23, 0x64006400
	v_lshrrev_b32_e32 v61, 13, v3
	v_pk_fma_f16 v2, v77, v19, v4
	v_pk_fma_f16 v3, v87, v19, v5
	;; [unrolled: 1-line block ×4, first 2 shown]
	s_wait_dscnt 0x2
	v_pk_fma_f16 v6, v76, v20, 0
	v_and_or_b32 v7, v82, s22, 0x64006400
	v_pk_fma_f16 v19, v78, v20, 0
	v_pk_fma_f16 v76, v88, v20, 0
	;; [unrolled: 1-line block ×4, first 2 shown]
	v_and_or_b32 v77, v82, s23, 0x64006400
	v_pk_fma_f16 v19, v87, v21, v19
	v_and_or_b32 v78, v83, s22, 0x64006400
	v_pk_fma_f16 v76, v89, v21, v76
	v_pk_add_f16 v7, v38, v7
	v_pk_fma_f16 v21, v91, v21, v20
	v_and_or_b32 v20, v84, s22, 0x64006400
	v_and_or_b32 v89, v85, s22, 0x64006400
	;; [unrolled: 1-line block ×4, first 2 shown]
	s_wait_dscnt 0x0
	v_pk_fma_f16 v2, v7, v0, v2
	v_pk_fma_f16 v6, v7, v8, v6
	v_and_or_b32 v7, v85, s23, 0x64006400
	v_pk_fma_f16 v90, 0x3000, v77, v53 op_sel_hi:[0,1,1]
	v_pk_add_f16 v77, v36, v78
	v_pk_add_f16 v78, v37, v20
	;; [unrolled: 1-line block ×3, first 2 shown]
	v_pk_fma_f16 v87, 0x3000, v87, v52 op_sel_hi:[0,1,1]
	v_pk_fma_f16 v88, 0x3000, v88, v51 op_sel_hi:[0,1,1]
	;; [unrolled: 1-line block ×3, first 2 shown]
	v_pk_fma_f16 v3, v77, v0, v3
	v_pk_fma_f16 v7, v78, v0, v4
	;; [unrolled: 1-line block ×6, first 2 shown]
	v_and_b32_e32 v89, 0xffff, v80
	v_pk_fma_f16 v19, v90, v1, v2
	v_pk_fma_f16 v76, v87, v1, v3
	;; [unrolled: 1-line block ×4, first 2 shown]
	v_sub_f16_e32 v7, 0xcc00, v79
	v_pk_fma_f16 v79, v90, v9, v6
	v_and_b32_e32 v90, 0xffff, v81
	v_pk_fma_f16 v80, v87, v9, v91
	v_mul_u32_u24_e32 v87, 0x10001, v89
	v_and_or_b32 v89, v82, s24, 0x64006400
	v_pk_fma_f16 v82, v20, v9, v8
	v_and_b32_e32 v20, 0x20002, v66
	v_and_b32_e32 v21, 0xffff, v7
	v_pk_fma_f16 v81, v88, v9, v92
	v_mul_u32_u24_e32 v88, 0x10001, v90
	v_and_or_b32 v84, v84, s24, 0x64006400
	v_and_or_b32 v85, v85, s24, 0x64006400
	v_and_b32_e32 v66, 0x20002, v68
	v_and_or_b32 v20, 0x10001, v55, v20
	v_and_or_b32 v55, v60, s23, 0x64006400
	v_and_b32_e32 v68, 0x20002, v70
	v_and_b32_e32 v70, 0x20002, v72
	v_mul_u32_u24_e32 v21, 0x10001, v21
	v_and_or_b32 v83, v83, s24, 0x64006400
	v_pk_fma_f16 v91, 0x2400, v84, v88 op_sel_hi:[0,1,1]
	v_pk_fma_f16 v84, 0x2400, v85, v86 op_sel_hi:[0,1,1]
	v_and_or_b32 v85, v60, s22, 0x64006400
	v_and_or_b32 v60, v60, s24, 0x64006400
	;; [unrolled: 1-line block ×4, first 2 shown]
	v_and_b32_e32 v54, 0x40004, v74
	v_and_or_b32 v74, 0x10001, v57, v70
	v_and_or_b32 v57, v11, s23, 0x64006400
	v_pk_fma_f16 v68, 0x3000, v55, v53 op_sel_hi:[0,1,1]
	v_and_or_b32 v55, v11, s24, 0x64006400
	v_pk_fma_f16 v89, 0x2400, v89, v21 op_sel_hi:[0,1,1]
	v_pk_fma_f16 v90, 0x2400, v83, v87 op_sel_hi:[0,1,1]
	v_pk_add_f16 v83, v38, v64
	v_pk_fma_f16 v64, 0x3000, v65, v53 op_sel_hi:[0,1,1]
	v_pk_fma_f16 v56, 0x3000, v67, v53 op_sel_hi:[0,1,1]
	v_or3_b32 v20, v20, v54, 0x64006400
	v_pk_fma_f16 v54, 0x3000, v57, v53 op_sel_hi:[0,1,1]
	v_pk_fma_f16 v66, 0x2400, v60, v21 op_sel_hi:[0,1,1]
	;; [unrolled: 1-line block ×3, first 2 shown]
	v_and_or_b32 v21, v47, s23, 0x64006400
	v_pk_fma_f16 v65, 0x3000, v71, v52 op_sel_hi:[0,1,1]
	v_pk_fma_f16 v71, 0x3000, v73, v51 op_sel_hi:[0,1,1]
	;; [unrolled: 1-line block ×3, first 2 shown]
	v_and_or_b32 v75, v42, s23, 0x64006400
	v_and_or_b32 v93, v42, s24, 0x64006400
	;; [unrolled: 1-line block ×3, first 2 shown]
	v_and_b32_e32 v69, 0x40004, v69
	v_and_or_b32 v70, v47, s24, 0x64006400
	v_pk_fma_f16 v55, 0x3000, v21, v52 op_sel_hi:[0,1,1]
	v_and_or_b32 v21, v43, s24, 0x64006400
	v_and_b32_e32 v63, 0x40004, v63
	ds_load_2addr_b32 v[4:5], v34 offset0:4 offset1:5
	ds_load_2addr_b32 v[0:1], v34 offset0:6 offset1:7
	ds_load_2addr_b32 v[8:9], v34 offset0:8 offset1:9
	ds_load_2addr_b32 v[2:3], v34 offset0:68 offset1:69
	ds_load_2addr_b32 v[6:7], v34 offset0:70 offset1:71
	v_pk_fma_f16 v67, 0x3000, v75, v52 op_sel_hi:[0,1,1]
	v_pk_fma_f16 v60, 0x3000, v62, v52 op_sel_hi:[0,1,1]
	v_or3_b32 v94, v72, v69, 0x64006400
	v_pk_fma_f16 v62, 0x2400, v93, v87 op_sel_hi:[0,1,1]
	v_pk_fma_f16 v69, 0x3000, v57, v51 op_sel_hi:[0,1,1]
	;; [unrolled: 1-line block ×3, first 2 shown]
	v_and_or_b32 v57, v48, s23, 0x64006400
	v_or3_b32 v87, v92, v63, 0x64006400
	v_and_or_b32 v63, v48, s24, 0x64006400
	v_and_b32_e32 v61, 0x40004, v61
	v_pk_fma_f16 v70, 0x2400, v21, v88 op_sel_hi:[0,1,1]
	v_and_or_b32 v21, v49, s23, 0x64006400
	v_pk_fma_f16 v59, 0x3000, v59, v51 op_sel_hi:[0,1,1]
	v_pk_fma_f16 v57, 0x3000, v57, v51 op_sel_hi:[0,1,1]
	v_and_or_b32 v72, v44, s23, 0x64006400
	v_pk_fma_f16 v51, 0x2400, v63, v88 op_sel_hi:[0,1,1]
	v_or3_b32 v88, v74, v61, 0x64006400
	v_and_or_b32 v63, v44, s24, 0x64006400
	v_pk_fma_f16 v61, 0x3000, v58, v50 op_sel_hi:[0,1,1]
	v_pk_fma_f16 v58, 0x3000, v21, v50 op_sel_hi:[0,1,1]
	v_and_or_b32 v21, v49, s24, 0x64006400
	v_and_or_b32 v11, v11, s22, 0x64006400
	v_pk_fma_f16 v75, 0x3000, v72, v50 op_sel_hi:[0,1,1]
	v_pk_add_f16 v85, v38, v85
	v_pk_fma_f16 v74, 0x2400, v63, v86 op_sel_hi:[0,1,1]
	v_pk_add_f16 v72, v38, v10
	;; [unrolled: 2-line block ×3, first 2 shown]
	v_pk_add_f16 v38, v38, v20
	v_and_or_b32 v20, v42, s22, 0x64006400
	v_and_or_b32 v21, v43, s22, 0x64006400
	v_pk_add_f16 v42, v36, v40
	v_pk_add_f16 v43, v37, v41
	v_and_or_b32 v40, v44, s22, 0x64006400
	v_pk_add_f16 v44, v36, v20
	v_pk_add_f16 v86, v37, v21
	v_and_or_b32 v20, v47, s22, 0x64006400
	v_and_or_b32 v21, v48, s22, 0x64006400
	;; [unrolled: 1-line block ×3, first 2 shown]
	ds_load_2addr_b32 v[10:11], v34 offset0:10 offset1:11
	v_pk_add_f16 v45, v36, v45
	v_pk_add_f16 v46, v37, v46
	;; [unrolled: 1-line block ×6, first 2 shown]
	ds_load_2addr_b32 v[20:21], v34 offset0:12 offset1:13
	v_pk_add_f16 v39, v35, v39
	v_pk_add_f16 v92, v35, v40
	;; [unrolled: 1-line block ×5, first 2 shown]
	s_wait_dscnt 0x6
	v_pk_fma_f16 v35, v89, v4, v19
	ds_load_2addr_b32 v[18:19], v34 offset0:14 offset1:15
	s_wait_dscnt 0x4
	v_pk_fma_f16 v40, v89, v2, v79
	v_pk_fma_f16 v41, v90, v4, v76
	;; [unrolled: 1-line block ×6, first 2 shown]
	ds_load_2addr_b32 v[36:37], v34 offset0:72 offset1:73
	v_pk_fma_f16 v2, v84, v2, v82
	v_pk_fma_f16 v79, v83, v5, v35
	;; [unrolled: 1-line block ×9, first 2 shown]
	ds_load_2addr_b32 v[4:5], v34 offset0:74 offset1:75
	ds_load_2addr_b32 v[40:41], v34 offset0:76 offset1:77
	v_pk_fma_f16 v3, v64, v0, v79
	v_pk_fma_f16 v39, v65, v0, v80
	;; [unrolled: 1-line block ×4, first 2 shown]
	s_wait_dscnt 0x6
	v_pk_fma_f16 v64, v64, v6, v82
	v_pk_fma_f16 v42, v65, v6, v42
	;; [unrolled: 1-line block ×16, first 2 shown]
	s_wait_dscnt 0x2
	v_pk_fma_f16 v1, v68, v36, v1
	v_pk_fma_f16 v8, v67, v36, v42
	;; [unrolled: 1-line block ×12, first 2 shown]
	ds_load_2addr_b32 v[34:35], v34 offset0:78 offset1:79
	v_pk_fma_f16 v3, v72, v10, v3
	v_pk_fma_f16 v6, v45, v10, v6
	v_pk_fma_f16 v7, v46, v10, v7
	v_pk_fma_f16 v0, v93, v10, v0
	s_wait_dscnt 0x2
	v_pk_fma_f16 v1, v72, v4, v1
	v_pk_fma_f16 v8, v45, v4, v8
	v_pk_fma_f16 v9, v46, v4, v9
	v_pk_fma_f16 v2, v93, v4, v2
	v_pk_fma_f16 v3, v56, v11, v3
	v_pk_fma_f16 v4, v60, v11, v6
	v_pk_fma_f16 v6, v59, v11, v7
	v_pk_fma_f16 v0, v61, v11, v0
	v_pk_fma_f16 v1, v56, v5, v1
	v_pk_fma_f16 v7, v60, v5, v8
	v_pk_fma_f16 v8, v59, v5, v9
	v_pk_fma_f16 v2, v61, v5, v2
	v_pk_fma_f16 v3, v63, v20, v3
	v_pk_fma_f16 v4, v47, v20, v4
	v_pk_fma_f16 v5, v48, v20, v6
	v_pk_fma_f16 v0, v94, v20, v0
	s_wait_dscnt 0x1
	v_pk_fma_f16 v1, v63, v40, v1
	v_pk_fma_f16 v6, v47, v40, v7
	v_pk_fma_f16 v7, v48, v40, v8
	v_pk_fma_f16 v2, v94, v40, v2
	v_pk_fma_f16 v3, v54, v21, v3
	v_pk_fma_f16 v4, v55, v21, v4
	v_pk_fma_f16 v5, v57, v21, v5
	v_pk_fma_f16 v0, v58, v21, v0
	v_pk_fma_f16 v1, v54, v41, v1
	v_pk_fma_f16 v6, v55, v41, v6
	v_pk_fma_f16 v7, v57, v41, v7
	v_pk_fma_f16 v2, v58, v41, v2
	;; [unrolled: 17-line block ×3, first 2 shown]
	v_pack_b32_f16 v8, v3, v4
	v_perm_b32 v3, v4, v3, 0x7060302
	v_pack_b32_f16 v4, v1, v6
	v_perm_b32 v1, v6, v1, 0x7060302
	;; [unrolled: 2-line block ×4, first 2 shown]
	v_pk_add_f16 v3, v8, v3
	v_pk_add_f16 v1, v4, v1
	;; [unrolled: 1-line block ×3, first 2 shown]
	s_delay_alu instid0(VALU_DEP_4) | instskip(NEXT) | instid1(VALU_DEP_4)
	v_pk_add_f16 v2, v5, v2
	v_pk_fma_f16 v25, v3, v16, v25
	s_delay_alu instid0(VALU_DEP_4) | instskip(NEXT) | instid1(VALU_DEP_4)
	v_pk_fma_f16 v23, v1, v16, v23
	v_pk_fma_f16 v24, v0, v17, v24
	s_delay_alu instid0(VALU_DEP_4)
	v_pk_fma_f16 v13, v2, v17, v13
	s_cbranch_scc1 .LBB20_44
.LBB20_27:                              ; =>This Inner Loop Header: Depth=1
	s_cmp_lg_u32 s17, s21
	s_cbranch_scc1 .LBB20_26
; %bb.28:                               ;   in Loop: Header=BB20_27 Depth=1
	s_add_co_i32 s19, s19, 1
                                        ; implicit-def: $vgpr2
	s_delay_alu instid0(SALU_CYCLE_1) | instskip(NEXT) | instid1(SALU_CYCLE_1)
	s_mul_i32 s25, s19, s4
	s_ashr_i32 s26, s25, 31
	s_delay_alu instid0(SALU_CYCLE_1) | instskip(NEXT) | instid1(SALU_CYCLE_1)
	s_lshr_b32 s26, s26, 27
	s_add_co_i32 s26, s25, s26
	s_delay_alu instid0(SALU_CYCLE_1) | instskip(NEXT) | instid1(SALU_CYCLE_1)
	s_ashr_i32 s26, s26, 5
	v_mad_u32 v0, s26, 3, v27
	global_load_b32 v3, v0, s[12:13] scale_offset
	s_wait_xcnt 0x0
	s_and_saveexec_b32 s26, vcc_lo
	s_delay_alu instid0(SALU_CYCLE_1)
	s_xor_b32 s26, exec_lo, s26
	s_cbranch_execz .LBB20_42
; %bb.29:                               ;   in Loop: Header=BB20_27 Depth=1
	v_ashrrev_i32_e32 v1, 31, v0
                                        ; implicit-def: $vgpr2
	s_delay_alu instid0(VALU_DEP_1) | instskip(SKIP_1) | instid1(SALU_CYCLE_1)
	v_lshl_add_u64 v[0:1], v[0:1], 2, s[12:13]
	s_and_saveexec_b32 s27, s0
	s_xor_b32 s27, exec_lo, s27
	s_cbranch_execz .LBB20_39
; %bb.30:                               ;   in Loop: Header=BB20_27 Depth=1
                                        ; implicit-def: $vgpr2
	s_and_saveexec_b32 s28, s1
	s_delay_alu instid0(SALU_CYCLE_1)
	s_xor_b32 s28, exec_lo, s28
	s_cbranch_execz .LBB20_36
; %bb.31:                               ;   in Loop: Header=BB20_27 Depth=1
                                        ; implicit-def: $vgpr2
	s_and_saveexec_b32 s29, s2
	s_delay_alu instid0(SALU_CYCLE_1)
	s_xor_b32 s29, exec_lo, s29
	s_cbranch_execz .LBB20_33
; %bb.32:                               ;   in Loop: Header=BB20_27 Depth=1
	s_wait_loadcnt 0x0
	v_lshrrev_b32_e32 v2, v28, v3
                                        ; implicit-def: $vgpr0_vgpr1
                                        ; implicit-def: $vgpr3
.LBB20_33:                              ;   in Loop: Header=BB20_27 Depth=1
	s_and_not1_saveexec_b32 s29, s29
	s_cbranch_execz .LBB20_35
; %bb.34:                               ;   in Loop: Header=BB20_27 Depth=1
	global_load_b32 v0, v[0:1], off offset:4
	s_wait_loadcnt 0x0
	v_alignbit_b32 v0, v0, v3, 28
	s_delay_alu instid0(VALU_DEP_1)
	v_and_b32_e32 v2, 0xfff, v0
.LBB20_35:                              ;   in Loop: Header=BB20_27 Depth=1
	s_or_b32 exec_lo, exec_lo, s29
                                        ; implicit-def: $vgpr3
.LBB20_36:                              ;   in Loop: Header=BB20_27 Depth=1
	s_and_not1_saveexec_b32 s28, s28
	s_cbranch_execz .LBB20_38
; %bb.37:                               ;   in Loop: Header=BB20_27 Depth=1
	s_wait_loadcnt 0x0
	v_lshrrev_b32_e32 v2, v29, v3
.LBB20_38:                              ;   in Loop: Header=BB20_27 Depth=1
	s_or_b32 exec_lo, exec_lo, s28
                                        ; implicit-def: $vgpr0_vgpr1
                                        ; implicit-def: $vgpr3
.LBB20_39:                              ;   in Loop: Header=BB20_27 Depth=1
	s_and_not1_saveexec_b32 s27, s27
	s_cbranch_execz .LBB20_41
; %bb.40:                               ;   in Loop: Header=BB20_27 Depth=1
	global_load_b32 v0, v[0:1], off offset:4
	s_wait_loadcnt 0x0
	v_perm_b32 v0, v3, v0, 0x2010007
	s_delay_alu instid0(VALU_DEP_1)
	v_and_b32_e32 v2, 0xfff, v0
.LBB20_41:                              ;   in Loop: Header=BB20_27 Depth=1
	s_or_b32 exec_lo, exec_lo, s27
                                        ; implicit-def: $vgpr3
.LBB20_42:                              ;   in Loop: Header=BB20_27 Depth=1
	s_and_not1_saveexec_b32 s26, s26
	s_cbranch_execz .LBB20_25
; %bb.43:                               ;   in Loop: Header=BB20_27 Depth=1
	s_wait_loadcnt 0x0
	v_lshrrev_b32_e32 v2, v22, v3
	s_branch .LBB20_25
.LBB20_44:
	v_mad_u32 v0, s16, s4, v12
	s_mov_b32 s0, 0
	s_delay_alu instid0(VALU_DEP_1) | instskip(SKIP_1) | instid1(VALU_DEP_1)
	v_ashrrev_i32_e32 v1, 31, v0
	s_wait_kmcnt 0x0
	v_lshl_add_u64 v[2:3], v[0:1], 1, s[10:11]
	global_load_b32 v5, v[2:3], off
.LBB20_45:                              ; =>This Inner Loop Header: Depth=1
	s_wait_loadcnt 0x0
	v_pk_add_f16 v4, v25, v5
	global_atomic_cmpswap_b32 v1, v[2:3], v[4:5], off th:TH_ATOMIC_RETURN scope:SCOPE_DEV
	s_wait_loadcnt 0x0
	v_cmp_eq_u32_e32 vcc_lo, v5, v1
	v_mov_b32_e32 v5, v1
	s_or_b32 s0, vcc_lo, s0
	s_delay_alu instid0(SALU_CYCLE_1)
	s_and_not1_b32 exec_lo, exec_lo, s0
	s_cbranch_execnz .LBB20_45
; %bb.46:
	s_or_b32 exec_lo, exec_lo, s0
	global_load_b32 v5, v[2:3], off offset:4
	s_mov_b32 s0, 0
.LBB20_47:                              ; =>This Inner Loop Header: Depth=1
	s_wait_loadcnt 0x0
	v_pk_add_f16 v4, v24, v5
	global_atomic_cmpswap_b32 v1, v[2:3], v[4:5], off offset:4 th:TH_ATOMIC_RETURN scope:SCOPE_DEV
	s_wait_loadcnt 0x0
	v_cmp_eq_u32_e32 vcc_lo, v5, v1
	v_mov_b32_e32 v5, v1
	s_or_b32 s0, vcc_lo, s0
	s_delay_alu instid0(SALU_CYCLE_1)
	s_and_not1_b32 exec_lo, exec_lo, s0
	s_cbranch_execnz .LBB20_47
; %bb.48:
	s_or_b32 exec_lo, exec_lo, s0
	v_add_nc_u32_e32 v0, s4, v0
	s_mov_b32 s0, 0
	s_delay_alu instid0(VALU_DEP_1) | instskip(NEXT) | instid1(VALU_DEP_1)
	v_ashrrev_i32_e32 v1, 31, v0
	v_lshl_add_u64 v[0:1], v[0:1], 1, s[10:11]
	global_load_b32 v3, v[0:1], off
.LBB20_49:                              ; =>This Inner Loop Header: Depth=1
	s_wait_loadcnt 0x0
	v_pk_add_f16 v2, v23, v3
	global_atomic_cmpswap_b32 v2, v[0:1], v[2:3], off th:TH_ATOMIC_RETURN scope:SCOPE_DEV
	s_wait_loadcnt 0x0
	v_cmp_eq_u32_e32 vcc_lo, v3, v2
	v_mov_b32_e32 v3, v2
	s_or_b32 s0, vcc_lo, s0
	s_delay_alu instid0(SALU_CYCLE_1)
	s_and_not1_b32 exec_lo, exec_lo, s0
	s_cbranch_execnz .LBB20_49
; %bb.50:
	s_or_b32 exec_lo, exec_lo, s0
	global_load_b32 v3, v[0:1], off offset:4
	s_mov_b32 s0, 0
.LBB20_51:                              ; =>This Inner Loop Header: Depth=1
	s_wait_loadcnt 0x0
	v_pk_add_f16 v2, v13, v3
	global_atomic_cmpswap_b32 v2, v[0:1], v[2:3], off offset:4 th:TH_ATOMIC_RETURN scope:SCOPE_DEV
	s_wait_loadcnt 0x0
	v_cmp_eq_u32_e32 vcc_lo, v3, v2
	v_mov_b32_e32 v3, v2
	s_or_b32 s0, vcc_lo, s0
	s_delay_alu instid0(SALU_CYCLE_1)
	s_and_not1_b32 exec_lo, exec_lo, s0
	s_cbranch_execnz .LBB20_51
.LBB20_52:
	s_endpgm
	.section	.rodata,"a",@progbits
	.p2align	6, 0x0
	.amdhsa_kernel _ZN4vllm4gptq33gemm_half_q_half_gptq_3bit_kernelILb1ELi2EEEvPK6__halfPKjS6_S4_PS2_iiiibPKi
		.amdhsa_group_segment_fixed_size 512
		.amdhsa_private_segment_fixed_size 0
		.amdhsa_kernarg_size 72
		.amdhsa_user_sgpr_count 2
		.amdhsa_user_sgpr_dispatch_ptr 0
		.amdhsa_user_sgpr_queue_ptr 0
		.amdhsa_user_sgpr_kernarg_segment_ptr 1
		.amdhsa_user_sgpr_dispatch_id 0
		.amdhsa_user_sgpr_kernarg_preload_length 0
		.amdhsa_user_sgpr_kernarg_preload_offset 0
		.amdhsa_user_sgpr_private_segment_size 0
		.amdhsa_wavefront_size32 1
		.amdhsa_uses_dynamic_stack 0
		.amdhsa_enable_private_segment 0
		.amdhsa_system_sgpr_workgroup_id_x 1
		.amdhsa_system_sgpr_workgroup_id_y 1
		.amdhsa_system_sgpr_workgroup_id_z 1
		.amdhsa_system_sgpr_workgroup_info 0
		.amdhsa_system_vgpr_workitem_id 0
		.amdhsa_next_free_vgpr 95
		.amdhsa_next_free_sgpr 30
		.amdhsa_named_barrier_count 0
		.amdhsa_reserve_vcc 1
		.amdhsa_float_round_mode_32 0
		.amdhsa_float_round_mode_16_64 0
		.amdhsa_float_denorm_mode_32 3
		.amdhsa_float_denorm_mode_16_64 3
		.amdhsa_fp16_overflow 0
		.amdhsa_memory_ordered 1
		.amdhsa_forward_progress 1
		.amdhsa_inst_pref_size 46
		.amdhsa_round_robin_scheduling 0
		.amdhsa_exception_fp_ieee_invalid_op 0
		.amdhsa_exception_fp_denorm_src 0
		.amdhsa_exception_fp_ieee_div_zero 0
		.amdhsa_exception_fp_ieee_overflow 0
		.amdhsa_exception_fp_ieee_underflow 0
		.amdhsa_exception_fp_ieee_inexact 0
		.amdhsa_exception_int_div_zero 0
	.end_amdhsa_kernel
	.section	.text._ZN4vllm4gptq33gemm_half_q_half_gptq_3bit_kernelILb1ELi2EEEvPK6__halfPKjS6_S4_PS2_iiiibPKi,"axG",@progbits,_ZN4vllm4gptq33gemm_half_q_half_gptq_3bit_kernelILb1ELi2EEEvPK6__halfPKjS6_S4_PS2_iiiibPKi,comdat
.Lfunc_end20:
	.size	_ZN4vllm4gptq33gemm_half_q_half_gptq_3bit_kernelILb1ELi2EEEvPK6__halfPKjS6_S4_PS2_iiiibPKi, .Lfunc_end20-_ZN4vllm4gptq33gemm_half_q_half_gptq_3bit_kernelILb1ELi2EEEvPK6__halfPKjS6_S4_PS2_iiiibPKi
                                        ; -- End function
	.set _ZN4vllm4gptq33gemm_half_q_half_gptq_3bit_kernelILb1ELi2EEEvPK6__halfPKjS6_S4_PS2_iiiibPKi.num_vgpr, 95
	.set _ZN4vllm4gptq33gemm_half_q_half_gptq_3bit_kernelILb1ELi2EEEvPK6__halfPKjS6_S4_PS2_iiiibPKi.num_agpr, 0
	.set _ZN4vllm4gptq33gemm_half_q_half_gptq_3bit_kernelILb1ELi2EEEvPK6__halfPKjS6_S4_PS2_iiiibPKi.numbered_sgpr, 30
	.set _ZN4vllm4gptq33gemm_half_q_half_gptq_3bit_kernelILb1ELi2EEEvPK6__halfPKjS6_S4_PS2_iiiibPKi.num_named_barrier, 0
	.set _ZN4vllm4gptq33gemm_half_q_half_gptq_3bit_kernelILb1ELi2EEEvPK6__halfPKjS6_S4_PS2_iiiibPKi.private_seg_size, 0
	.set _ZN4vllm4gptq33gemm_half_q_half_gptq_3bit_kernelILb1ELi2EEEvPK6__halfPKjS6_S4_PS2_iiiibPKi.uses_vcc, 1
	.set _ZN4vllm4gptq33gemm_half_q_half_gptq_3bit_kernelILb1ELi2EEEvPK6__halfPKjS6_S4_PS2_iiiibPKi.uses_flat_scratch, 0
	.set _ZN4vllm4gptq33gemm_half_q_half_gptq_3bit_kernelILb1ELi2EEEvPK6__halfPKjS6_S4_PS2_iiiibPKi.has_dyn_sized_stack, 0
	.set _ZN4vllm4gptq33gemm_half_q_half_gptq_3bit_kernelILb1ELi2EEEvPK6__halfPKjS6_S4_PS2_iiiibPKi.has_recursion, 0
	.set _ZN4vllm4gptq33gemm_half_q_half_gptq_3bit_kernelILb1ELi2EEEvPK6__halfPKjS6_S4_PS2_iiiibPKi.has_indirect_call, 0
	.section	.AMDGPU.csdata,"",@progbits
; Kernel info:
; codeLenInByte = 5784
; TotalNumSgprs: 32
; NumVgprs: 95
; ScratchSize: 0
; MemoryBound: 0
; FloatMode: 240
; IeeeMode: 1
; LDSByteSize: 512 bytes/workgroup (compile time only)
; SGPRBlocks: 0
; VGPRBlocks: 5
; NumSGPRsForWavesPerEU: 32
; NumVGPRsForWavesPerEU: 95
; NamedBarCnt: 0
; Occupancy: 10
; WaveLimiterHint : 0
; COMPUTE_PGM_RSRC2:SCRATCH_EN: 0
; COMPUTE_PGM_RSRC2:USER_SGPR: 2
; COMPUTE_PGM_RSRC2:TRAP_HANDLER: 0
; COMPUTE_PGM_RSRC2:TGID_X_EN: 1
; COMPUTE_PGM_RSRC2:TGID_Y_EN: 1
; COMPUTE_PGM_RSRC2:TGID_Z_EN: 1
; COMPUTE_PGM_RSRC2:TIDIG_COMP_CNT: 0
	.section	.text._ZN4vllm4gptq33gemm_half_q_half_gptq_4bit_kernelILb1ELi2EEEvPK6__halfPKjS6_S4_PS2_iiiibPKi,"axG",@progbits,_ZN4vllm4gptq33gemm_half_q_half_gptq_4bit_kernelILb1ELi2EEEvPK6__halfPKjS6_S4_PS2_iiiibPKi,comdat
	.protected	_ZN4vllm4gptq33gemm_half_q_half_gptq_4bit_kernelILb1ELi2EEEvPK6__halfPKjS6_S4_PS2_iiiibPKi ; -- Begin function _ZN4vllm4gptq33gemm_half_q_half_gptq_4bit_kernelILb1ELi2EEEvPK6__halfPKjS6_S4_PS2_iiiibPKi
	.globl	_ZN4vllm4gptq33gemm_half_q_half_gptq_4bit_kernelILb1ELi2EEEvPK6__halfPKjS6_S4_PS2_iiiibPKi
	.p2align	8
	.type	_ZN4vllm4gptq33gemm_half_q_half_gptq_4bit_kernelILb1ELi2EEEvPK6__halfPKjS6_S4_PS2_iiiibPKi,@function
_ZN4vllm4gptq33gemm_half_q_half_gptq_4bit_kernelILb1ELi2EEEvPK6__halfPKjS6_S4_PS2_iiiibPKi: ; @_ZN4vllm4gptq33gemm_half_q_half_gptq_4bit_kernelILb1ELi2EEEvPK6__halfPKjS6_S4_PS2_iiiibPKi
; %bb.0:
	s_load_b128 s[4:7], s[0:1], 0x2c
	s_bfe_u32 s2, ttmp6, 0x40010
	s_and_b32 s3, ttmp7, 0xffff
	s_add_co_i32 s2, s2, 1
	s_bfe_u32 s9, ttmp6, 0x40014
	s_mul_i32 s2, s3, s2
	s_bfe_u32 s8, ttmp6, 0x40004
	s_lshr_b32 s10, ttmp7, 16
	s_add_co_i32 s9, s9, 1
	s_add_co_i32 s8, s8, s2
	s_mul_i32 s2, s10, s9
	s_bfe_u32 s9, ttmp6, 0x40008
	s_getreg_b32 s17, hwreg(HW_REG_IB_STS2, 6, 4)
	s_add_co_i32 s9, s9, s2
	s_cmp_eq_u32 s17, 0
	s_mov_b32 s12, exec_lo
	s_cselect_b32 s2, s10, s9
	s_cselect_b32 s8, s3, s8
	s_lshl_b32 s15, s2, 7
	s_lshl_b32 s14, s8, 1
	s_add_co_i32 s2, s15, 0x80
	s_delay_alu instid0(SALU_CYCLE_1) | instskip(SKIP_3) | instid1(VALU_DEP_1)
	v_cvt_f64_u32_e32 v[2:3], s2
	s_load_b64 s[2:3], s[0:1], 0x10
	s_wait_kmcnt 0x0
	v_cvt_f64_i32_e32 v[4:5], s5
	v_min_num_f64_e32 v[2:3], v[2:3], v[4:5]
	s_delay_alu instid0(VALU_DEP_1) | instskip(SKIP_1) | instid1(VALU_DEP_2)
	v_cvt_i32_f64_e32 v1, v[2:3]
	v_add_nc_u32_e32 v2, s15, v0
	v_readfirstlane_b32 s16, v1
	s_delay_alu instid0(VALU_DEP_2)
	v_cmpx_lt_u32_e64 v2, v1
	s_cbranch_execz .LBB21_6
; %bb.1:
	s_clause 0x1
	s_load_b64 s[10:11], s[0:1], 0x40
	s_load_b64 s[8:9], s[0:1], 0x0
	v_mov_b32_e32 v3, 0
	s_delay_alu instid0(VALU_DEP_1)
	v_mov_b64_e32 v[6:7], v[2:3]
	s_wait_kmcnt 0x0
	v_lshl_add_u64 v[4:5], v[2:3], 2, s[10:11]
	s_cmp_lg_u64 s[10:11], 0
	s_cselect_b32 s13, -1, 0
	s_cmp_eq_u64 s[10:11], 0
	s_cbranch_scc1 .LBB21_3
; %bb.2:
	global_load_b32 v6, v[4:5], off
	s_wait_loadcnt 0x0
	v_ashrrev_i32_e32 v7, 31, v6
.LBB21_3:
	s_mul_i32 s10, s14, s5
	v_lshlrev_b32_e32 v1, 1, v0
	s_ashr_i32 s11, s10, 31
	s_and_not1_b32 vcc_lo, exec_lo, s13
	s_lshl_b64 s[18:19], s[10:11], 1
	s_delay_alu instid0(SALU_CYCLE_1) | instskip(NEXT) | instid1(SALU_CYCLE_1)
	s_add_nc_u64 s[18:19], s[8:9], s[18:19]
	v_lshl_add_u64 v[6:7], v[6:7], 1, s[18:19]
	global_load_u16 v6, v[6:7], off
	s_wait_loadcnt 0x0
	ds_store_b16 v1, v6
	s_cbranch_vccnz .LBB21_5
; %bb.4:
	global_load_b32 v2, v[4:5], off
	s_wait_loadcnt 0x0
	v_ashrrev_i32_e32 v3, 31, v2
.LBB21_5:
	s_add_co_i32 s10, s10, s5
	s_delay_alu instid0(SALU_CYCLE_1) | instskip(NEXT) | instid1(SALU_CYCLE_1)
	s_ashr_i32 s11, s10, 31
	s_lshl_b64 s[10:11], s[10:11], 1
	s_delay_alu instid0(SALU_CYCLE_1) | instskip(NEXT) | instid1(SALU_CYCLE_1)
	s_add_nc_u64 s[8:9], s[8:9], s[10:11]
	v_lshl_add_u64 v[2:3], v[2:3], 1, s[8:9]
	global_load_u16 v2, v[2:3], off
	s_wait_loadcnt 0x0
	ds_store_b16 v1, v2 offset:256
.LBB21_6:
	s_or_b32 exec_lo, exec_lo, s12
	s_clause 0x1
	s_load_b64 s[12:13], s[0:1], 0x8
	s_load_b128 s[8:11], s[0:1], 0x18
	s_wait_xcnt 0x0
	s_bfe_u32 s0, ttmp6, 0x4000c
	s_and_b32 s1, ttmp6, 15
	s_add_co_i32 s0, s0, 1
	v_lshlrev_b32_e32 v1, 2, v0
	s_mul_i32 s0, ttmp9, s0
	s_delay_alu instid0(SALU_CYCLE_1)
	s_add_co_i32 s1, s1, s0
	s_cmp_eq_u32 s17, 0
	s_cselect_b32 s0, ttmp9, s1
	s_mov_b32 s1, 0
	v_lshl_add_u32 v2, s0, 9, v1
	s_mov_b32 s0, exec_lo
	s_delay_alu instid0(VALU_DEP_1)
	v_cmpx_gt_i32_e64 s4, v2
	s_cbranch_execz .LBB21_20
; %bb.7:
	s_abs_i32 s17, s6
	v_mov_b32_e32 v5, 0
	s_cvt_f32_u32 s0, s17
	s_cmp_ge_i32 s15, s16
	s_wait_dscnt 0x0
	s_barrier_signal -1
	v_rcp_iflag_f32_e32 v1, s0
	v_dual_mov_b32 v4, v5 :: v_dual_mov_b32 v31, v5
	v_dual_mov_b32 v28, v5 :: v_dual_mov_b32 v30, v5
	;; [unrolled: 1-line block ×3, first 2 shown]
	s_delay_alu instid0(TRANS32_DEP_1)
	v_readfirstlane_b32 s0, v1
	v_mov_b32_e32 v33, v5
	s_barrier_wait -1
	s_cbranch_scc1 .LBB21_12
; %bb.8:
	s_mul_f32 s0, s0, 0x4f7ffffe
	v_dual_ashrrev_i32 v3, 31, v2 :: v_dual_lshlrev_b32 v0, 4, v0
	s_delay_alu instid0(SALU_CYCLE_2) | instskip(SKIP_1) | instid1(VALU_DEP_1)
	s_cvt_u32_f32 s18, s0
	s_sub_co_i32 s0, 0, s17
	v_and_b32_e32 v34, 16, v0
	s_delay_alu instid0(SALU_CYCLE_1)
	s_mul_i32 s19, s0, s18
	s_abs_i32 s0, s5
	s_mul_hi_u32 s20, s18, s19
	s_mov_b32 s19, s1
	s_add_co_i32 s18, s18, s20
	s_ashr_i32 s5, s5, 31
	s_mul_u64 s[18:19], s[0:1], s[18:19]
	s_ashr_i32 s1, s6, 31
	s_mul_i32 s6, s19, s17
	s_xor_b32 s1, s5, s1
	s_sub_co_i32 s0, s0, s6
	s_add_co_i32 s5, s19, 1
	s_sub_co_i32 s6, s0, s17
	s_cmp_ge_u32 s0, s17
	s_mov_b32 s20, 0x10001
	s_cselect_b32 s5, s5, s19
	s_cselect_b32 s0, s6, s0
	s_add_co_i32 s6, s5, 1
	s_cmp_ge_u32 s0, s17
	s_mov_b32 s19, 0
	s_cselect_b32 s0, s6, s5
	s_delay_alu instid0(SALU_CYCLE_1) | instskip(NEXT) | instid1(SALU_CYCLE_1)
	s_xor_b32 s0, s0, s1
	s_sub_co_i32 s17, s0, s1
	s_bitcmp1_b32 s7, 0
	s_cvt_f32_u32 s0, s17
	s_cselect_b32 s1, -1, 0
	s_sub_co_i32 s5, 0, s17
	s_xor_b32 s1, s1, -1
	v_rcp_iflag_f32_e32 v1, s0
	v_cndmask_b32_e64 v35, 0, 1, s1
	s_delay_alu instid0(TRANS32_DEP_1) | instskip(SKIP_1) | instid1(SALU_CYCLE_3)
	v_readfirstlane_b32 s0, v1
	s_mul_f32 s0, s0, 0x4f7ffffe
	s_cvt_u32_f32 s0, s0
	s_delay_alu instid0(SALU_CYCLE_3) | instskip(NEXT) | instid1(SALU_CYCLE_1)
	s_mul_i32 s5, s5, s0
	s_mul_hi_u32 s5, s0, s5
	s_delay_alu instid0(SALU_CYCLE_1) | instskip(NEXT) | instid1(SALU_CYCLE_1)
	s_add_co_i32 s0, s0, s5
	s_mul_hi_u32 s0, s15, s0
	s_delay_alu instid0(SALU_CYCLE_1) | instskip(SKIP_2) | instid1(SALU_CYCLE_1)
	s_mul_i32 s5, s0, s17
	s_add_co_i32 s6, s0, 1
	s_sub_co_i32 s5, s15, s5
	s_sub_co_i32 s7, s5, s17
	s_cmp_ge_u32 s5, s17
	s_cselect_b32 s0, s6, s0
	s_cselect_b32 s5, s7, s5
	s_add_co_i32 s6, s0, 1
	s_cmp_ge_u32 s5, s17
	s_cselect_b32 s18, s6, s0
	s_add_co_i32 s21, s17, s15
	s_mul_i32 s0, s18, s4
	s_delay_alu instid0(SALU_CYCLE_1) | instskip(SKIP_1) | instid1(SALU_CYCLE_1)
	v_dual_lshrrev_b32 v1, 29, v3 :: v_dual_add_nc_u32 v4, s0, v2
	s_ashr_i32 s5, s0, 31
	s_lshr_b32 s5, s5, 29
	s_delay_alu instid0(VALU_DEP_1)
	v_add_nc_u32_e32 v1, v2, v1
	s_add_co_i32 s5, s0, s5
	v_ashrrev_i32_e32 v5, 31, v4
	s_ashr_i32 s5, s5, 3
	s_lshr_b32 s0, s15, 3
	v_ashrrev_i32_e32 v11, 3, v1
	s_mul_i32 s6, s4, s0
	s_wait_kmcnt 0x0
	v_lshl_add_u64 v[4:5], v[4:5], 1, s[8:9]
	s_ashr_i32 s7, s6, 31
	v_add_nc_u32_e32 v1, s5, v11
	s_lshl_b64 s[6:7], s[6:7], 2
	global_load_b64 v[6:7], v[4:5], off
	s_wait_xcnt 0x0
	v_mov_b32_e32 v4, 0
	s_add_nc_u64 s[6:7], s[12:13], s[6:7]
	global_load_b32 v1, v1, s[2:3] scale_offset
	s_ashr_i32 s5, s4, 31
	s_mov_b32 s12, 0xf000f0
	s_lshl_b64 s[0:1], s[4:5], 4
	v_dual_mov_b32 v5, v4 :: v_dual_mov_b32 v33, v4
	v_dual_mov_b32 v32, v4 :: v_dual_mov_b32 v29, v4
	;; [unrolled: 1-line block ×3, first 2 shown]
	s_wait_loadcnt 0x1
	v_dual_mov_b32 v31, v4 :: v_dual_lshrrev_b32 v16, 16, v6
	v_lshrrev_b32_e32 v17, 16, v7
	v_cvt_f32_f16_e32 v36, v6
	s_wait_loadcnt 0x0
	v_lshrrev_b32_e32 v0, v0, v1
	v_cvt_f32_f16_e32 v6, v7
	v_cvt_f32_f16_e32 v37, v16
	;; [unrolled: 1-line block ×3, first 2 shown]
	s_delay_alu instid0(VALU_DEP_4) | instskip(NEXT) | instid1(VALU_DEP_1)
	v_lshrrev_b32_e32 v1, 12, v0
	v_dual_lshrrev_b32 v8, 8, v0 :: v_dual_bitop2_b32 v10, 15, v1 bitop3:0x40
	v_dual_lshrrev_b32 v9, 4, v0 :: v_dual_bitop2_b32 v12, 15, v0 bitop3:0x40
	v_lshl_add_u64 v[0:1], v[2:3], 2, s[6:7]
	s_delay_alu instid0(VALU_DEP_3) | instskip(NEXT) | instid1(VALU_DEP_3)
	v_dual_add_nc_u32 v3, v10, v35 :: v_dual_bitop2_b32 v8, 15, v8 bitop3:0x40
	v_and_b32_e32 v9, 15, v9
	s_lshl_b64 s[6:7], s[4:5], 2
	s_mov_b32 s5, 0xf000f
	s_delay_alu instid0(VALU_DEP_2) | instskip(SKIP_3) | instid1(VALU_DEP_3)
	v_mad_u32_u24 v41, v3, s20, 0xe400e400
	v_add_nc_u32_e32 v8, v8, v35
	v_dual_add_nc_u32 v10, v12, v35 :: v_dual_add_nc_u32 v9, v9, v35
	v_cvt_f32_ubyte0_e32 v12, v3
	v_cvt_f32_ubyte0_e32 v13, v8
	s_delay_alu instid0(VALU_DEP_3) | instskip(NEXT) | instid1(VALU_DEP_4)
	v_cvt_f32_ubyte0_e32 v14, v10
	v_cvt_f32_ubyte0_e32 v15, v9
	v_mad_u32_u24 v38, v10, s20, 0xe400e400
	v_mad_u32_u24 v39, v8, s20, 0xe400e400
	v_cvt_pk_f16_f32 v12, v13, v12
	v_mad_u32_u24 v40, v9, s20, 0xe400e400
	v_cvt_pk_f16_f32 v13, v14, v15
	s_delay_alu instid0(VALU_DEP_3) | instskip(NEXT) | instid1(VALU_DEP_2)
	v_pk_add_f16 v12, 0xd400, v12 op_sel_hi:[0,1] neg_lo:[0,1] neg_hi:[0,1]
	v_pk_add_f16 v10, 0xd400, v13 op_sel_hi:[0,1] neg_lo:[0,1] neg_hi:[0,1]
	s_delay_alu instid0(VALU_DEP_2) | instskip(NEXT) | instid1(VALU_DEP_2)
	v_and_b32_e32 v3, 0xffff, v12
	v_dual_lshrrev_b32 v8, 16, v12 :: v_dual_lshrrev_b32 v13, 16, v10
	v_and_b32_e32 v12, 0xffff, v10
	s_delay_alu instid0(VALU_DEP_3) | instskip(NEXT) | instid1(VALU_DEP_3)
	v_mul_u32_u24_e32 v10, 0x10001, v3
	v_mul_u32_u24_e32 v9, 0x10001, v8
	s_delay_alu instid0(VALU_DEP_4) | instskip(NEXT) | instid1(VALU_DEP_4)
	v_mul_u32_u24_e32 v3, 0x10001, v13
	v_mul_u32_u24_e32 v8, 0x10001, v12
	s_branch .LBB21_10
.LBB21_9:                               ;   in Loop: Header=BB21_10 Depth=1
	global_load_b128 v[12:15], v[0:1], off
	s_add_co_i32 s15, s15, 32
	v_mov_b32_e32 v42, s19
	s_add_co_i32 s19, s19, 64
	s_cmp_ge_i32 s15, s16
	s_wait_loadcnt 0x0
	v_and_or_b32 v16, v12, s5, 0x64006400
	v_and_or_b32 v17, v12, s12, 0x64006400
	v_lshrrev_b32_e32 v12, 8, v12
	s_delay_alu instid0(VALU_DEP_3) | instskip(SKIP_1) | instid1(VALU_DEP_3)
	v_pk_add_f16 v19, v38, v16
	v_and_or_b32 v16, v13, s12, 0x64006400
	v_and_or_b32 v18, v12, s5, 0x64006400
	;; [unrolled: 1-line block ×3, first 2 shown]
	v_pk_fma_f16 v20, 0x2c00, v17, v8 op_sel_hi:[0,1,1]
	s_delay_alu instid0(VALU_DEP_4) | instskip(NEXT) | instid1(VALU_DEP_4)
	v_pk_fma_f16 v24, 0x2c00, v16, v3 op_sel_hi:[0,1,1]
	v_pk_add_f16 v21, v38, v18
	s_delay_alu instid0(VALU_DEP_4) | instskip(SKIP_2) | instid1(VALU_DEP_2)
	v_pk_fma_f16 v22, 0x2c00, v12, v8 op_sel_hi:[0,1,1]
	v_and_or_b32 v12, v13, s5, 0x64006400
	v_lshrrev_b32_e32 v13, 8, v13
	v_pk_add_f16 v23, v40, v12
	s_delay_alu instid0(VALU_DEP_2) | instskip(SKIP_2) | instid1(VALU_DEP_3)
	v_and_or_b32 v17, v13, s5, 0x64006400
	v_and_or_b32 v13, v13, s12, 0x64006400
	;; [unrolled: 1-line block ×3, first 2 shown]
	v_pk_add_f16 v25, v40, v17
	s_delay_alu instid0(VALU_DEP_3) | instskip(SKIP_4) | instid1(VALU_DEP_4)
	v_pk_fma_f16 v26, 0x2c00, v13, v3 op_sel_hi:[0,1,1]
	v_and_or_b32 v13, v14, s12, 0x64006400
	v_lshrrev_b32_e32 v14, 8, v14
	v_pk_add_f16 v27, v39, v12
	v_and_or_b32 v12, v15, s5, 0x64006400
	v_pk_fma_f16 v43, 0x2c00, v13, v10 op_sel_hi:[0,1,1]
	v_and_or_b32 v13, v15, s12, 0x64006400
	v_and_or_b32 v16, v14, s5, 0x64006400
	s_delay_alu instid0(VALU_DEP_4) | instskip(SKIP_1) | instid1(VALU_DEP_4)
	v_pk_add_f16 v46, v41, v12
	v_and_or_b32 v14, v14, s12, 0x64006400
	v_pk_fma_f16 v47, 0x2c00, v13, v9 op_sel_hi:[0,1,1]
	ds_load_2addr_b32 v[12:13], v42 offset1:1
	v_pk_add_f16 v44, v39, v16
	v_pk_fma_f16 v45, 0x2c00, v14, v10 op_sel_hi:[0,1,1]
	v_lshrrev_b32_e32 v14, 8, v15
	s_delay_alu instid0(VALU_DEP_1) | instskip(SKIP_1) | instid1(VALU_DEP_2)
	v_and_or_b32 v15, v14, s5, 0x64006400
	v_and_or_b32 v14, v14, s12, 0x64006400
	v_pk_add_f16 v48, v41, v15
	s_delay_alu instid0(VALU_DEP_2) | instskip(SKIP_2) | instid1(VALU_DEP_1)
	v_pk_fma_f16 v49, 0x2c00, v14, v9 op_sel_hi:[0,1,1]
	s_wait_dscnt 0x0
	v_pk_fma_f16 v14, v19, v12, 0
	v_pk_fma_f16 v16, v20, v13, v14
	ds_load_2addr_b32 v[14:15], v42 offset0:2 offset1:3
	s_wait_dscnt 0x0
	v_pk_fma_f16 v16, v21, v14, v16
	s_delay_alu instid0(VALU_DEP_1) | instskip(NEXT) | instid1(VALU_DEP_1)
	v_pk_fma_f16 v16, v22, v15, v16
	v_cvt_f32_f16_e32 v17, v16
	v_lshrrev_b32_e32 v16, 16, v16
	s_delay_alu instid0(VALU_DEP_1) | instskip(NEXT) | instid1(VALU_DEP_1)
	v_cvt_f32_f16_e32 v16, v16
	v_add_f32_e32 v16, v16, v17
	s_delay_alu instid0(VALU_DEP_1) | instskip(SKIP_1) | instid1(VALU_DEP_1)
	v_fmac_f32_e32 v33, v16, v36
	v_pk_fma_f16 v16, v23, v12, 0
	v_pk_fma_f16 v16, v24, v13, v16
	s_delay_alu instid0(VALU_DEP_1) | instskip(NEXT) | instid1(VALU_DEP_1)
	v_pk_fma_f16 v16, v25, v14, v16
	v_pk_fma_f16 v16, v26, v15, v16
	s_delay_alu instid0(VALU_DEP_1) | instskip(SKIP_1) | instid1(VALU_DEP_1)
	v_cvt_f32_f16_e32 v17, v16
	v_lshrrev_b32_e32 v16, 16, v16
	v_cvt_f32_f16_e32 v16, v16
	s_delay_alu instid0(VALU_DEP_1) | instskip(NEXT) | instid1(VALU_DEP_1)
	v_add_f32_e32 v16, v16, v17
	v_fmac_f32_e32 v32, v16, v37
	v_pk_fma_f16 v16, v27, v12, 0
	v_pk_fma_f16 v12, v46, v12, 0
	s_delay_alu instid0(VALU_DEP_2) | instskip(NEXT) | instid1(VALU_DEP_2)
	v_pk_fma_f16 v16, v43, v13, v16
	v_pk_fma_f16 v12, v47, v13, v12
	s_delay_alu instid0(VALU_DEP_2) | instskip(NEXT) | instid1(VALU_DEP_2)
	;; [unrolled: 3-line block ×3, first 2 shown]
	v_pk_fma_f16 v16, v45, v15, v16
	v_pk_fma_f16 v12, v49, v15, v12
	s_delay_alu instid0(VALU_DEP_2) | instskip(SKIP_1) | instid1(VALU_DEP_3)
	v_cvt_f32_f16_e32 v17, v16
	v_lshrrev_b32_e32 v16, 16, v16
	v_cvt_f32_f16_e32 v13, v12
	v_lshrrev_b32_e32 v12, 16, v12
	s_delay_alu instid0(VALU_DEP_3) | instskip(NEXT) | instid1(VALU_DEP_2)
	v_cvt_f32_f16_e32 v16, v16
	v_cvt_f32_f16_e32 v12, v12
	s_delay_alu instid0(VALU_DEP_2) | instskip(NEXT) | instid1(VALU_DEP_2)
	v_add_f32_e32 v16, v16, v17
	v_add_f32_e32 v12, v12, v13
	s_delay_alu instid0(VALU_DEP_2)
	v_fmac_f32_e32 v29, v16, v6
	ds_load_2addr_b32 v[16:17], v42 offset0:64 offset1:65
	v_fmac_f32_e32 v30, v12, v7
	s_wait_dscnt 0x0
	v_pk_fma_f16 v12, v19, v16, 0
	ds_load_2addr_b32 v[18:19], v42 offset0:66 offset1:67
	v_pk_fma_f16 v12, v20, v17, v12
	s_wait_dscnt 0x0
	s_delay_alu instid0(VALU_DEP_1) | instskip(SKIP_2) | instid1(VALU_DEP_3)
	v_pk_fma_f16 v12, v21, v18, v12
	v_add_nc_u64_e32 v[20:21], s[6:7], v[0:1]
	v_add_nc_u64_e32 v[0:1], s[0:1], v[0:1]
	v_pk_fma_f16 v12, v22, v19, v12
	s_delay_alu instid0(VALU_DEP_1) | instskip(SKIP_1) | instid1(VALU_DEP_1)
	v_cvt_f32_f16_e32 v13, v12
	v_lshrrev_b32_e32 v12, 16, v12
	v_cvt_f32_f16_e32 v12, v12
	s_delay_alu instid0(VALU_DEP_1) | instskip(NEXT) | instid1(VALU_DEP_1)
	v_add_f32_e32 v12, v12, v13
	v_fmac_f32_e32 v28, v12, v36
	v_pk_fma_f16 v12, v23, v16, 0
	s_delay_alu instid0(VALU_DEP_1) | instskip(NEXT) | instid1(VALU_DEP_1)
	v_pk_fma_f16 v12, v24, v17, v12
	v_pk_fma_f16 v12, v25, v18, v12
	s_delay_alu instid0(VALU_DEP_1) | instskip(NEXT) | instid1(VALU_DEP_1)
	v_pk_fma_f16 v12, v26, v19, v12
	v_cvt_f32_f16_e32 v13, v12
	v_lshrrev_b32_e32 v12, 16, v12
	s_delay_alu instid0(VALU_DEP_1) | instskip(NEXT) | instid1(VALU_DEP_1)
	v_cvt_f32_f16_e32 v12, v12
	v_add_f32_e32 v12, v12, v13
	s_delay_alu instid0(VALU_DEP_1) | instskip(SKIP_1) | instid1(VALU_DEP_1)
	v_fmac_f32_e32 v31, v12, v37
	v_pk_fma_f16 v12, v27, v16, 0
	v_pk_fma_f16 v12, v43, v17, v12
	s_delay_alu instid0(VALU_DEP_1) | instskip(NEXT) | instid1(VALU_DEP_1)
	v_pk_fma_f16 v12, v44, v18, v12
	v_pk_fma_f16 v13, v45, v19, v12
	s_delay_alu instid0(VALU_DEP_1) | instskip(SKIP_1) | instid1(VALU_DEP_1)
	v_cvt_f32_f16_e32 v12, v13
	v_lshrrev_b32_e32 v13, 16, v13
	v_cvt_f32_f16_e32 v14, v13
	v_pk_fma_f16 v13, v46, v16, 0
	s_delay_alu instid0(VALU_DEP_1) | instskip(NEXT) | instid1(VALU_DEP_1)
	v_pk_fma_f16 v13, v47, v17, v13
	v_pk_fma_f16 v13, v48, v18, v13
	s_delay_alu instid0(VALU_DEP_1)
	v_pk_fma_f16 v13, v49, v19, v13
	global_load_b128 v[16:19], v[20:21], off
	v_lshrrev_b32_e32 v15, 16, v13
	v_cvt_f32_f16_e32 v13, v13
	s_wait_loadcnt 0x0
	v_and_or_b32 v22, v16, s5, 0x64006400
	v_and_or_b32 v23, v16, s12, 0x64006400
	v_lshrrev_b32_e32 v16, 8, v16
	s_delay_alu instid0(VALU_DEP_3) | instskip(SKIP_1) | instid1(VALU_DEP_3)
	v_pk_add_f16 v25, v38, v22
	v_and_or_b32 v22, v17, s12, 0x64006400
	v_and_or_b32 v24, v16, s5, 0x64006400
	;; [unrolled: 1-line block ×3, first 2 shown]
	v_pk_fma_f16 v26, 0x2c00, v23, v8 op_sel_hi:[0,1,1]
	s_delay_alu instid0(VALU_DEP_4) | instskip(NEXT) | instid1(VALU_DEP_4)
	v_pk_fma_f16 v45, 0x2c00, v22, v3 op_sel_hi:[0,1,1]
	v_pk_add_f16 v27, v38, v24
	s_delay_alu instid0(VALU_DEP_4) | instskip(SKIP_2) | instid1(VALU_DEP_2)
	v_pk_fma_f16 v43, 0x2c00, v16, v8 op_sel_hi:[0,1,1]
	v_and_or_b32 v16, v17, s5, 0x64006400
	v_lshrrev_b32_e32 v17, 8, v17
	v_pk_add_f16 v44, v40, v16
	s_delay_alu instid0(VALU_DEP_2) | instskip(SKIP_2) | instid1(VALU_DEP_3)
	v_and_or_b32 v23, v17, s5, 0x64006400
	v_and_or_b32 v17, v17, s12, 0x64006400
	;; [unrolled: 1-line block ×3, first 2 shown]
	v_pk_add_f16 v46, v40, v23
	s_delay_alu instid0(VALU_DEP_3) | instskip(SKIP_1) | instid1(VALU_DEP_4)
	v_pk_fma_f16 v47, 0x2c00, v17, v3 op_sel_hi:[0,1,1]
	v_and_or_b32 v17, v18, s12, 0x64006400
	v_pk_add_f16 v48, v39, v16
	v_and_or_b32 v16, v19, s5, 0x64006400
	v_lshrrev_b32_e32 v18, 8, v18
	s_delay_alu instid0(VALU_DEP_4) | instskip(SKIP_1) | instid1(VALU_DEP_4)
	v_pk_fma_f16 v49, 0x2c00, v17, v10 op_sel_hi:[0,1,1]
	v_and_or_b32 v17, v19, s12, 0x64006400
	v_pk_add_f16 v52, v41, v16
	s_delay_alu instid0(VALU_DEP_4) | instskip(SKIP_1) | instid1(VALU_DEP_4)
	v_and_or_b32 v22, v18, s5, 0x64006400
	v_and_or_b32 v18, v18, s12, 0x64006400
	v_pk_fma_f16 v53, 0x2c00, v17, v9 op_sel_hi:[0,1,1]
	ds_load_2addr_b32 v[16:17], v42 offset0:4 offset1:5
	v_pk_add_f16 v50, v39, v22
	v_pk_fma_f16 v51, 0x2c00, v18, v10 op_sel_hi:[0,1,1]
	v_lshrrev_b32_e32 v18, 8, v19
	v_cvt_f32_f16_e32 v15, v15
	s_delay_alu instid0(VALU_DEP_2) | instskip(SKIP_1) | instid1(VALU_DEP_3)
	v_and_or_b32 v19, v18, s5, 0x64006400
	v_and_or_b32 v18, v18, s12, 0x64006400
	v_pk_add_f32 v[12:13], v[12:13], v[14:15]
	s_delay_alu instid0(VALU_DEP_3) | instskip(NEXT) | instid1(VALU_DEP_3)
	v_pk_add_f16 v54, v41, v19
	v_pk_fma_f16 v55, 0x2c00, v18, v9 op_sel_hi:[0,1,1]
	s_delay_alu instid0(VALU_DEP_3) | instskip(SKIP_2) | instid1(VALU_DEP_1)
	v_pk_fma_f32 v[4:5], v[12:13], v[6:7], v[4:5]
	s_wait_dscnt 0x0
	v_pk_fma_f16 v18, v25, v16, 0
	v_pk_fma_f16 v22, v26, v17, v18
	ds_load_2addr_b32 v[18:19], v42 offset0:6 offset1:7
	s_wait_dscnt 0x0
	v_pk_fma_f16 v22, v27, v18, v22
	s_delay_alu instid0(VALU_DEP_1) | instskip(NEXT) | instid1(VALU_DEP_1)
	v_pk_fma_f16 v22, v43, v19, v22
	v_cvt_f32_f16_e32 v23, v22
	v_lshrrev_b32_e32 v22, 16, v22
	s_delay_alu instid0(VALU_DEP_1) | instskip(NEXT) | instid1(VALU_DEP_1)
	v_cvt_f32_f16_e32 v22, v22
	v_add_f32_e32 v22, v22, v23
	s_delay_alu instid0(VALU_DEP_1) | instskip(SKIP_1) | instid1(VALU_DEP_1)
	v_fmac_f32_e32 v33, v22, v36
	v_pk_fma_f16 v22, v44, v16, 0
	v_pk_fma_f16 v22, v45, v17, v22
	s_delay_alu instid0(VALU_DEP_1) | instskip(NEXT) | instid1(VALU_DEP_1)
	v_pk_fma_f16 v22, v46, v18, v22
	v_pk_fma_f16 v22, v47, v19, v22
	s_delay_alu instid0(VALU_DEP_1) | instskip(SKIP_1) | instid1(VALU_DEP_1)
	v_cvt_f32_f16_e32 v23, v22
	v_lshrrev_b32_e32 v22, 16, v22
	v_cvt_f32_f16_e32 v22, v22
	s_delay_alu instid0(VALU_DEP_1) | instskip(NEXT) | instid1(VALU_DEP_1)
	v_add_f32_e32 v22, v22, v23
	v_fmac_f32_e32 v32, v22, v37
	v_pk_fma_f16 v22, v48, v16, 0
	v_pk_fma_f16 v16, v52, v16, 0
	s_delay_alu instid0(VALU_DEP_2) | instskip(NEXT) | instid1(VALU_DEP_2)
	v_pk_fma_f16 v22, v49, v17, v22
	v_pk_fma_f16 v16, v53, v17, v16
	s_delay_alu instid0(VALU_DEP_2) | instskip(NEXT) | instid1(VALU_DEP_2)
	;; [unrolled: 3-line block ×3, first 2 shown]
	v_pk_fma_f16 v22, v51, v19, v22
	v_pk_fma_f16 v16, v55, v19, v16
	s_delay_alu instid0(VALU_DEP_2) | instskip(SKIP_1) | instid1(VALU_DEP_3)
	v_cvt_f32_f16_e32 v23, v22
	v_lshrrev_b32_e32 v22, 16, v22
	v_cvt_f32_f16_e32 v17, v16
	v_lshrrev_b32_e32 v16, 16, v16
	s_delay_alu instid0(VALU_DEP_3) | instskip(NEXT) | instid1(VALU_DEP_2)
	v_cvt_f32_f16_e32 v22, v22
	v_cvt_f32_f16_e32 v16, v16
	s_delay_alu instid0(VALU_DEP_1) | instskip(NEXT) | instid1(VALU_DEP_1)
	v_dual_add_f32 v22, v22, v23 :: v_dual_add_f32 v16, v16, v17
	v_fmac_f32_e32 v29, v22, v6
	ds_load_2addr_b32 v[22:23], v42 offset0:68 offset1:69
	v_fmac_f32_e32 v30, v16, v7
	s_wait_dscnt 0x0
	v_pk_fma_f16 v16, v25, v22, 0
	ds_load_2addr_b32 v[24:25], v42 offset0:70 offset1:71
	v_pk_fma_f16 v16, v26, v23, v16
	s_wait_dscnt 0x0
	s_delay_alu instid0(VALU_DEP_1) | instskip(NEXT) | instid1(VALU_DEP_1)
	v_pk_fma_f16 v16, v27, v24, v16
	v_pk_fma_f16 v16, v43, v25, v16
	s_delay_alu instid0(VALU_DEP_1) | instskip(SKIP_1) | instid1(VALU_DEP_1)
	v_cvt_f32_f16_e32 v17, v16
	v_lshrrev_b32_e32 v16, 16, v16
	v_cvt_f32_f16_e32 v16, v16
	s_delay_alu instid0(VALU_DEP_1) | instskip(NEXT) | instid1(VALU_DEP_1)
	v_add_f32_e32 v16, v16, v17
	v_fmac_f32_e32 v28, v16, v36
	v_pk_fma_f16 v16, v44, v22, 0
	s_delay_alu instid0(VALU_DEP_1) | instskip(NEXT) | instid1(VALU_DEP_1)
	v_pk_fma_f16 v16, v45, v23, v16
	v_pk_fma_f16 v16, v46, v24, v16
	s_delay_alu instid0(VALU_DEP_1) | instskip(NEXT) | instid1(VALU_DEP_1)
	v_pk_fma_f16 v16, v47, v25, v16
	v_cvt_f32_f16_e32 v17, v16
	v_lshrrev_b32_e32 v16, 16, v16
	s_delay_alu instid0(VALU_DEP_1) | instskip(NEXT) | instid1(VALU_DEP_1)
	v_cvt_f32_f16_e32 v16, v16
	v_add_f32_e32 v16, v16, v17
	s_delay_alu instid0(VALU_DEP_1) | instskip(SKIP_1) | instid1(VALU_DEP_1)
	v_fmac_f32_e32 v31, v16, v37
	v_pk_fma_f16 v16, v48, v22, 0
	v_pk_fma_f16 v16, v49, v23, v16
	s_delay_alu instid0(VALU_DEP_1) | instskip(NEXT) | instid1(VALU_DEP_1)
	v_pk_fma_f16 v16, v50, v24, v16
	v_pk_fma_f16 v17, v51, v25, v16
	s_delay_alu instid0(VALU_DEP_1) | instskip(SKIP_1) | instid1(VALU_DEP_1)
	v_cvt_f32_f16_e32 v16, v17
	v_lshrrev_b32_e32 v17, 16, v17
	v_cvt_f32_f16_e32 v18, v17
	v_pk_fma_f16 v17, v52, v22, 0
	s_delay_alu instid0(VALU_DEP_1) | instskip(NEXT) | instid1(VALU_DEP_1)
	v_pk_fma_f16 v17, v53, v23, v17
	v_pk_fma_f16 v17, v54, v24, v17
	s_delay_alu instid0(VALU_DEP_1) | instskip(SKIP_1) | instid1(VALU_DEP_2)
	v_pk_fma_f16 v17, v55, v25, v17
	v_add_nc_u64_e32 v[24:25], s[6:7], v[20:21]
	v_lshrrev_b32_e32 v19, 16, v17
	v_cvt_f32_f16_e32 v17, v17
	global_load_b128 v[20:23], v[24:25], off
	s_wait_xcnt 0x0
	v_add_nc_u64_e32 v[24:25], s[6:7], v[24:25]
	v_cvt_f32_f16_e32 v19, v19
	s_delay_alu instid0(VALU_DEP_1) | instskip(NEXT) | instid1(VALU_DEP_1)
	v_pk_add_f32 v[12:13], v[16:17], v[18:19]
	v_pk_fma_f32 v[4:5], v[12:13], v[6:7], v[4:5]
	s_wait_loadcnt 0x0
	v_and_or_b32 v26, v20, s5, 0x64006400
	v_and_or_b32 v27, v20, s12, 0x64006400
	v_lshrrev_b32_e32 v20, 8, v20
	s_delay_alu instid0(VALU_DEP_3) | instskip(SKIP_1) | instid1(VALU_DEP_3)
	v_pk_add_f16 v44, v38, v26
	v_and_or_b32 v26, v21, s12, 0x64006400
	v_and_or_b32 v43, v20, s5, 0x64006400
	;; [unrolled: 1-line block ×3, first 2 shown]
	v_pk_fma_f16 v45, 0x2c00, v27, v8 op_sel_hi:[0,1,1]
	s_delay_alu instid0(VALU_DEP_4) | instskip(NEXT) | instid1(VALU_DEP_4)
	v_pk_fma_f16 v48, 0x2c00, v26, v3 op_sel_hi:[0,1,1]
	v_pk_add_f16 v43, v38, v43
	s_delay_alu instid0(VALU_DEP_4) | instskip(SKIP_2) | instid1(VALU_DEP_2)
	v_pk_fma_f16 v46, 0x2c00, v20, v8 op_sel_hi:[0,1,1]
	v_and_or_b32 v20, v21, s5, 0x64006400
	v_lshrrev_b32_e32 v21, 8, v21
	v_pk_add_f16 v47, v40, v20
	s_delay_alu instid0(VALU_DEP_2) | instskip(SKIP_2) | instid1(VALU_DEP_3)
	v_and_or_b32 v27, v21, s5, 0x64006400
	v_and_or_b32 v21, v21, s12, 0x64006400
	v_and_or_b32 v20, v22, s5, 0x64006400
	v_pk_add_f16 v49, v40, v27
	s_delay_alu instid0(VALU_DEP_3) | instskip(SKIP_1) | instid1(VALU_DEP_4)
	v_pk_fma_f16 v50, 0x2c00, v21, v3 op_sel_hi:[0,1,1]
	v_and_or_b32 v21, v22, s12, 0x64006400
	v_pk_add_f16 v51, v39, v20
	v_and_or_b32 v20, v23, s5, 0x64006400
	v_lshrrev_b32_e32 v22, 8, v22
	s_delay_alu instid0(VALU_DEP_4) | instskip(SKIP_1) | instid1(VALU_DEP_4)
	v_pk_fma_f16 v52, 0x2c00, v21, v10 op_sel_hi:[0,1,1]
	v_and_or_b32 v21, v23, s12, 0x64006400
	v_pk_add_f16 v55, v41, v20
	s_delay_alu instid0(VALU_DEP_4) | instskip(SKIP_1) | instid1(VALU_DEP_4)
	v_and_or_b32 v26, v22, s5, 0x64006400
	v_and_or_b32 v22, v22, s12, 0x64006400
	v_pk_fma_f16 v56, 0x2c00, v21, v9 op_sel_hi:[0,1,1]
	ds_load_2addr_b32 v[20:21], v42 offset0:8 offset1:9
	v_pk_add_f16 v53, v39, v26
	v_pk_fma_f16 v54, 0x2c00, v22, v10 op_sel_hi:[0,1,1]
	v_lshrrev_b32_e32 v22, 8, v23
	s_delay_alu instid0(VALU_DEP_1) | instskip(SKIP_1) | instid1(VALU_DEP_2)
	v_and_or_b32 v23, v22, s5, 0x64006400
	v_and_or_b32 v22, v22, s12, 0x64006400
	v_pk_add_f16 v57, v41, v23
	s_delay_alu instid0(VALU_DEP_2) | instskip(SKIP_2) | instid1(VALU_DEP_1)
	v_pk_fma_f16 v58, 0x2c00, v22, v9 op_sel_hi:[0,1,1]
	s_wait_dscnt 0x0
	v_pk_fma_f16 v22, v44, v20, 0
	v_pk_fma_f16 v26, v45, v21, v22
	ds_load_2addr_b32 v[22:23], v42 offset0:10 offset1:11
	s_wait_dscnt 0x0
	v_pk_fma_f16 v26, v43, v22, v26
	s_delay_alu instid0(VALU_DEP_1) | instskip(NEXT) | instid1(VALU_DEP_1)
	v_pk_fma_f16 v26, v46, v23, v26
	v_cvt_f32_f16_e32 v27, v26
	v_lshrrev_b32_e32 v26, 16, v26
	s_delay_alu instid0(VALU_DEP_1) | instskip(NEXT) | instid1(VALU_DEP_1)
	v_cvt_f32_f16_e32 v26, v26
	v_add_f32_e32 v26, v26, v27
	s_delay_alu instid0(VALU_DEP_1) | instskip(SKIP_1) | instid1(VALU_DEP_1)
	v_fmac_f32_e32 v33, v26, v36
	v_pk_fma_f16 v26, v47, v20, 0
	v_pk_fma_f16 v26, v48, v21, v26
	s_delay_alu instid0(VALU_DEP_1) | instskip(NEXT) | instid1(VALU_DEP_1)
	v_pk_fma_f16 v26, v49, v22, v26
	v_pk_fma_f16 v26, v50, v23, v26
	s_delay_alu instid0(VALU_DEP_1) | instskip(SKIP_1) | instid1(VALU_DEP_1)
	v_cvt_f32_f16_e32 v27, v26
	v_lshrrev_b32_e32 v26, 16, v26
	v_cvt_f32_f16_e32 v26, v26
	s_delay_alu instid0(VALU_DEP_1) | instskip(NEXT) | instid1(VALU_DEP_1)
	v_add_f32_e32 v26, v26, v27
	v_fmac_f32_e32 v32, v26, v37
	v_pk_fma_f16 v26, v51, v20, 0
	v_pk_fma_f16 v20, v55, v20, 0
	s_delay_alu instid0(VALU_DEP_2) | instskip(NEXT) | instid1(VALU_DEP_2)
	v_pk_fma_f16 v26, v52, v21, v26
	v_pk_fma_f16 v20, v56, v21, v20
	s_delay_alu instid0(VALU_DEP_2) | instskip(NEXT) | instid1(VALU_DEP_2)
	;; [unrolled: 3-line block ×3, first 2 shown]
	v_pk_fma_f16 v26, v54, v23, v26
	v_pk_fma_f16 v20, v58, v23, v20
	s_delay_alu instid0(VALU_DEP_2) | instskip(SKIP_1) | instid1(VALU_DEP_3)
	v_cvt_f32_f16_e32 v27, v26
	v_lshrrev_b32_e32 v26, 16, v26
	v_cvt_f32_f16_e32 v21, v20
	v_lshrrev_b32_e32 v20, 16, v20
	s_delay_alu instid0(VALU_DEP_3) | instskip(NEXT) | instid1(VALU_DEP_2)
	v_cvt_f32_f16_e32 v26, v26
	v_cvt_f32_f16_e32 v20, v20
	s_delay_alu instid0(VALU_DEP_1) | instskip(NEXT) | instid1(VALU_DEP_1)
	v_dual_add_f32 v26, v26, v27 :: v_dual_add_f32 v20, v20, v21
	v_fmac_f32_e32 v29, v26, v6
	ds_load_2addr_b32 v[26:27], v42 offset0:72 offset1:73
	v_fmac_f32_e32 v30, v20, v7
	s_wait_dscnt 0x0
	v_pk_fma_f16 v20, v44, v26, 0
	s_delay_alu instid0(VALU_DEP_1) | instskip(SKIP_3) | instid1(VALU_DEP_1)
	v_pk_fma_f16 v20, v45, v27, v20
	ds_load_2addr_b32 v[44:45], v42 offset0:74 offset1:75
	s_wait_dscnt 0x0
	v_pk_fma_f16 v20, v43, v44, v20
	v_pk_fma_f16 v20, v46, v45, v20
	s_delay_alu instid0(VALU_DEP_1) | instskip(SKIP_1) | instid1(VALU_DEP_1)
	v_cvt_f32_f16_e32 v21, v20
	v_lshrrev_b32_e32 v20, 16, v20
	v_cvt_f32_f16_e32 v20, v20
	s_delay_alu instid0(VALU_DEP_1) | instskip(NEXT) | instid1(VALU_DEP_1)
	v_add_f32_e32 v20, v20, v21
	v_fmac_f32_e32 v28, v20, v36
	v_pk_fma_f16 v20, v47, v26, 0
	s_delay_alu instid0(VALU_DEP_1) | instskip(NEXT) | instid1(VALU_DEP_1)
	v_pk_fma_f16 v20, v48, v27, v20
	v_pk_fma_f16 v20, v49, v44, v20
	s_delay_alu instid0(VALU_DEP_1) | instskip(NEXT) | instid1(VALU_DEP_1)
	v_pk_fma_f16 v20, v50, v45, v20
	v_cvt_f32_f16_e32 v21, v20
	v_lshrrev_b32_e32 v20, 16, v20
	s_delay_alu instid0(VALU_DEP_1) | instskip(NEXT) | instid1(VALU_DEP_1)
	v_cvt_f32_f16_e32 v20, v20
	v_add_f32_e32 v20, v20, v21
	s_delay_alu instid0(VALU_DEP_1) | instskip(SKIP_1) | instid1(VALU_DEP_1)
	v_fmac_f32_e32 v31, v20, v37
	v_pk_fma_f16 v20, v51, v26, 0
	v_pk_fma_f16 v20, v52, v27, v20
	s_delay_alu instid0(VALU_DEP_1) | instskip(NEXT) | instid1(VALU_DEP_1)
	v_pk_fma_f16 v20, v53, v44, v20
	v_pk_fma_f16 v21, v54, v45, v20
	s_delay_alu instid0(VALU_DEP_1) | instskip(SKIP_1) | instid1(VALU_DEP_1)
	v_cvt_f32_f16_e32 v20, v21
	v_lshrrev_b32_e32 v21, 16, v21
	v_cvt_f32_f16_e32 v22, v21
	v_pk_fma_f16 v21, v55, v26, 0
	s_delay_alu instid0(VALU_DEP_1) | instskip(SKIP_2) | instid1(VALU_DEP_1)
	v_pk_fma_f16 v21, v56, v27, v21
	global_load_b128 v[24:27], v[24:25], off
	v_pk_fma_f16 v21, v57, v44, v21
	v_pk_fma_f16 v21, v58, v45, v21
	s_delay_alu instid0(VALU_DEP_1) | instskip(SKIP_1) | instid1(VALU_DEP_2)
	v_lshrrev_b32_e32 v23, 16, v21
	v_cvt_f32_f16_e32 v21, v21
	v_cvt_f32_f16_e32 v23, v23
	s_delay_alu instid0(VALU_DEP_1) | instskip(NEXT) | instid1(VALU_DEP_1)
	v_pk_add_f32 v[12:13], v[20:21], v[22:23]
	v_pk_fma_f32 v[4:5], v[12:13], v[6:7], v[4:5]
	s_wait_loadcnt 0x0
	v_and_or_b32 v43, v24, s5, 0x64006400
	v_and_or_b32 v44, v24, s12, 0x64006400
	v_lshrrev_b32_e32 v24, 8, v24
	s_delay_alu instid0(VALU_DEP_3) | instskip(SKIP_1) | instid1(VALU_DEP_3)
	v_pk_add_f16 v55, v38, v43
	v_and_or_b32 v43, v25, s12, 0x64006400
	v_and_or_b32 v45, v24, s5, 0x64006400
	;; [unrolled: 1-line block ×3, first 2 shown]
	v_pk_fma_f16 v56, 0x2c00, v44, v8 op_sel_hi:[0,1,1]
	s_delay_alu instid0(VALU_DEP_4) | instskip(NEXT) | instid1(VALU_DEP_4)
	v_pk_fma_f16 v52, 0x2c00, v43, v3 op_sel_hi:[0,1,1]
	v_pk_add_f16 v57, v38, v45
	s_delay_alu instid0(VALU_DEP_4) | instskip(SKIP_2) | instid1(VALU_DEP_2)
	v_pk_fma_f16 v58, 0x2c00, v24, v8 op_sel_hi:[0,1,1]
	v_and_or_b32 v24, v25, s5, 0x64006400
	v_lshrrev_b32_e32 v25, 8, v25
	v_pk_add_f16 v51, v40, v24
	s_delay_alu instid0(VALU_DEP_2) | instskip(SKIP_2) | instid1(VALU_DEP_3)
	v_and_or_b32 v44, v25, s5, 0x64006400
	v_and_or_b32 v25, v25, s12, 0x64006400
	;; [unrolled: 1-line block ×3, first 2 shown]
	v_pk_add_f16 v53, v40, v44
	s_delay_alu instid0(VALU_DEP_3) | instskip(SKIP_1) | instid1(VALU_DEP_4)
	v_pk_fma_f16 v54, 0x2c00, v25, v3 op_sel_hi:[0,1,1]
	v_and_or_b32 v25, v26, s12, 0x64006400
	v_pk_add_f16 v46, v39, v24
	v_and_or_b32 v24, v27, s5, 0x64006400
	v_lshrrev_b32_e32 v26, 8, v26
	s_delay_alu instid0(VALU_DEP_4) | instskip(SKIP_1) | instid1(VALU_DEP_4)
	v_pk_fma_f16 v47, 0x2c00, v25, v10 op_sel_hi:[0,1,1]
	v_and_or_b32 v25, v27, s12, 0x64006400
	v_pk_add_f16 v50, v41, v24
	s_delay_alu instid0(VALU_DEP_4) | instskip(SKIP_1) | instid1(VALU_DEP_4)
	v_and_or_b32 v43, v26, s5, 0x64006400
	v_and_or_b32 v26, v26, s12, 0x64006400
	v_pk_fma_f16 v45, 0x2c00, v25, v9 op_sel_hi:[0,1,1]
	ds_load_2addr_b32 v[24:25], v42 offset0:12 offset1:13
	v_pk_add_f16 v48, v39, v43
	v_pk_fma_f16 v49, 0x2c00, v26, v10 op_sel_hi:[0,1,1]
	v_lshrrev_b32_e32 v26, 8, v27
	s_delay_alu instid0(VALU_DEP_1) | instskip(SKIP_1) | instid1(VALU_DEP_2)
	v_and_or_b32 v27, v26, s5, 0x64006400
	v_and_or_b32 v26, v26, s12, 0x64006400
	v_pk_add_f16 v44, v41, v27
	s_delay_alu instid0(VALU_DEP_2) | instskip(SKIP_2) | instid1(VALU_DEP_1)
	v_pk_fma_f16 v43, 0x2c00, v26, v9 op_sel_hi:[0,1,1]
	s_wait_dscnt 0x0
	v_pk_fma_f16 v26, v55, v24, 0
	v_pk_fma_f16 v59, v56, v25, v26
	ds_load_2addr_b32 v[26:27], v42 offset0:14 offset1:15
	s_wait_dscnt 0x0
	v_pk_fma_f16 v59, v57, v26, v59
	s_delay_alu instid0(VALU_DEP_1) | instskip(NEXT) | instid1(VALU_DEP_1)
	v_pk_fma_f16 v59, v58, v27, v59
	v_cvt_f32_f16_e32 v60, v59
	v_lshrrev_b32_e32 v59, 16, v59
	s_delay_alu instid0(VALU_DEP_1) | instskip(NEXT) | instid1(VALU_DEP_1)
	v_cvt_f32_f16_e32 v59, v59
	v_add_f32_e32 v59, v59, v60
	s_delay_alu instid0(VALU_DEP_1) | instskip(SKIP_1) | instid1(VALU_DEP_1)
	v_fmac_f32_e32 v33, v59, v36
	v_pk_fma_f16 v59, v51, v24, 0
	v_pk_fma_f16 v59, v52, v25, v59
	s_delay_alu instid0(VALU_DEP_1) | instskip(NEXT) | instid1(VALU_DEP_1)
	v_pk_fma_f16 v59, v53, v26, v59
	v_pk_fma_f16 v59, v54, v27, v59
	s_delay_alu instid0(VALU_DEP_1) | instskip(SKIP_1) | instid1(VALU_DEP_1)
	v_cvt_f32_f16_e32 v60, v59
	v_lshrrev_b32_e32 v59, 16, v59
	v_cvt_f32_f16_e32 v59, v59
	s_delay_alu instid0(VALU_DEP_1) | instskip(NEXT) | instid1(VALU_DEP_1)
	v_add_f32_e32 v59, v59, v60
	v_fmac_f32_e32 v32, v59, v37
	v_pk_fma_f16 v59, v46, v24, 0
	v_pk_fma_f16 v24, v50, v24, 0
	s_delay_alu instid0(VALU_DEP_2) | instskip(NEXT) | instid1(VALU_DEP_2)
	v_pk_fma_f16 v59, v47, v25, v59
	v_pk_fma_f16 v24, v45, v25, v24
	s_delay_alu instid0(VALU_DEP_2) | instskip(NEXT) | instid1(VALU_DEP_2)
	;; [unrolled: 3-line block ×3, first 2 shown]
	v_pk_fma_f16 v59, v49, v27, v59
	v_pk_fma_f16 v24, v43, v27, v24
	ds_load_2addr_b32 v[26:27], v42 offset0:76 offset1:77
	v_cvt_f32_f16_e32 v60, v59
	v_cvt_f32_f16_e32 v25, v24
	v_dual_lshrrev_b32 v24, 16, v24 :: v_dual_lshrrev_b32 v59, 16, v59
	s_delay_alu instid0(VALU_DEP_1) | instskip(NEXT) | instid1(VALU_DEP_2)
	v_cvt_f32_f16_e32 v24, v24
	v_cvt_f32_f16_e32 v59, v59
	s_delay_alu instid0(VALU_DEP_1) | instskip(NEXT) | instid1(VALU_DEP_1)
	v_dual_add_f32 v24, v24, v25 :: v_dual_add_f32 v59, v59, v60
	v_fmac_f32_e32 v30, v24, v7
	s_wait_dscnt 0x0
	v_pk_fma_f16 v24, v55, v26, 0
	s_delay_alu instid0(VALU_DEP_1) | instskip(SKIP_3) | instid1(VALU_DEP_1)
	v_pk_fma_f16 v55, v56, v27, v24
	ds_load_2addr_b32 v[24:25], v42 offset0:78 offset1:79
	s_wait_dscnt 0x0
	v_pk_fma_f16 v42, v57, v24, v55
	v_pk_fma_f16 v42, v58, v25, v42
	s_delay_alu instid0(VALU_DEP_1) | instskip(SKIP_1) | instid1(VALU_DEP_1)
	v_cvt_f32_f16_e32 v55, v42
	v_lshrrev_b32_e32 v42, 16, v42
	v_cvt_f32_f16_e32 v42, v42
	s_delay_alu instid0(VALU_DEP_1) | instskip(NEXT) | instid1(VALU_DEP_1)
	v_dual_fmac_f32 v29, v59, v6 :: v_dual_add_f32 v42, v42, v55
	v_fmac_f32_e32 v28, v42, v36
	v_pk_fma_f16 v42, v51, v26, 0
	s_delay_alu instid0(VALU_DEP_1) | instskip(NEXT) | instid1(VALU_DEP_1)
	v_pk_fma_f16 v42, v52, v27, v42
	v_pk_fma_f16 v42, v53, v24, v42
	s_delay_alu instid0(VALU_DEP_1) | instskip(NEXT) | instid1(VALU_DEP_1)
	v_pk_fma_f16 v42, v54, v25, v42
	v_cvt_f32_f16_e32 v51, v42
	v_lshrrev_b32_e32 v42, 16, v42
	s_delay_alu instid0(VALU_DEP_1) | instskip(NEXT) | instid1(VALU_DEP_1)
	v_cvt_f32_f16_e32 v42, v42
	v_add_f32_e32 v42, v42, v51
	s_delay_alu instid0(VALU_DEP_1) | instskip(SKIP_2) | instid1(VALU_DEP_2)
	v_fmac_f32_e32 v31, v42, v37
	v_pk_fma_f16 v42, v46, v26, 0
	v_pk_fma_f16 v26, v50, v26, 0
	v_pk_fma_f16 v42, v47, v27, v42
	s_delay_alu instid0(VALU_DEP_2) | instskip(NEXT) | instid1(VALU_DEP_2)
	v_pk_fma_f16 v26, v45, v27, v26
	v_pk_fma_f16 v42, v48, v24, v42
	s_delay_alu instid0(VALU_DEP_2) | instskip(NEXT) | instid1(VALU_DEP_2)
	v_pk_fma_f16 v24, v44, v24, v26
	v_pk_fma_f16 v46, v49, v25, v42
	s_delay_alu instid0(VALU_DEP_2) | instskip(NEXT) | instid1(VALU_DEP_2)
	v_pk_fma_f16 v24, v43, v25, v24
	v_cvt_f32_f16_e32 v42, v46
	s_delay_alu instid0(VALU_DEP_2) | instskip(SKIP_1) | instid1(VALU_DEP_2)
	v_dual_lshrrev_b32 v46, 16, v46 :: v_dual_lshrrev_b32 v25, 16, v24
	v_cvt_f32_f16_e32 v43, v24
	v_cvt_f32_f16_e32 v46, v46
	s_delay_alu instid0(VALU_DEP_3) | instskip(NEXT) | instid1(VALU_DEP_1)
	v_cvt_f32_f16_e32 v47, v25
	v_pk_add_f32 v[12:13], v[42:43], v[46:47]
	s_delay_alu instid0(VALU_DEP_1)
	v_pk_fma_f32 v[4:5], v[12:13], v[6:7], v[4:5]
	s_cbranch_scc1 .LBB21_12
.LBB21_10:                              ; =>This Inner Loop Header: Depth=1
	s_cmp_lg_u32 s15, s21
	s_cbranch_scc1 .LBB21_9
; %bb.11:                               ;   in Loop: Header=BB21_10 Depth=1
	s_add_co_i32 s18, s18, 1
	s_add_co_i32 s21, s21, s17
	s_mul_i32 s13, s18, s4
	s_delay_alu instid0(SALU_CYCLE_1) | instskip(SKIP_2) | instid1(SALU_CYCLE_1)
	s_ashr_i32 s22, s13, 31
	v_add_nc_u32_e32 v6, s13, v2
	s_lshr_b32 s22, s22, 29
	s_add_co_i32 s22, s13, s22
	s_delay_alu instid0(SALU_CYCLE_1) | instskip(NEXT) | instid1(SALU_CYCLE_1)
	s_ashr_i32 s22, s22, 3
	v_add_nc_u32_e32 v3, s22, v11
	global_load_b32 v3, v3, s[2:3] scale_offset
	s_wait_loadcnt 0x0
	v_dual_ashrrev_i32 v7, 31, v6 :: v_dual_lshrrev_b32 v3, v34, v3
	s_delay_alu instid0(VALU_DEP_1) | instskip(NEXT) | instid1(VALU_DEP_2)
	v_lshl_add_u64 v[6:7], v[6:7], 1, s[8:9]
	v_dual_lshrrev_b32 v8, 4, v3 :: v_dual_lshrrev_b32 v9, 12, v3
	global_load_b64 v[6:7], v[6:7], off
	v_dual_lshrrev_b32 v10, 8, v3 :: v_dual_bitop2_b32 v3, 15, v3 bitop3:0x40
	s_delay_alu instid0(VALU_DEP_1) | instskip(NEXT) | instid1(VALU_DEP_1)
	v_dual_add_nc_u32 v3, v3, v35 :: v_dual_bitop2_b32 v8, 15, v8 bitop3:0x40
	v_dual_add_nc_u32 v8, v8, v35 :: v_dual_bitop2_b32 v9, 15, v9 bitop3:0x40
	s_delay_alu instid0(VALU_DEP_3) | instskip(NEXT) | instid1(VALU_DEP_3)
	v_and_b32_e32 v10, 15, v10
	v_cvt_f32_ubyte0_e32 v12, v3
	s_delay_alu instid0(VALU_DEP_3) | instskip(NEXT) | instid1(VALU_DEP_4)
	v_add_nc_u32_e32 v9, v9, v35
	v_cvt_f32_ubyte0_e32 v13, v8
	s_delay_alu instid0(VALU_DEP_4)
	v_add_nc_u32_e32 v10, v10, v35
	v_mad_u32_u24 v38, v3, s20, 0xe400e400
	v_mad_u32_u24 v40, v8, s20, 0xe400e400
	v_cvt_f32_ubyte0_e32 v14, v9
	v_cvt_pk_f16_f32 v12, v12, v13
	v_mad_u32_u24 v41, v9, s20, 0xe400e400
	s_delay_alu instid0(VALU_DEP_2) | instskip(NEXT) | instid1(VALU_DEP_1)
	v_pk_add_f16 v12, 0xd400, v12 op_sel_hi:[0,1] neg_lo:[0,1] neg_hi:[0,1]
	v_and_b32_e32 v8, 0xffff, v12
	s_delay_alu instid0(VALU_DEP_1)
	v_mul_u32_u24_e32 v8, 0x10001, v8
	s_wait_loadcnt 0x0
	v_lshrrev_b32_e32 v16, 16, v6
	v_cvt_f32_ubyte0_e32 v15, v10
	v_lshrrev_b32_e32 v17, 16, v7
	v_mad_u32_u24 v39, v10, s20, 0xe400e400
	v_lshrrev_b32_e32 v10, 16, v12
	v_cvt_f32_f16_e32 v36, v6
	v_cvt_pk_f16_f32 v13, v15, v14
	v_cvt_f32_f16_e32 v6, v7
	v_cvt_f32_f16_e32 v37, v16
	;; [unrolled: 1-line block ×3, first 2 shown]
	s_delay_alu instid0(VALU_DEP_4) | instskip(NEXT) | instid1(VALU_DEP_1)
	v_pk_add_f16 v3, 0xd400, v13 op_sel_hi:[0,1] neg_lo:[0,1] neg_hi:[0,1]
	v_and_b32_e32 v12, 0xffff, v3
	v_lshrrev_b32_e32 v13, 16, v3
	v_mul_u32_u24_e32 v3, 0x10001, v10
	s_delay_alu instid0(VALU_DEP_3) | instskip(NEXT) | instid1(VALU_DEP_3)
	v_mul_u32_u24_e32 v10, 0x10001, v12
	v_mul_u32_u24_e32 v9, 0x10001, v13
	s_branch .LBB21_9
.LBB21_12:
	v_mad_u32 v0, s14, s4, v2
	s_mov_b32 s0, 0
	s_delay_alu instid0(VALU_DEP_1) | instskip(SKIP_1) | instid1(VALU_DEP_1)
	v_ashrrev_i32_e32 v1, 31, v0
	s_wait_kmcnt 0x0
	v_lshl_add_u64 v[2:3], v[0:1], 1, s[10:11]
	v_cvt_pk_f16_f32 v1, v33, v32
	global_load_b32 v7, v[2:3], off
.LBB21_13:                              ; =>This Inner Loop Header: Depth=1
	s_wait_loadcnt 0x0
	v_pk_add_f16 v6, v1, v7
	global_atomic_cmpswap_b32 v6, v[2:3], v[6:7], off th:TH_ATOMIC_RETURN scope:SCOPE_DEV
	s_wait_loadcnt 0x0
	v_cmp_eq_u32_e32 vcc_lo, v7, v6
	v_mov_b32_e32 v7, v6
	s_or_b32 s0, vcc_lo, s0
	s_delay_alu instid0(SALU_CYCLE_1)
	s_and_not1_b32 exec_lo, exec_lo, s0
	s_cbranch_execnz .LBB21_13
; %bb.14:
	s_or_b32 exec_lo, exec_lo, s0
	global_load_b32 v7, v[2:3], off offset:4
	v_cvt_pk_f16_f32 v1, v29, v30
	s_mov_b32 s0, 0
.LBB21_15:                              ; =>This Inner Loop Header: Depth=1
	s_wait_loadcnt 0x0
	s_delay_alu instid0(VALU_DEP_1)
	v_pk_add_f16 v6, v1, v7
	global_atomic_cmpswap_b32 v6, v[2:3], v[6:7], off offset:4 th:TH_ATOMIC_RETURN scope:SCOPE_DEV
	s_wait_loadcnt 0x0
	v_cmp_eq_u32_e32 vcc_lo, v7, v6
	v_mov_b32_e32 v7, v6
	s_or_b32 s0, vcc_lo, s0
	s_delay_alu instid0(SALU_CYCLE_1)
	s_and_not1_b32 exec_lo, exec_lo, s0
	s_cbranch_execnz .LBB21_15
; %bb.16:
	s_or_b32 exec_lo, exec_lo, s0
	v_add_nc_u32_e32 v0, s4, v0
	v_cvt_pk_f16_f32 v6, v28, v31
	s_mov_b32 s0, 0
	s_delay_alu instid0(VALU_DEP_2) | instskip(NEXT) | instid1(VALU_DEP_1)
	v_ashrrev_i32_e32 v1, 31, v0
	v_lshl_add_u64 v[0:1], v[0:1], 1, s[10:11]
	global_load_b32 v3, v[0:1], off
.LBB21_17:                              ; =>This Inner Loop Header: Depth=1
	s_wait_loadcnt 0x0
	v_pk_add_f16 v2, v6, v3
	global_atomic_cmpswap_b32 v2, v[0:1], v[2:3], off th:TH_ATOMIC_RETURN scope:SCOPE_DEV
	s_wait_loadcnt 0x0
	v_cmp_eq_u32_e32 vcc_lo, v3, v2
	v_mov_b32_e32 v3, v2
	s_or_b32 s0, vcc_lo, s0
	s_delay_alu instid0(SALU_CYCLE_1)
	s_and_not1_b32 exec_lo, exec_lo, s0
	s_cbranch_execnz .LBB21_17
; %bb.18:
	s_or_b32 exec_lo, exec_lo, s0
	global_load_b32 v3, v[0:1], off offset:4
	v_cvt_pk_f16_f32 v4, v4, v5
	s_mov_b32 s0, 0
.LBB21_19:                              ; =>This Inner Loop Header: Depth=1
	s_wait_loadcnt 0x0
	s_delay_alu instid0(VALU_DEP_1)
	v_pk_add_f16 v2, v4, v3
	global_atomic_cmpswap_b32 v2, v[0:1], v[2:3], off offset:4 th:TH_ATOMIC_RETURN scope:SCOPE_DEV
	s_wait_loadcnt 0x0
	v_cmp_eq_u32_e32 vcc_lo, v3, v2
	v_mov_b32_e32 v3, v2
	s_or_b32 s0, vcc_lo, s0
	s_delay_alu instid0(SALU_CYCLE_1)
	s_and_not1_b32 exec_lo, exec_lo, s0
	s_cbranch_execnz .LBB21_19
.LBB21_20:
	s_endpgm
	.section	.rodata,"a",@progbits
	.p2align	6, 0x0
	.amdhsa_kernel _ZN4vllm4gptq33gemm_half_q_half_gptq_4bit_kernelILb1ELi2EEEvPK6__halfPKjS6_S4_PS2_iiiibPKi
		.amdhsa_group_segment_fixed_size 512
		.amdhsa_private_segment_fixed_size 0
		.amdhsa_kernarg_size 72
		.amdhsa_user_sgpr_count 2
		.amdhsa_user_sgpr_dispatch_ptr 0
		.amdhsa_user_sgpr_queue_ptr 0
		.amdhsa_user_sgpr_kernarg_segment_ptr 1
		.amdhsa_user_sgpr_dispatch_id 0
		.amdhsa_user_sgpr_kernarg_preload_length 0
		.amdhsa_user_sgpr_kernarg_preload_offset 0
		.amdhsa_user_sgpr_private_segment_size 0
		.amdhsa_wavefront_size32 1
		.amdhsa_uses_dynamic_stack 0
		.amdhsa_enable_private_segment 0
		.amdhsa_system_sgpr_workgroup_id_x 1
		.amdhsa_system_sgpr_workgroup_id_y 1
		.amdhsa_system_sgpr_workgroup_id_z 1
		.amdhsa_system_sgpr_workgroup_info 0
		.amdhsa_system_vgpr_workitem_id 0
		.amdhsa_next_free_vgpr 61
		.amdhsa_next_free_sgpr 23
		.amdhsa_named_barrier_count 0
		.amdhsa_reserve_vcc 1
		.amdhsa_float_round_mode_32 0
		.amdhsa_float_round_mode_16_64 0
		.amdhsa_float_denorm_mode_32 3
		.amdhsa_float_denorm_mode_16_64 3
		.amdhsa_fp16_overflow 0
		.amdhsa_memory_ordered 1
		.amdhsa_forward_progress 1
		.amdhsa_inst_pref_size 48
		.amdhsa_round_robin_scheduling 0
		.amdhsa_exception_fp_ieee_invalid_op 0
		.amdhsa_exception_fp_denorm_src 0
		.amdhsa_exception_fp_ieee_div_zero 0
		.amdhsa_exception_fp_ieee_overflow 0
		.amdhsa_exception_fp_ieee_underflow 0
		.amdhsa_exception_fp_ieee_inexact 0
		.amdhsa_exception_int_div_zero 0
	.end_amdhsa_kernel
	.section	.text._ZN4vllm4gptq33gemm_half_q_half_gptq_4bit_kernelILb1ELi2EEEvPK6__halfPKjS6_S4_PS2_iiiibPKi,"axG",@progbits,_ZN4vllm4gptq33gemm_half_q_half_gptq_4bit_kernelILb1ELi2EEEvPK6__halfPKjS6_S4_PS2_iiiibPKi,comdat
.Lfunc_end21:
	.size	_ZN4vllm4gptq33gemm_half_q_half_gptq_4bit_kernelILb1ELi2EEEvPK6__halfPKjS6_S4_PS2_iiiibPKi, .Lfunc_end21-_ZN4vllm4gptq33gemm_half_q_half_gptq_4bit_kernelILb1ELi2EEEvPK6__halfPKjS6_S4_PS2_iiiibPKi
                                        ; -- End function
	.set _ZN4vllm4gptq33gemm_half_q_half_gptq_4bit_kernelILb1ELi2EEEvPK6__halfPKjS6_S4_PS2_iiiibPKi.num_vgpr, 61
	.set _ZN4vllm4gptq33gemm_half_q_half_gptq_4bit_kernelILb1ELi2EEEvPK6__halfPKjS6_S4_PS2_iiiibPKi.num_agpr, 0
	.set _ZN4vllm4gptq33gemm_half_q_half_gptq_4bit_kernelILb1ELi2EEEvPK6__halfPKjS6_S4_PS2_iiiibPKi.numbered_sgpr, 23
	.set _ZN4vllm4gptq33gemm_half_q_half_gptq_4bit_kernelILb1ELi2EEEvPK6__halfPKjS6_S4_PS2_iiiibPKi.num_named_barrier, 0
	.set _ZN4vllm4gptq33gemm_half_q_half_gptq_4bit_kernelILb1ELi2EEEvPK6__halfPKjS6_S4_PS2_iiiibPKi.private_seg_size, 0
	.set _ZN4vllm4gptq33gemm_half_q_half_gptq_4bit_kernelILb1ELi2EEEvPK6__halfPKjS6_S4_PS2_iiiibPKi.uses_vcc, 1
	.set _ZN4vllm4gptq33gemm_half_q_half_gptq_4bit_kernelILb1ELi2EEEvPK6__halfPKjS6_S4_PS2_iiiibPKi.uses_flat_scratch, 0
	.set _ZN4vllm4gptq33gemm_half_q_half_gptq_4bit_kernelILb1ELi2EEEvPK6__halfPKjS6_S4_PS2_iiiibPKi.has_dyn_sized_stack, 0
	.set _ZN4vllm4gptq33gemm_half_q_half_gptq_4bit_kernelILb1ELi2EEEvPK6__halfPKjS6_S4_PS2_iiiibPKi.has_recursion, 0
	.set _ZN4vllm4gptq33gemm_half_q_half_gptq_4bit_kernelILb1ELi2EEEvPK6__halfPKjS6_S4_PS2_iiiibPKi.has_indirect_call, 0
	.section	.AMDGPU.csdata,"",@progbits
; Kernel info:
; codeLenInByte = 6060
; TotalNumSgprs: 25
; NumVgprs: 61
; ScratchSize: 0
; MemoryBound: 0
; FloatMode: 240
; IeeeMode: 1
; LDSByteSize: 512 bytes/workgroup (compile time only)
; SGPRBlocks: 0
; VGPRBlocks: 3
; NumSGPRsForWavesPerEU: 25
; NumVGPRsForWavesPerEU: 61
; NamedBarCnt: 0
; Occupancy: 16
; WaveLimiterHint : 0
; COMPUTE_PGM_RSRC2:SCRATCH_EN: 0
; COMPUTE_PGM_RSRC2:USER_SGPR: 2
; COMPUTE_PGM_RSRC2:TRAP_HANDLER: 0
; COMPUTE_PGM_RSRC2:TGID_X_EN: 1
; COMPUTE_PGM_RSRC2:TGID_Y_EN: 1
; COMPUTE_PGM_RSRC2:TGID_Z_EN: 1
; COMPUTE_PGM_RSRC2:TIDIG_COMP_CNT: 0
	.section	.text._ZN4vllm4gptq33gemm_half_q_half_gptq_8bit_kernelILb1ELi2EEEvPK6__halfPKjS6_S4_PS2_iiiibPKi,"axG",@progbits,_ZN4vllm4gptq33gemm_half_q_half_gptq_8bit_kernelILb1ELi2EEEvPK6__halfPKjS6_S4_PS2_iiiibPKi,comdat
	.protected	_ZN4vllm4gptq33gemm_half_q_half_gptq_8bit_kernelILb1ELi2EEEvPK6__halfPKjS6_S4_PS2_iiiibPKi ; -- Begin function _ZN4vllm4gptq33gemm_half_q_half_gptq_8bit_kernelILb1ELi2EEEvPK6__halfPKjS6_S4_PS2_iiiibPKi
	.globl	_ZN4vllm4gptq33gemm_half_q_half_gptq_8bit_kernelILb1ELi2EEEvPK6__halfPKjS6_S4_PS2_iiiibPKi
	.p2align	8
	.type	_ZN4vllm4gptq33gemm_half_q_half_gptq_8bit_kernelILb1ELi2EEEvPK6__halfPKjS6_S4_PS2_iiiibPKi,@function
_ZN4vllm4gptq33gemm_half_q_half_gptq_8bit_kernelILb1ELi2EEEvPK6__halfPKjS6_S4_PS2_iiiibPKi: ; @_ZN4vllm4gptq33gemm_half_q_half_gptq_8bit_kernelILb1ELi2EEEvPK6__halfPKjS6_S4_PS2_iiiibPKi
; %bb.0:
	s_load_b128 s[4:7], s[0:1], 0x2c
	s_bfe_u32 s2, ttmp6, 0x40010
	s_and_b32 s3, ttmp7, 0xffff
	s_add_co_i32 s2, s2, 1
	s_bfe_u32 s9, ttmp6, 0x40014
	s_mul_i32 s2, s3, s2
	s_bfe_u32 s8, ttmp6, 0x40004
	s_lshr_b32 s10, ttmp7, 16
	s_add_co_i32 s9, s9, 1
	s_add_co_i32 s8, s8, s2
	s_mul_i32 s2, s10, s9
	s_bfe_u32 s9, ttmp6, 0x40008
	s_getreg_b32 s17, hwreg(HW_REG_IB_STS2, 6, 4)
	s_add_co_i32 s9, s9, s2
	s_cmp_eq_u32 s17, 0
	s_mov_b32 s12, exec_lo
	s_cselect_b32 s2, s10, s9
	s_cselect_b32 s8, s3, s8
	s_lshl_b32 s15, s2, 7
	s_lshl_b32 s14, s8, 1
	s_add_co_i32 s2, s15, 0x80
	s_delay_alu instid0(SALU_CYCLE_1) | instskip(SKIP_3) | instid1(VALU_DEP_1)
	v_cvt_f64_u32_e32 v[2:3], s2
	s_load_b64 s[2:3], s[0:1], 0x10
	s_wait_kmcnt 0x0
	v_cvt_f64_i32_e32 v[4:5], s5
	v_min_num_f64_e32 v[2:3], v[2:3], v[4:5]
	s_delay_alu instid0(VALU_DEP_1) | instskip(SKIP_1) | instid1(VALU_DEP_2)
	v_cvt_i32_f64_e32 v1, v[2:3]
	v_add_nc_u32_e32 v2, s15, v0
	v_readfirstlane_b32 s16, v1
	s_delay_alu instid0(VALU_DEP_2)
	v_cmpx_lt_u32_e64 v2, v1
	s_cbranch_execz .LBB22_6
; %bb.1:
	s_clause 0x1
	s_load_b64 s[10:11], s[0:1], 0x40
	s_load_b64 s[8:9], s[0:1], 0x0
	v_mov_b32_e32 v3, 0
	s_delay_alu instid0(VALU_DEP_1)
	v_mov_b64_e32 v[6:7], v[2:3]
	s_wait_kmcnt 0x0
	v_lshl_add_u64 v[4:5], v[2:3], 2, s[10:11]
	s_cmp_lg_u64 s[10:11], 0
	s_cselect_b32 s13, -1, 0
	s_cmp_eq_u64 s[10:11], 0
	s_cbranch_scc1 .LBB22_3
; %bb.2:
	global_load_b32 v6, v[4:5], off
	s_wait_loadcnt 0x0
	v_ashrrev_i32_e32 v7, 31, v6
.LBB22_3:
	s_mul_i32 s10, s14, s5
	v_lshlrev_b32_e32 v1, 1, v0
	s_ashr_i32 s11, s10, 31
	s_and_not1_b32 vcc_lo, exec_lo, s13
	s_lshl_b64 s[18:19], s[10:11], 1
	s_delay_alu instid0(SALU_CYCLE_1) | instskip(NEXT) | instid1(SALU_CYCLE_1)
	s_add_nc_u64 s[18:19], s[8:9], s[18:19]
	v_lshl_add_u64 v[6:7], v[6:7], 1, s[18:19]
	global_load_u16 v6, v[6:7], off
	s_wait_loadcnt 0x0
	ds_store_b16 v1, v6
	s_cbranch_vccnz .LBB22_5
; %bb.4:
	global_load_b32 v2, v[4:5], off
	s_wait_loadcnt 0x0
	v_ashrrev_i32_e32 v3, 31, v2
.LBB22_5:
	s_add_co_i32 s10, s10, s5
	s_delay_alu instid0(SALU_CYCLE_1) | instskip(NEXT) | instid1(SALU_CYCLE_1)
	s_ashr_i32 s11, s10, 31
	s_lshl_b64 s[10:11], s[10:11], 1
	s_delay_alu instid0(SALU_CYCLE_1) | instskip(NEXT) | instid1(SALU_CYCLE_1)
	s_add_nc_u64 s[8:9], s[8:9], s[10:11]
	v_lshl_add_u64 v[2:3], v[2:3], 1, s[8:9]
	global_load_u16 v2, v[2:3], off
	s_wait_loadcnt 0x0
	ds_store_b16 v1, v2 offset:256
.LBB22_6:
	s_or_b32 exec_lo, exec_lo, s12
	s_clause 0x1
	s_load_b64 s[12:13], s[0:1], 0x8
	s_load_b128 s[8:11], s[0:1], 0x18
	s_wait_xcnt 0x0
	s_bfe_u32 s0, ttmp6, 0x4000c
	s_and_b32 s1, ttmp6, 15
	s_add_co_i32 s0, s0, 1
	v_lshlrev_b32_e32 v0, 2, v0
	s_mul_i32 s0, ttmp9, s0
	s_delay_alu instid0(SALU_CYCLE_1)
	s_add_co_i32 s1, s1, s0
	s_cmp_eq_u32 s17, 0
	s_cselect_b32 s0, ttmp9, s1
	s_mov_b32 s1, 0
	v_lshl_add_u32 v8, s0, 9, v0
	s_mov_b32 s0, exec_lo
	s_delay_alu instid0(VALU_DEP_1)
	v_cmpx_gt_i32_e64 s4, v8
	s_cbranch_execz .LBB22_20
; %bb.7:
	s_abs_i32 s17, s6
	v_dual_mov_b32 v25, 0 :: v_dual_mov_b32 v24, 0
	s_cvt_f32_u32 s0, s17
	v_dual_mov_b32 v23, 0 :: v_dual_mov_b32 v22, 0
	s_cmp_ge_i32 s15, s16
	s_delay_alu instid0(SALU_CYCLE_1) | instskip(SKIP_4) | instid1(TRANS32_DEP_1)
	v_rcp_iflag_f32_e32 v0, s0
	s_wait_dscnt 0x0
	s_barrier_signal -1
	s_barrier_wait -1
	v_nop
	v_readfirstlane_b32 s0, v0
	s_cbranch_scc1 .LBB22_12
; %bb.8:
	s_mul_f32 s0, s0, 0x4f7ffffe
	s_ashr_i32 s6, s6, 31
	v_dual_mov_b32 v24, 0 :: v_dual_ashrrev_i32 v9, 31, v8
	s_delay_alu instid0(SALU_CYCLE_1) | instskip(SKIP_2) | instid1(SALU_CYCLE_1)
	s_cvt_u32_f32 s18, s0
	s_sub_co_i32 s0, 0, s17
	v_dual_mov_b32 v23, 0 :: v_dual_mov_b32 v22, 0
	s_mul_i32 s19, s0, s18
	s_abs_i32 s0, s5
	s_mul_hi_u32 s20, s18, s19
	s_mov_b32 s19, s1
	s_add_co_i32 s18, s18, s20
	s_ashr_i32 s5, s5, 31
	s_mul_u64 s[18:19], s[0:1], s[18:19]
	s_xor_b32 s5, s5, s6
	s_mul_i32 s18, s19, s17
	s_add_co_i32 s6, s19, 1
	s_sub_co_i32 s0, s0, s18
	v_mov_b32_e32 v25, 0
	s_sub_co_i32 s18, s0, s17
	s_cmp_ge_u32 s0, s17
	s_cselect_b32 s6, s6, s19
	s_cselect_b32 s0, s18, s0
	s_add_co_i32 s18, s6, 1
	s_cmp_ge_u32 s0, s17
	s_cselect_b32 s0, s18, s6
	s_delay_alu instid0(SALU_CYCLE_1) | instskip(NEXT) | instid1(SALU_CYCLE_1)
	s_xor_b32 s0, s0, s5
	s_sub_co_i32 s0, s0, s5
	s_bitcmp1_b32 s7, 0
	s_cvt_f32_u32 s5, s0
	s_cselect_b32 s6, -1, 0
	s_sub_co_i32 s7, 0, s0
	s_xor_b32 s18, s6, -1
	v_rcp_iflag_f32_e32 v0, s5
	v_cndmask_b32_e64 v17, 0, 1, s18
	s_delay_alu instid0(TRANS32_DEP_1) | instskip(SKIP_1) | instid1(SALU_CYCLE_3)
	v_readfirstlane_b32 s5, v0
	s_mul_f32 s5, s5, 0x4f7ffffe
	s_cvt_u32_f32 s5, s5
	s_delay_alu instid0(SALU_CYCLE_3) | instskip(NEXT) | instid1(SALU_CYCLE_1)
	s_mul_i32 s7, s7, s5
	s_mul_hi_u32 s7, s5, s7
	s_delay_alu instid0(SALU_CYCLE_1) | instskip(NEXT) | instid1(SALU_CYCLE_1)
	s_add_co_i32 s5, s5, s7
	s_mul_hi_u32 s5, s15, s5
	s_delay_alu instid0(SALU_CYCLE_1) | instskip(NEXT) | instid1(SALU_CYCLE_1)
	s_mul_i32 s7, s5, s0
	s_sub_co_i32 s6, s15, s7
	s_add_co_i32 s7, s5, 1
	s_sub_co_i32 s17, s6, s0
	s_cmp_ge_u32 s6, s0
	s_cselect_b32 s5, s7, s5
	s_cselect_b32 s6, s17, s6
	s_add_co_i32 s7, s5, 1
	s_cmp_ge_u32 s6, s0
	s_cselect_b32 s17, s7, s5
	s_add_co_i32 s18, s0, s15
	s_mul_i32 s5, s17, s4
	s_delay_alu instid0(SALU_CYCLE_1) | instskip(SKIP_1) | instid1(SALU_CYCLE_1)
	v_dual_ashrrev_i32 v16, 2, v8 :: v_dual_add_nc_u32 v0, s5, v8
	s_ashr_i32 s6, s5, 31
	s_lshr_b32 s6, s6, 30
	s_delay_alu instid0(SALU_CYCLE_1) | instskip(NEXT) | instid1(VALU_DEP_1)
	s_add_co_i32 s6, s5, s6
	v_ashrrev_i32_e32 v1, 31, v0
	s_ashr_i32 s6, s6, 2
	s_lshr_b32 s5, s15, 2
	v_add_nc_u32_e32 v2, s6, v16
	s_mul_i32 s6, s4, s5
	s_wait_kmcnt 0x0
	v_lshl_add_u64 v[0:1], v[0:1], 1, s[8:9]
	s_ashr_i32 s7, s6, 31
	s_ashr_i32 s5, s4, 31
	global_load_b32 v2, v2, s[2:3] scale_offset
	s_lshl_b64 s[6:7], s[6:7], 2
	global_load_b64 v[10:11], v[0:1], off
	s_add_nc_u64 s[6:7], s[12:13], s[6:7]
	s_lshl_b64 s[12:13], s[4:5], 2
	v_lshl_add_u64 v[12:13], v[8:9], 2, s[6:7]
	s_lshl_b64 s[6:7], s[4:5], 5
	s_wait_loadcnt 0x1
	v_and_b32_e32 v9, 0xff, v2
	v_bfe_u32 v18, v2, 8, 8
	v_bfe_u32 v19, v2, 16, 8
	v_lshrrev_b32_e32 v20, 24, v2
	s_branch .LBB22_10
.LBB22_9:                               ;   in Loop: Header=BB22_10 Depth=1
	s_wait_xcnt 0x0
	v_add_nc_u64_e32 v[0:1], s[12:13], v[12:13]
	global_load_b128 v[2:5], v[12:13], off
	v_dual_add_nc_u32 v28, v9, v17 :: v_dual_add_nc_u32 v27, v18, v17
	s_add_co_i32 s15, s15, 32
	v_mov_b32_e32 v21, s1
	s_add_co_i32 s1, s1, 64
	global_load_b128 v[30:33], v[0:1], off
	v_add_nc_u32_e32 v26, v19, v17
	s_wait_xcnt 0x1
	v_add_nc_u64_e32 v[12:13], s[6:7], v[12:13]
	s_cmp_ge_i32 s15, s16
	s_wait_loadcnt 0x1
	v_and_b32_e32 v6, 0xff, v2
	v_bfe_u32 v7, v2, 8, 8
	v_bfe_u32 v14, v2, 16, 8
	v_lshrrev_b32_e32 v2, 24, v2
	v_and_b32_e32 v15, 0xff, v3
	v_bfe_u32 v34, v3, 8, 8
	v_bfe_u32 v35, v3, 16, 8
	v_lshrrev_b32_e32 v3, 24, v3
	;; [unrolled: 4-line block ×4, first 2 shown]
	v_dual_add_nc_u32 v29, v20, v17 :: v_dual_sub_nc_u32 v6, v6, v28
	s_wait_loadcnt 0x0
	v_and_b32_e32 v42, 0xff, v30
	v_bfe_u32 v43, v30, 8, 8
	v_bfe_u32 v44, v30, 16, 8
	v_dual_lshrrev_b32 v30, 24, v30 :: v_dual_sub_nc_u32 v7, v7, v28
	v_sub_nc_u32_e32 v14, v14, v28
	v_dual_sub_nc_u32 v2, v2, v28 :: v_dual_sub_nc_u32 v15, v15, v27
	v_dual_sub_nc_u32 v3, v3, v27 :: v_dual_sub_nc_u32 v36, v36, v26
	;; [unrolled: 1-line block ×4, first 2 shown]
	v_and_b32_e32 v45, 0xff, v31
	v_cvt_f32_i32_e32 v14, v14
	v_cvt_f32_i32_e32 v2, v2
	;; [unrolled: 1-line block ×6, first 2 shown]
	v_dual_sub_nc_u32 v62, v43, v28 :: v_dual_sub_nc_u32 v65, v44, v28
	v_dual_sub_nc_u32 v30, v30, v28 :: v_dual_sub_nc_u32 v66, v45, v27
	v_and_b32_e32 v51, 0xff, v33
	v_bfe_u32 v52, v33, 8, 8
	v_bfe_u32 v53, v33, 16, 8
	v_lshrrev_b32_e32 v33, 24, v33
	v_cvt_f32_i32_e32 v6, v6
	v_cvt_f32_i32_e32 v7, v7
	;; [unrolled: 1-line block ×3, first 2 shown]
	v_cvt_f16_f32_e32 v15, v14
	v_cvt_f16_f32_e32 v14, v2
	;; [unrolled: 1-line block ×6, first 2 shown]
	v_cvt_f32_i32_e32 v2, v61
	v_cvt_f32_i32_e32 v3, v62
	;; [unrolled: 1-line block ×4, first 2 shown]
	v_cvt_f16_f32_e32 v44, v6
	v_cvt_f16_f32_e32 v45, v7
	v_cvt_f32_i32_e32 v7, v66
	v_cvt_f16_f32_e32 v68, v2
	v_cvt_f16_f32_e32 v66, v3
	;; [unrolled: 1-line block ×4, first 2 shown]
	ds_load_b128 v[2:5], v21
	v_bfe_u32 v46, v31, 8, 8
	v_bfe_u32 v47, v31, 16, 8
	v_dual_sub_nc_u32 v34, v34, v27 :: v_dual_sub_nc_u32 v35, v35, v27
	v_lshrrev_b32_e32 v31, 24, v31
	v_and_b32_e32 v48, 0xff, v32
	v_dual_sub_nc_u32 v37, v37, v26 :: v_dual_sub_nc_u32 v38, v38, v26
	s_delay_alu instid0(VALU_DEP_4)
	v_cvt_f32_i32_e32 v34, v34
	v_dual_sub_nc_u32 v67, v46, v27 :: v_dual_sub_nc_u32 v47, v47, v27
	v_bfe_u32 v49, v32, 8, 8
	v_bfe_u32 v50, v32, 16, 8
	v_dual_lshrrev_b32 v32, 24, v32 :: v_dual_sub_nc_u32 v40, v40, v29
	v_sub_nc_u32_e32 v41, v41, v29
	v_cvt_f32_i32_e32 v35, v35
	v_cvt_f32_i32_e32 v37, v37
	;; [unrolled: 1-line block ×3, first 2 shown]
	v_dual_sub_nc_u32 v31, v31, v27 :: v_dual_sub_nc_u32 v48, v48, v26
	v_cvt_f16_f32_e32 v57, v34
	v_cvt_f32_i32_e32 v34, v47
	v_cvt_f32_i32_e32 v40, v40
	v_cvt_f16_f32_e32 v56, v54
	v_cvt_f16_f32_e32 v42, v35
	;; [unrolled: 1-line block ×4, first 2 shown]
	v_cvt_f32_i32_e32 v30, v67
	v_cvt_f32_i32_e32 v31, v31
	;; [unrolled: 1-line block ×3, first 2 shown]
	v_cvt_f16_f32_e32 v67, v34
	s_wait_dscnt 0x0
	v_fma_mix_f32 v34, v59, v2, 0 op_sel_hi:[1,1,0]
	v_cvt_f32_i32_e32 v38, v38
	v_cvt_f32_i32_e32 v41, v41
	v_dual_sub_nc_u32 v32, v32, v26 :: v_dual_sub_nc_u32 v51, v51, v29
	v_cvt_f16_f32_e32 v64, v40
	v_cvt_f16_f32_e32 v71, v7
	;; [unrolled: 1-line block ×5, first 2 shown]
	v_fma_mix_f32 v30, v44, v2, 0 op_sel_hi:[1,1,0]
	v_fma_mix_f32 v31, v56, v2, 0 op_sel_hi:[1,1,0]
	v_fma_mix_f32 v35, v60, v2, v34 op_sel:[0,1,0] op_sel_hi:[1,1,0]
	v_fma_mix_f32 v34, v63, v2, 0 op_sel_hi:[1,1,0]
	v_cvt_f16_f32_e32 v46, v38
	v_cvt_f16_f32_e32 v58, v41
	v_cvt_f32_i32_e32 v32, v32
	v_fma_mix_f32 v30, v45, v2, v30 op_sel:[0,1,0] op_sel_hi:[1,1,0]
	v_fma_mix_f32 v31, v57, v2, v31 op_sel:[0,1,0] op_sel_hi:[1,1,0]
	;; [unrolled: 1-line block ×3, first 2 shown]
	v_dual_sub_nc_u32 v49, v49, v26 :: v_dual_sub_nc_u32 v50, v50, v26
	v_dual_sub_nc_u32 v52, v52, v29 :: v_dual_sub_nc_u32 v53, v53, v29
	v_cvt_f32_i32_e32 v39, v51
	v_cvt_f16_f32_e32 v34, v32
	v_fma_mix_f32 v30, v15, v3, v30 op_sel_hi:[1,1,0]
	v_fma_mix_f32 v31, v42, v3, v31 op_sel_hi:[1,1,0]
	;; [unrolled: 1-line block ×4, first 2 shown]
	v_cvt_f32_i32_e32 v37, v49
	v_cvt_f32_i32_e32 v40, v52
	v_cvt_f16_f32_e32 v74, v39
	v_fma_mix_f32 v30, v14, v3, v30 op_sel:[0,1,0] op_sel_hi:[1,1,0]
	v_fma_mix_f32 v31, v36, v3, v31 op_sel:[0,1,0] op_sel_hi:[1,1,0]
	;; [unrolled: 1-line block ×4, first 2 shown]
	v_sub_nc_u32_e32 v33, v33, v29
	v_cvt_f32_i32_e32 v38, v50
	v_cvt_f32_i32_e32 v41, v53
	v_cvt_f16_f32_e32 v72, v37
	v_cvt_f16_f32_e32 v75, v40
	v_fma_mix_f32 v3, v68, v4, v30 op_sel_hi:[1,1,0]
	v_fma_mix_f32 v30, v71, v4, v31 op_sel_hi:[1,1,0]
	;; [unrolled: 1-line block ×4, first 2 shown]
	v_cvt_f32_i32_e32 v33, v33
	v_cvt_f16_f32_e32 v70, v38
	v_cvt_f16_f32_e32 v35, v41
	v_fma_mix_f32 v3, v66, v4, v3 op_sel:[0,1,0] op_sel_hi:[1,1,0]
	v_fma_mix_f32 v30, v69, v4, v30 op_sel:[0,1,0] op_sel_hi:[1,1,0]
	;; [unrolled: 1-line block ×4, first 2 shown]
	v_cvt_f16_f32_e32 v37, v33
	v_fma_mix_f32 v3, v65, v5, v3 op_sel_hi:[1,1,0]
	v_fma_mix_f32 v4, v67, v5, v30 op_sel_hi:[1,1,0]
	;; [unrolled: 1-line block ×4, first 2 shown]
	s_delay_alu instid0(VALU_DEP_4) | instskip(NEXT) | instid1(VALU_DEP_4)
	v_fma_mix_f32 v33, v6, v5, v3 op_sel:[0,1,0] op_sel_hi:[1,1,0]
	v_fma_mix_f32 v32, v7, v5, v4 op_sel:[0,1,0] op_sel_hi:[1,1,0]
	s_delay_alu instid0(VALU_DEP_4) | instskip(NEXT) | instid1(VALU_DEP_4)
	v_fma_mix_f32 v31, v34, v5, v30 op_sel:[0,1,0] op_sel_hi:[1,1,0]
	v_fma_mix_f32 v30, v37, v5, v2 op_sel:[0,1,0] op_sel_hi:[1,1,0]
	v_add_nc_u64_e32 v[4:5], s[12:13], v[0:1]
	v_fma_mixlo_f16 v33, v33, v10, 0 op_sel_hi:[0,1,0]
	v_fma_mixlo_f16 v32, v32, v10, 0 op_sel:[0,1,0] op_sel_hi:[0,1,0]
	v_fma_mixlo_f16 v31, v31, v11, 0 op_sel_hi:[0,1,0]
	v_fma_mixlo_f16 v30, v30, v11, 0 op_sel:[0,1,0] op_sel_hi:[0,1,0]
	s_delay_alu instid0(VALU_DEP_4) | instskip(SKIP_3) | instid1(VALU_DEP_1)
	v_add_f16_e32 v33, v25, v33
	global_load_b128 v[0:3], v[4:5], off
	v_add_f16_e32 v31, v24, v31
	v_dual_lshrrev_b32 v24, 16, v24 :: v_dual_lshrrev_b32 v25, 16, v25
	v_add_f16_e32 v24, v24, v30
	s_delay_alu instid0(VALU_DEP_2)
	v_add_f16_e32 v25, v25, v32
	s_wait_loadcnt 0x0
	v_and_b32_e32 v76, 0xff, v0
	v_bfe_u32 v77, v0, 8, 8
	v_bfe_u32 v50, v0, 16, 8
	v_lshrrev_b32_e32 v41, 24, v0
	v_and_b32_e32 v61, 0xff, v1
	v_bfe_u32 v62, v1, 8, 8
	v_bfe_u32 v49, v1, 16, 8
	v_dual_lshrrev_b32 v40, 24, v1 :: v_dual_lshrrev_b32 v39, 24, v2
	v_and_b32_e32 v53, 0xff, v2
	v_bfe_u32 v54, v2, 8, 8
	v_bfe_u32 v48, v2, 16, 8
	v_and_b32_e32 v51, 0xff, v3
	v_bfe_u32 v52, v3, 8, 8
	v_bfe_u32 v47, v3, 16, 8
	v_lshrrev_b32_e32 v38, 24, v3
	ds_load_b128 v[0:3], v21 offset:256
	v_dual_sub_nc_u32 v62, v62, v27 :: v_dual_sub_nc_u32 v61, v61, v27
	v_dual_sub_nc_u32 v54, v54, v26 :: v_dual_sub_nc_u32 v53, v53, v26
	v_sub_nc_u32_e32 v51, v51, v29
	s_delay_alu instid0(VALU_DEP_3) | instskip(NEXT) | instid1(VALU_DEP_4)
	v_cvt_f32_i32_e32 v62, v62
	v_cvt_f32_i32_e32 v61, v61
	s_delay_alu instid0(VALU_DEP_4) | instskip(SKIP_2) | instid1(VALU_DEP_4)
	v_cvt_f32_i32_e32 v54, v54
	v_cvt_f32_i32_e32 v53, v53
	v_dual_sub_nc_u32 v52, v52, v29 :: v_dual_sub_nc_u32 v50, v50, v28
	v_cvt_f16_f32_e32 v61, v61
	v_cvt_f16_f32_e32 v62, v62
	s_delay_alu instid0(VALU_DEP_4)
	v_cvt_f16_f32_e32 v53, v53
	v_cvt_f32_i32_e32 v51, v51
	v_cvt_f16_f32_e32 v54, v54
	v_cvt_f32_i32_e32 v52, v52
	v_dual_sub_nc_u32 v49, v49, v27 :: v_dual_sub_nc_u32 v48, v48, v26
	s_wait_dscnt 0x0
	v_fma_mix_f32 v44, v44, v0, 0 op_sel_hi:[1,1,0]
	v_cvt_f16_f32_e32 v51, v51
	v_dual_sub_nc_u32 v47, v47, v29 :: v_dual_sub_nc_u32 v41, v41, v28
	v_cvt_f16_f32_e32 v52, v52
	s_delay_alu instid0(VALU_DEP_4)
	v_fma_mix_f32 v44, v45, v0, v44 op_sel:[0,1,0] op_sel_hi:[1,1,0]
	v_fma_mix_f32 v45, v56, v0, 0 op_sel_hi:[1,1,0]
	v_fma_mix_f32 v56, v59, v0, 0 op_sel_hi:[1,1,0]
	v_cvt_f32_i32_e32 v50, v50
	v_cvt_f32_i32_e32 v49, v49
	v_fma_mix_f32 v15, v15, v1, v44 op_sel_hi:[1,1,0]
	v_fma_mix_f32 v45, v57, v0, v45 op_sel:[0,1,0] op_sel_hi:[1,1,0]
	v_fma_mix_f32 v56, v60, v0, v56 op_sel:[0,1,0] op_sel_hi:[1,1,0]
	v_fma_mix_f32 v57, v63, v0, 0 op_sel_hi:[1,1,0]
	v_cvt_f32_i32_e32 v48, v48
	v_fma_mix_f32 v14, v14, v1, v15 op_sel:[0,1,0] op_sel_hi:[1,1,0]
	v_fma_mix_f32 v42, v42, v1, v45 op_sel_hi:[1,1,0]
	v_fma_mix_f32 v44, v46, v1, v56 op_sel_hi:[1,1,0]
	v_fma_mix_f32 v0, v64, v0, v57 op_sel:[0,1,0] op_sel_hi:[1,1,0]
	v_cvt_f32_i32_e32 v47, v47
	v_dual_sub_nc_u32 v40, v40, v27 :: v_dual_sub_nc_u32 v39, v39, v26
	v_fma_mix_f32 v15, v36, v1, v42 op_sel:[0,1,0] op_sel_hi:[1,1,0]
	s_delay_alu instid0(VALU_DEP_4)
	v_fma_mix_f32 v0, v58, v1, v0 op_sel_hi:[1,1,0]
	v_fma_mix_f32 v36, v43, v1, v44 op_sel:[0,1,0] op_sel_hi:[1,1,0]
	v_cvt_f16_f32_e32 v50, v50
	v_cvt_f16_f32_e32 v49, v49
	;; [unrolled: 1-line block ×3, first 2 shown]
	v_fma_mix_f32 v0, v55, v1, v0 op_sel:[0,1,0] op_sel_hi:[1,1,0]
	v_fma_mix_f32 v1, v68, v2, v14 op_sel_hi:[1,1,0]
	v_fma_mix_f32 v14, v71, v2, v15 op_sel_hi:[1,1,0]
	;; [unrolled: 1-line block ×3, first 2 shown]
	v_cvt_f16_f32_e32 v47, v47
	v_fma_mix_f32 v0, v74, v2, v0 op_sel_hi:[1,1,0]
	v_fma_mix_f32 v1, v66, v2, v1 op_sel:[0,1,0] op_sel_hi:[1,1,0]
	v_fma_mix_f32 v14, v69, v2, v14 op_sel:[0,1,0] op_sel_hi:[1,1,0]
	;; [unrolled: 1-line block ×3, first 2 shown]
	v_cvt_f32_i32_e32 v41, v41
	v_fma_mix_f32 v0, v75, v2, v0 op_sel:[0,1,0] op_sel_hi:[1,1,0]
	v_fma_mix_f32 v1, v65, v3, v1 op_sel_hi:[1,1,0]
	v_fma_mix_f32 v2, v67, v3, v14 op_sel_hi:[1,1,0]
	v_fma_mix_f32 v42, v70, v3, v15 op_sel_hi:[1,1,0]
	v_add_nc_u64_e32 v[14:15], s[12:13], v[4:5]
	v_fma_mix_f32 v0, v35, v3, v0 op_sel_hi:[1,1,0]
	v_fma_mix_f32 v36, v6, v3, v1 op_sel:[0,1,0] op_sel_hi:[1,1,0]
	v_fma_mix_f32 v35, v7, v3, v2 op_sel:[0,1,0] op_sel_hi:[1,1,0]
	v_sub_nc_u32_e32 v1, v77, v28
	v_fma_mix_f32 v34, v34, v3, v42 op_sel:[0,1,0] op_sel_hi:[1,1,0]
	v_fma_mix_f32 v37, v37, v3, v0 op_sel:[0,1,0] op_sel_hi:[1,1,0]
	global_load_b128 v[4:7], v[14:15], off
	v_sub_nc_u32_e32 v0, v76, v28
	v_cvt_f32_i32_e32 v1, v1
	v_cvt_f32_i32_e32 v40, v40
	;; [unrolled: 1-line block ×3, first 2 shown]
	v_cvt_f16_f32_e32 v41, v41
	v_cvt_f32_i32_e32 v0, v0
	v_cvt_f16_f32_e32 v68, v1
	v_cvt_f16_f32_e32 v40, v40
	;; [unrolled: 1-line block ×3, first 2 shown]
	v_fma_mixlo_f16 v30, v36, v10, 0 op_sel_hi:[0,1,0]
	v_cvt_f16_f32_e32 v69, v0
	ds_load_b128 v[0:3], v21 offset:16
	v_fma_mixlo_f16 v32, v35, v10, 0 op_sel:[0,1,0] op_sel_hi:[0,1,0]
	v_add_f16_e32 v30, v23, v30
	v_lshrrev_b32_e32 v23, 16, v23
	s_delay_alu instid0(VALU_DEP_1) | instskip(SKIP_2) | instid1(VALU_DEP_2)
	v_add_f16_e32 v23, v23, v32
	v_fma_mixlo_f16 v32, v34, v11, 0 op_sel_hi:[0,1,0]
	v_fma_mixlo_f16 v34, v37, v11, 0 op_sel:[0,1,0] op_sel_hi:[0,1,0]
	v_add_f16_e32 v32, v22, v32
	s_wait_loadcnt 0x0
	v_lshrrev_b32_e32 v46, 24, v7
	v_and_b32_e32 v66, 0xff, v4
	v_bfe_u32 v60, v4, 8, 8
	v_bfe_u32 v55, v4, 16, 8
	v_lshrrev_b32_e32 v42, 24, v4
	v_and_b32_e32 v65, 0xff, v5
	v_bfe_u32 v59, v5, 8, 8
	v_bfe_u32 v56, v5, 16, 8
	v_dual_lshrrev_b32 v43, 24, v5 :: v_dual_lshrrev_b32 v44, 24, v6
	v_and_b32_e32 v64, 0xff, v6
	v_bfe_u32 v58, v6, 8, 8
	v_bfe_u32 v57, v6, 16, 8
	v_and_b32_e32 v67, 0xff, v7
	v_bfe_u32 v63, v7, 8, 8
	v_bfe_u32 v45, v7, 16, 8
	ds_load_b128 v[4:7], v21 offset:272
	s_wait_dscnt 0x1
	v_fma_mix_f32 v70, v69, v0, 0 op_sel_hi:[1,1,0]
	v_sub_nc_u32_e32 v38, v38, v29
	s_delay_alu instid0(VALU_DEP_2) | instskip(NEXT) | instid1(VALU_DEP_2)
	v_fma_mix_f32 v70, v68, v0, v70 op_sel:[0,1,0] op_sel_hi:[1,1,0]
	v_cvt_f32_i32_e32 v38, v38
	s_delay_alu instid0(VALU_DEP_1) | instskip(SKIP_2) | instid1(VALU_DEP_1)
	v_cvt_f16_f32_e32 v38, v38
	s_wait_dscnt 0x0
	v_fma_mix_f32 v69, v69, v4, 0 op_sel_hi:[1,1,0]
	v_fma_mix_f32 v68, v68, v4, v69 op_sel:[0,1,0] op_sel_hi:[1,1,0]
	v_fma_mix_f32 v69, v61, v0, 0 op_sel_hi:[1,1,0]
	v_fma_mix_f32 v61, v61, v4, 0 op_sel_hi:[1,1,0]
	s_delay_alu instid0(VALU_DEP_2) | instskip(NEXT) | instid1(VALU_DEP_2)
	v_fma_mix_f32 v69, v62, v0, v69 op_sel:[0,1,0] op_sel_hi:[1,1,0]
	v_fma_mix_f32 v61, v62, v4, v61 op_sel:[0,1,0] op_sel_hi:[1,1,0]
	v_fma_mix_f32 v62, v53, v0, 0 op_sel_hi:[1,1,0]
	v_fma_mix_f32 v53, v53, v4, 0 op_sel_hi:[1,1,0]
	s_delay_alu instid0(VALU_DEP_2) | instskip(NEXT) | instid1(VALU_DEP_2)
	v_fma_mix_f32 v62, v54, v0, v62 op_sel:[0,1,0] op_sel_hi:[1,1,0]
	v_fma_mix_f32 v53, v54, v4, v53 op_sel:[0,1,0] op_sel_hi:[1,1,0]
	v_fma_mix_f32 v54, v51, v0, 0 op_sel_hi:[1,1,0]
	v_fma_mix_f32 v51, v51, v4, 0 op_sel_hi:[1,1,0]
	s_delay_alu instid0(VALU_DEP_2) | instskip(NEXT) | instid1(VALU_DEP_2)
	v_fma_mix_f32 v0, v52, v0, v54 op_sel:[0,1,0] op_sel_hi:[1,1,0]
	v_fma_mix_f32 v4, v52, v4, v51 op_sel:[0,1,0] op_sel_hi:[1,1,0]
	v_fma_mix_f32 v51, v50, v1, v70 op_sel_hi:[1,1,0]
	v_fma_mix_f32 v50, v50, v5, v68 op_sel_hi:[1,1,0]
	;; [unrolled: 1-line block ×7, first 2 shown]
	v_fma_mix_f32 v47, v41, v1, v51 op_sel:[0,1,0] op_sel_hi:[1,1,0]
	v_fma_mix_f32 v41, v41, v5, v50 op_sel:[0,1,0] op_sel_hi:[1,1,0]
	;; [unrolled: 1-line block ×7, first 2 shown]
	v_dual_sub_nc_u32 v4, v66, v28 :: v_dual_sub_nc_u32 v38, v65, v27
	v_fma_mix_f32 v48, v48, v5, v53 op_sel_hi:[1,1,0]
	s_delay_alu instid0(VALU_DEP_2) | instskip(NEXT) | instid1(VALU_DEP_3)
	v_cvt_f32_i32_e32 v4, v4
	v_cvt_f32_i32_e32 v38, v38
	s_delay_alu instid0(VALU_DEP_3) | instskip(NEXT) | instid1(VALU_DEP_3)
	v_fma_mix_f32 v39, v39, v5, v48 op_sel:[0,1,0] op_sel_hi:[1,1,0]
	v_cvt_f16_f32_e32 v4, v4
	s_delay_alu instid0(VALU_DEP_3) | instskip(NEXT) | instid1(VALU_DEP_2)
	v_cvt_f16_f32_e32 v38, v38
	v_fma_mix_f32 v5, v4, v2, v47 op_sel_hi:[1,1,0]
	v_fma_mix_f32 v4, v4, v6, v41 op_sel_hi:[1,1,0]
	s_delay_alu instid0(VALU_DEP_3) | instskip(SKIP_2) | instid1(VALU_DEP_1)
	v_fma_mix_f32 v41, v38, v2, v50 op_sel_hi:[1,1,0]
	v_fma_mix_f32 v38, v38, v6, v40 op_sel_hi:[1,1,0]
	v_dual_sub_nc_u32 v40, v64, v26 :: v_dual_sub_nc_u32 v50, v57, v26
	v_cvt_f32_i32_e32 v40, v40
	s_delay_alu instid0(VALU_DEP_2) | instskip(NEXT) | instid1(VALU_DEP_2)
	v_cvt_f32_i32_e32 v50, v50
	v_cvt_f16_f32_e32 v40, v40
	s_delay_alu instid0(VALU_DEP_1) | instskip(SKIP_2) | instid1(VALU_DEP_1)
	v_fma_mix_f32 v47, v40, v2, v49 op_sel_hi:[1,1,0]
	v_fma_mix_f32 v39, v40, v6, v39 op_sel_hi:[1,1,0]
	v_dual_sub_nc_u32 v40, v67, v29 :: v_dual_sub_nc_u32 v49, v56, v27
	v_cvt_f32_i32_e32 v40, v40
	s_delay_alu instid0(VALU_DEP_2) | instskip(NEXT) | instid1(VALU_DEP_2)
	v_cvt_f32_i32_e32 v49, v49
	v_cvt_f16_f32_e32 v40, v40
	s_delay_alu instid0(VALU_DEP_1) | instskip(SKIP_3) | instid1(VALU_DEP_3)
	v_fma_mix_f32 v48, v40, v2, v0 op_sel_hi:[1,1,0]
	v_sub_nc_u32_e32 v0, v60, v28
	v_fma_mix_f32 v40, v40, v6, v1 op_sel_hi:[1,1,0]
	v_sub_nc_u32_e32 v1, v55, v28
	v_cvt_f32_i32_e32 v0, v0
	s_delay_alu instid0(VALU_DEP_2) | instskip(NEXT) | instid1(VALU_DEP_2)
	v_cvt_f32_i32_e32 v51, v1
	v_cvt_f16_f32_e32 v0, v0
	s_delay_alu instid0(VALU_DEP_1) | instskip(SKIP_2) | instid1(VALU_DEP_1)
	v_fma_mix_f32 v5, v0, v2, v5 op_sel:[0,1,0] op_sel_hi:[1,1,0]
	v_fma_mix_f32 v4, v0, v6, v4 op_sel:[0,1,0] op_sel_hi:[1,1,0]
	v_sub_nc_u32_e32 v0, v59, v27
	v_cvt_f32_i32_e32 v0, v0
	s_delay_alu instid0(VALU_DEP_1) | instskip(NEXT) | instid1(VALU_DEP_1)
	v_cvt_f16_f32_e32 v0, v0
	v_fma_mix_f32 v41, v0, v2, v41 op_sel:[0,1,0] op_sel_hi:[1,1,0]
	v_fma_mix_f32 v38, v0, v6, v38 op_sel:[0,1,0] op_sel_hi:[1,1,0]
	v_sub_nc_u32_e32 v0, v58, v26
	s_delay_alu instid0(VALU_DEP_1) | instskip(NEXT) | instid1(VALU_DEP_1)
	v_cvt_f32_i32_e32 v0, v0
	v_cvt_f16_f32_e32 v0, v0
	s_delay_alu instid0(VALU_DEP_1) | instskip(SKIP_2) | instid1(VALU_DEP_1)
	v_fma_mix_f32 v47, v0, v2, v47 op_sel:[0,1,0] op_sel_hi:[1,1,0]
	v_fma_mix_f32 v39, v0, v6, v39 op_sel:[0,1,0] op_sel_hi:[1,1,0]
	v_sub_nc_u32_e32 v0, v63, v29
	v_cvt_f32_i32_e32 v0, v0
	s_delay_alu instid0(VALU_DEP_1)
	v_cvt_f16_f32_e32 v52, v0
	v_add_nc_u64_e32 v[0:1], s[12:13], v[14:15]
	v_cvt_f16_f32_e32 v14, v51
	v_cvt_f16_f32_e32 v15, v49
	;; [unrolled: 1-line block ×3, first 2 shown]
	v_fma_mix_f32 v40, v52, v6, v40 op_sel:[0,1,0] op_sel_hi:[1,1,0]
	v_fma_mix_f32 v2, v52, v2, v48 op_sel:[0,1,0] op_sel_hi:[1,1,0]
	v_fma_mix_f32 v5, v14, v3, v5 op_sel_hi:[1,1,0]
	global_load_b128 v[54:57], v[0:1], off
	v_fma_mix_f32 v4, v14, v7, v4 op_sel_hi:[1,1,0]
	v_sub_nc_u32_e32 v14, v45, v29
	v_fma_mix_f32 v6, v15, v3, v41 op_sel_hi:[1,1,0]
	v_fma_mix_f32 v41, v49, v3, v47 op_sel_hi:[1,1,0]
	;; [unrolled: 1-line block ×3, first 2 shown]
	v_dual_sub_nc_u32 v15, v42, v28 :: v_dual_sub_nc_u32 v38, v43, v27
	v_dual_sub_nc_u32 v42, v44, v26 :: v_dual_sub_nc_u32 v43, v46, v29
	v_cvt_f32_i32_e32 v14, v14
	s_delay_alu instid0(VALU_DEP_3) | instskip(NEXT) | instid1(VALU_DEP_4)
	v_cvt_f32_i32_e32 v15, v15
	v_cvt_f32_i32_e32 v38, v38
	s_delay_alu instid0(VALU_DEP_4)
	v_cvt_f32_i32_e32 v42, v42
	s_wait_xcnt 0x0
	v_add_nc_u64_e32 v[0:1], s[12:13], v[0:1]
	v_cvt_f16_f32_e32 v14, v14
	v_fma_mix_f32 v39, v49, v7, v39 op_sel_hi:[1,1,0]
	v_cvt_f16_f32_e32 v44, v15
	v_cvt_f16_f32_e32 v45, v38
	;; [unrolled: 1-line block ×3, first 2 shown]
	v_fma_mix_f32 v2, v14, v3, v2 op_sel_hi:[1,1,0]
	v_fma_mix_f32 v40, v14, v7, v40 op_sel_hi:[1,1,0]
	v_fma_mix_f32 v38, v44, v3, v5 op_sel:[0,1,0] op_sel_hi:[1,1,0]
	v_fma_mix_f32 v15, v45, v3, v6 op_sel:[0,1,0] op_sel_hi:[1,1,0]
	;; [unrolled: 1-line block ×5, first 2 shown]
	s_delay_alu instid0(VALU_DEP_4) | instskip(NEXT) | instid1(VALU_DEP_4)
	v_fma_mixlo_f16 v15, v15, v10, 0 op_sel:[0,1,0] op_sel_hi:[0,1,0]
	v_fma_mixlo_f16 v6, v6, v11, 0 op_sel_hi:[0,1,0]
	s_delay_alu instid0(VALU_DEP_4) | instskip(NEXT) | instid1(VALU_DEP_4)
	v_fma_mixlo_f16 v5, v5, v10, 0 op_sel_hi:[0,1,0]
	v_fma_mixlo_f16 v4, v4, v10, 0 op_sel:[0,1,0] op_sel_hi:[0,1,0]
	s_delay_alu instid0(VALU_DEP_4) | instskip(NEXT) | instid1(VALU_DEP_4)
	v_add_f16_e32 v15, v25, v15
	v_add_f16_e32 v6, v31, v6
	s_delay_alu instid0(VALU_DEP_3)
	v_add_f16_e32 v23, v23, v4
	s_wait_loadcnt 0x0
	v_lshrrev_b32_e32 v53, 24, v54
	v_cvt_f32_i32_e32 v43, v43
	v_and_b32_e32 v50, 0xff, v54
	v_bfe_u32 v51, v54, 8, 8
	v_bfe_u32 v52, v54, 16, 8
	v_and_b32_e32 v48, 0xff, v55
	v_cvt_f16_f32_e32 v43, v43
	v_bfe_u32 v49, v55, 8, 8
	v_bfe_u32 v46, v55, 16, 8
	v_dual_lshrrev_b32 v47, 24, v55 :: v_dual_lshrrev_b32 v45, 24, v56
	s_delay_alu instid0(VALU_DEP_4)
	v_fma_mix_f32 v14, v43, v3, v2 op_sel:[0,1,0] op_sel_hi:[1,1,0]
	v_fma_mix_f32 v3, v42, v7, v39 op_sel:[0,1,0] op_sel_hi:[1,1,0]
	;; [unrolled: 1-line block ×3, first 2 shown]
	v_and_b32_e32 v42, 0xff, v56
	v_bfe_u32 v43, v56, 8, 8
	v_bfe_u32 v44, v56, 16, 8
	v_and_b32_e32 v41, 0xff, v57
	v_bfe_u32 v7, v57, 8, 8
	v_bfe_u32 v39, v57, 16, 8
	v_lshrrev_b32_e32 v40, 24, v57
	global_load_b128 v[54:57], v[0:1], off
	v_dual_sub_nc_u32 v51, v51, v28 :: v_dual_sub_nc_u32 v52, v52, v28
	v_dual_sub_nc_u32 v50, v50, v28 :: v_dual_sub_nc_u32 v49, v49, v27
	v_sub_nc_u32_e32 v46, v46, v27
	s_delay_alu instid0(VALU_DEP_3) | instskip(SKIP_1) | instid1(VALU_DEP_4)
	v_cvt_f32_i32_e32 v51, v51
	v_sub_nc_u32_e32 v48, v48, v27
	v_cvt_f32_i32_e32 v50, v50
	v_dual_sub_nc_u32 v42, v42, v26 :: v_dual_sub_nc_u32 v43, v43, v26
	v_dual_sub_nc_u32 v44, v44, v26 :: v_dual_sub_nc_u32 v41, v41, v29
	v_cvt_f32_i32_e32 v52, v52
	s_delay_alu instid0(VALU_DEP_3) | instskip(NEXT) | instid1(VALU_DEP_4)
	v_cvt_f32_i32_e32 v42, v42
	v_cvt_f32_i32_e32 v43, v43
	;; [unrolled: 1-line block ×5, first 2 shown]
	v_cvt_f16_f32_e32 v52, v52
	s_wait_xcnt 0x0
	v_add_nc_u64_e32 v[0:1], s[12:13], v[0:1]
	v_cvt_f16_f32_e32 v46, v46
	v_cvt_f16_f32_e32 v72, v41
	;; [unrolled: 1-line block ×3, first 2 shown]
	v_fma_mixlo_f16 v14, v14, v11, 0 op_sel:[0,1,0] op_sel_hi:[0,1,0]
	v_fma_mixlo_f16 v2, v2, v11, 0 op_sel:[0,1,0] op_sel_hi:[0,1,0]
	v_fma_mixlo_f16 v3, v3, v11, 0 op_sel_hi:[0,1,0]
	s_delay_alu instid0(VALU_DEP_3) | instskip(SKIP_1) | instid1(VALU_DEP_3)
	v_add_f16_e32 v14, v24, v14
	v_add_f16_e32 v24, v30, v5
	;; [unrolled: 1-line block ×3, first 2 shown]
	s_wait_loadcnt 0x0
	v_and_b32_e32 v58, 0xff, v54
	v_sub_nc_u32_e32 v53, v53, v28
	v_bfe_u32 v59, v54, 8, 8
	v_bfe_u32 v60, v54, 16, 8
	s_delay_alu instid0(VALU_DEP_4) | instskip(NEXT) | instid1(VALU_DEP_4)
	v_dual_lshrrev_b32 v61, 24, v54 :: v_dual_sub_nc_u32 v54, v58, v28
	v_cvt_f32_i32_e32 v53, v53
	v_and_b32_e32 v62, 0xff, v55
	v_bfe_u32 v63, v55, 8, 8
	v_bfe_u32 v64, v55, 16, 8
	v_lshrrev_b32_e32 v65, 24, v55
	v_and_b32_e32 v69, 0xff, v57
	v_bfe_u32 v70, v57, 8, 8
	v_bfe_u32 v71, v57, 16, 8
	v_lshrrev_b32_e32 v57, 24, v57
	v_cvt_f16_f32_e32 v55, v51
	v_cvt_f16_f32_e32 v51, v53
	v_dual_sub_nc_u32 v53, v59, v28 :: v_dual_sub_nc_u32 v59, v61, v28
	v_cvt_f32_i32_e32 v58, v54
	v_cvt_f32_i32_e32 v61, v49
	v_and_b32_e32 v66, 0xff, v56
	v_bfe_u32 v67, v56, 8, 8
	v_cvt_f32_i32_e32 v59, v59
	v_bfe_u32 v68, v56, 16, 8
	v_lshrrev_b32_e32 v56, 24, v56
	v_cvt_f16_f32_e32 v54, v50
	v_cvt_f16_f32_e32 v50, v58
	v_sub_nc_u32_e32 v58, v60, v28
	v_cvt_f32_i32_e32 v60, v48
	v_cvt_f16_f32_e32 v48, v59
	v_cvt_f16_f32_e32 v59, v61
	v_dual_sub_nc_u32 v61, v63, v27 :: v_dual_sub_nc_u32 v63, v65, v27
	v_cvt_f32_i32_e32 v58, v58
	v_dual_sub_nc_u32 v47, v47, v27 :: v_dual_sub_nc_u32 v45, v45, v26
	v_sub_nc_u32_e32 v56, v56, v26
	v_cvt_f16_f32_e32 v65, v43
	s_delay_alu instid0(VALU_DEP_4)
	v_cvt_f16_f32_e32 v49, v58
	v_cvt_f16_f32_e32 v58, v60
	v_dual_sub_nc_u32 v60, v62, v27 :: v_dual_sub_nc_u32 v62, v64, v27
	v_cvt_f16_f32_e32 v64, v42
	v_dual_sub_nc_u32 v42, v66, v26 :: v_dual_sub_nc_u32 v43, v67, v26
	v_dual_sub_nc_u32 v66, v68, v26 :: v_dual_sub_nc_u32 v7, v7, v29
	v_sub_nc_u32_e32 v40, v40, v29
	s_delay_alu instid0(VALU_DEP_3) | instskip(SKIP_2) | instid1(VALU_DEP_4)
	v_cvt_f32_i32_e32 v42, v42
	v_dual_sub_nc_u32 v39, v39, v29 :: v_dual_sub_nc_u32 v41, v69, v29
	v_cvt_f32_i32_e32 v43, v43
	v_cvt_f32_i32_e32 v40, v40
	s_delay_alu instid0(VALU_DEP_4) | instskip(SKIP_4) | instid1(VALU_DEP_4)
	v_cvt_f16_f32_e32 v67, v42
	v_dual_sub_nc_u32 v42, v70, v29 :: v_dual_sub_nc_u32 v71, v71, v29
	v_cvt_f32_i32_e32 v41, v41
	v_cvt_f16_f32_e32 v68, v43
	v_cvt_f16_f32_e32 v69, v40
	v_cvt_f32_i32_e32 v42, v42
	v_cvt_f32_i32_e32 v7, v7
	v_cvt_f16_f32_e32 v70, v41
	v_cvt_f32_i32_e32 v39, v39
	v_cvt_f32_i32_e32 v47, v47
	v_cvt_f16_f32_e32 v73, v42
	ds_load_b128 v[40:43], v21 offset:32
	v_cvt_f16_f32_e32 v7, v7
	v_cvt_f32_i32_e32 v45, v45
	v_cvt_f16_f32_e32 v39, v39
	v_cvt_f32_i32_e32 v60, v60
	;; [unrolled: 2-line block ×8, first 2 shown]
	v_cvt_f32_i32_e32 v56, v56
	v_cvt_f16_f32_e32 v66, v66
	v_cvt_f16_f32_e32 v71, v71
	s_wait_dscnt 0x0
	v_fma_mix_f32 v74, v54, v40, 0 op_sel_hi:[1,1,0]
	v_fma_mix_f32 v75, v58, v40, 0 op_sel_hi:[1,1,0]
	;; [unrolled: 1-line block ×4, first 2 shown]
	v_cvt_f16_f32_e32 v63, v63
	v_fma_mix_f32 v74, v55, v40, v74 op_sel:[0,1,0] op_sel_hi:[1,1,0]
	v_fma_mix_f32 v75, v59, v40, v75 op_sel:[0,1,0] op_sel_hi:[1,1,0]
	;; [unrolled: 1-line block ×4, first 2 shown]
	v_cvt_f16_f32_e32 v56, v56
	v_fma_mix_f32 v74, v52, v41, v74 op_sel_hi:[1,1,0]
	v_fma_mix_f32 v75, v46, v41, v75 op_sel_hi:[1,1,0]
	;; [unrolled: 1-line block ×4, first 2 shown]
	s_delay_alu instid0(VALU_DEP_4) | instskip(NEXT) | instid1(VALU_DEP_4)
	v_fma_mix_f32 v74, v51, v41, v74 op_sel:[0,1,0] op_sel_hi:[1,1,0]
	v_fma_mix_f32 v75, v47, v41, v75 op_sel:[0,1,0] op_sel_hi:[1,1,0]
	s_delay_alu instid0(VALU_DEP_4) | instskip(NEXT) | instid1(VALU_DEP_4)
	v_fma_mix_f32 v76, v45, v41, v76 op_sel:[0,1,0] op_sel_hi:[1,1,0]
	v_fma_mix_f32 v40, v69, v41, v40 op_sel:[0,1,0] op_sel_hi:[1,1,0]
	v_sub_nc_u32_e32 v41, v57, v29
	v_fma_mix_f32 v57, v50, v42, v74 op_sel_hi:[1,1,0]
	v_fma_mix_f32 v74, v60, v42, v75 op_sel_hi:[1,1,0]
	;; [unrolled: 1-line block ×4, first 2 shown]
	v_cvt_f32_i32_e32 v41, v41
	v_fma_mix_f32 v57, v53, v42, v57 op_sel:[0,1,0] op_sel_hi:[1,1,0]
	v_fma_mix_f32 v74, v61, v42, v74 op_sel:[0,1,0] op_sel_hi:[1,1,0]
	;; [unrolled: 1-line block ×4, first 2 shown]
	v_cvt_f16_f32_e32 v76, v41
	v_fma_mix_f32 v41, v49, v43, v57 op_sel_hi:[1,1,0]
	v_fma_mix_f32 v42, v62, v43, v74 op_sel_hi:[1,1,0]
	v_fma_mix_f32 v57, v66, v43, v75 op_sel_hi:[1,1,0]
	v_fma_mix_f32 v40, v71, v43, v40 op_sel_hi:[1,1,0]
	s_delay_alu instid0(VALU_DEP_4) | instskip(NEXT) | instid1(VALU_DEP_4)
	v_fma_mix_f32 v74, v48, v43, v41 op_sel:[0,1,0] op_sel_hi:[1,1,0]
	v_fma_mix_f32 v75, v63, v43, v42 op_sel:[0,1,0] op_sel_hi:[1,1,0]
	s_delay_alu instid0(VALU_DEP_4) | instskip(NEXT) | instid1(VALU_DEP_4)
	v_fma_mix_f32 v57, v56, v43, v57 op_sel:[0,1,0] op_sel_hi:[1,1,0]
	v_fma_mix_f32 v77, v76, v43, v40 op_sel:[0,1,0] op_sel_hi:[1,1,0]
	ds_load_b128 v[40:43], v21 offset:288
	v_fma_mixlo_f16 v4, v74, v10, 0 op_sel_hi:[0,1,0]
	s_wait_dscnt 0x0
	v_fma_mix_f32 v54, v54, v40, 0 op_sel_hi:[1,1,0]
	s_delay_alu instid0(VALU_DEP_1) | instskip(SKIP_2) | instid1(VALU_DEP_3)
	v_fma_mix_f32 v54, v55, v40, v54 op_sel:[0,1,0] op_sel_hi:[1,1,0]
	v_fma_mix_f32 v55, v58, v40, 0 op_sel_hi:[1,1,0]
	v_fma_mix_f32 v58, v64, v40, 0 op_sel_hi:[1,1,0]
	;; [unrolled: 1-line block ×4, first 2 shown]
	s_delay_alu instid0(VALU_DEP_4) | instskip(NEXT) | instid1(VALU_DEP_4)
	v_fma_mix_f32 v55, v59, v40, v55 op_sel:[0,1,0] op_sel_hi:[1,1,0]
	v_fma_mix_f32 v58, v65, v40, v58 op_sel:[0,1,0] op_sel_hi:[1,1,0]
	s_delay_alu instid0(VALU_DEP_3) | instskip(NEXT) | instid1(VALU_DEP_3)
	v_fma_mix_f32 v7, v7, v40, v54 op_sel:[0,1,0] op_sel_hi:[1,1,0]
	v_fma_mix_f32 v46, v46, v41, v55 op_sel_hi:[1,1,0]
	s_delay_alu instid0(VALU_DEP_3) | instskip(SKIP_1) | instid1(VALU_DEP_4)
	v_fma_mix_f32 v44, v44, v41, v58 op_sel_hi:[1,1,0]
	v_fma_mix_f32 v40, v51, v41, v52 op_sel:[0,1,0] op_sel_hi:[1,1,0]
	v_fma_mix_f32 v7, v39, v41, v7 op_sel_hi:[1,1,0]
	s_delay_alu instid0(VALU_DEP_4) | instskip(NEXT) | instid1(VALU_DEP_4)
	v_fma_mix_f32 v46, v47, v41, v46 op_sel:[0,1,0] op_sel_hi:[1,1,0]
	v_fma_mix_f32 v44, v45, v41, v44 op_sel:[0,1,0] op_sel_hi:[1,1,0]
	s_delay_alu instid0(VALU_DEP_4) | instskip(NEXT) | instid1(VALU_DEP_4)
	v_fma_mix_f32 v39, v50, v42, v40 op_sel_hi:[1,1,0]
	v_fma_mix_f32 v7, v69, v41, v7 op_sel:[0,1,0] op_sel_hi:[1,1,0]
	s_delay_alu instid0(VALU_DEP_4) | instskip(NEXT) | instid1(VALU_DEP_4)
	v_fma_mix_f32 v40, v60, v42, v46 op_sel_hi:[1,1,0]
	v_fma_mix_f32 v44, v67, v42, v44 op_sel_hi:[1,1,0]
	s_delay_alu instid0(VALU_DEP_4) | instskip(NEXT) | instid1(VALU_DEP_4)
	v_fma_mix_f32 v39, v53, v42, v39 op_sel:[0,1,0] op_sel_hi:[1,1,0]
	v_fma_mix_f32 v7, v70, v42, v7 op_sel_hi:[1,1,0]
	s_delay_alu instid0(VALU_DEP_4) | instskip(NEXT) | instid1(VALU_DEP_4)
	v_fma_mix_f32 v40, v61, v42, v40 op_sel:[0,1,0] op_sel_hi:[1,1,0]
	v_fma_mix_f32 v41, v68, v42, v44 op_sel:[0,1,0] op_sel_hi:[1,1,0]
	global_load_b128 v[44:47], v[0:1], off
	s_wait_xcnt 0x0
	v_add_nc_u64_e32 v[0:1], s[12:13], v[0:1]
	v_fma_mix_f32 v7, v73, v42, v7 op_sel:[0,1,0] op_sel_hi:[1,1,0]
	v_fma_mix_f32 v39, v49, v43, v39 op_sel_hi:[1,1,0]
	v_fma_mix_f32 v40, v62, v43, v40 op_sel_hi:[1,1,0]
	;; [unrolled: 1-line block ×3, first 2 shown]
	s_delay_alu instid0(VALU_DEP_4) | instskip(NEXT) | instid1(VALU_DEP_4)
	v_fma_mix_f32 v7, v71, v43, v7 op_sel_hi:[1,1,0]
	v_fma_mix_f32 v39, v48, v43, v39 op_sel:[0,1,0] op_sel_hi:[1,1,0]
	s_delay_alu instid0(VALU_DEP_4) | instskip(NEXT) | instid1(VALU_DEP_4)
	v_fma_mix_f32 v48, v63, v43, v40 op_sel:[0,1,0] op_sel_hi:[1,1,0]
	v_fma_mix_f32 v49, v56, v43, v41 op_sel:[0,1,0] op_sel_hi:[1,1,0]
	s_delay_alu instid0(VALU_DEP_4)
	v_fma_mix_f32 v7, v76, v43, v7 op_sel:[0,1,0] op_sel_hi:[1,1,0]
	global_load_b128 v[40:43], v[0:1], off
	s_wait_loadcnt 0x1
	v_and_b32_e32 v50, 0xff, v44
	v_lshrrev_b32_e32 v22, 16, v22
	v_bfe_u32 v51, v44, 8, 8
	v_bfe_u32 v52, v44, 16, 8
	v_lshrrev_b32_e32 v44, 24, v44
	v_and_b32_e32 v53, 0xff, v45
	v_add_f16_e32 v22, v22, v34
	v_fma_mixlo_f16 v34, v38, v10, 0 op_sel_hi:[0,1,0]
	v_bfe_u32 v54, v45, 8, 8
	v_bfe_u32 v55, v45, 16, 8
	v_dual_lshrrev_b32 v45, 24, v45 :: v_dual_lshrrev_b32 v62, 24, v46
	s_delay_alu instid0(VALU_DEP_4)
	v_add_f16_e32 v33, v33, v34
	s_wait_loadcnt 0x0
	v_lshrrev_b32_e32 v80, 24, v43
	v_add_f16_e32 v2, v22, v2
	v_and_b32_e32 v0, 0xff, v40
	v_bfe_u32 v1, v40, 8, 8
	v_add_f16_e32 v5, v33, v4
	v_fma_mixlo_f16 v4, v75, v10, 0 op_sel:[0,1,0] op_sel_hi:[0,1,0]
	v_and_b32_e32 v56, 0xff, v46
	v_bfe_u32 v60, v46, 8, 8
	v_bfe_u32 v61, v46, 16, 8
	v_and_b32_e32 v63, 0xff, v47
	v_add_f16_e32 v4, v15, v4
	v_fma_mixlo_f16 v15, v57, v11, 0 op_sel_hi:[0,1,0]
	v_bfe_u32 v64, v47, 8, 8
	v_bfe_u32 v65, v47, 16, 8
	v_lshrrev_b32_e32 v66, 24, v47
	v_bfe_u32 v46, v40, 16, 8
	v_add_f16_e32 v34, v6, v15
	v_fma_mixlo_f16 v6, v77, v11, 0 op_sel:[0,1,0] op_sel_hi:[0,1,0]
	v_sub_nc_u32_e32 v47, v1, v28
	v_lshrrev_b32_e32 v40, 24, v40
	v_and_b32_e32 v67, 0xff, v41
	v_bfe_u32 v68, v41, 8, 8
	v_add_f16_e32 v14, v14, v6
	v_fma_mixlo_f16 v6, v39, v10, 0 op_sel_hi:[0,1,0]
	v_bfe_u32 v69, v41, 16, 8
	v_dual_lshrrev_b32 v41, 24, v41 :: v_dual_lshrrev_b32 v73, 24, v42
	v_and_b32_e32 v70, 0xff, v42
	s_delay_alu instid0(VALU_DEP_4) | instskip(SKIP_4) | instid1(VALU_DEP_4)
	v_add_f16_e32 v22, v24, v6
	v_fma_mixlo_f16 v6, v48, v10, 0 op_sel:[0,1,0] op_sel_hi:[0,1,0]
	v_dual_sub_nc_u32 v48, v0, v28 :: v_dual_sub_nc_u32 v46, v46, v28
	v_bfe_u32 v71, v42, 8, 8
	v_bfe_u32 v72, v42, 16, 8
	v_add_f16_e32 v23, v23, v6
	v_fma_mixlo_f16 v6, v49, v11, 0 op_sel_hi:[0,1,0]
	v_and_b32_e32 v76, 0xff, v43
	v_bfe_u32 v78, v43, 8, 8
	v_bfe_u32 v79, v43, 16, 8
	v_sub_nc_u32_e32 v43, v56, v26
	v_add_f16_e32 v24, v3, v6
	v_fma_mixlo_f16 v3, v7, v11, 0 op_sel:[0,1,0] op_sel_hi:[0,1,0]
	v_sub_nc_u32_e32 v6, v52, v28
	v_sub_nc_u32_e32 v7, v44, v28
	v_dual_sub_nc_u32 v44, v40, v28 :: v_dual_sub_nc_u32 v52, v53, v27
	s_delay_alu instid0(VALU_DEP_4) | instskip(SKIP_1) | instid1(VALU_DEP_4)
	v_add_f16_e32 v15, v2, v3
	v_dual_sub_nc_u32 v2, v50, v28 :: v_dual_sub_nc_u32 v3, v51, v28
	v_cvt_f32_i32_e32 v49, v7
	v_dual_sub_nc_u32 v53, v54, v27 :: v_dual_sub_nc_u32 v54, v55, v27
	s_delay_alu instid0(VALU_DEP_3) | instskip(NEXT) | instid1(VALU_DEP_4)
	v_cvt_f32_i32_e32 v0, v2
	v_cvt_f32_i32_e32 v1, v3
	;; [unrolled: 1-line block ×3, first 2 shown]
	v_dual_sub_nc_u32 v51, v45, v27 :: v_dual_sub_nc_u32 v50, v67, v27
	s_delay_alu instid0(VALU_DEP_4) | instskip(NEXT) | instid1(VALU_DEP_4)
	v_cvt_f16_f32_e32 v58, v0
	v_cvt_f16_f32_e32 v59, v1
	s_delay_alu instid0(VALU_DEP_4)
	v_cvt_f16_f32_e32 v35, v2
	ds_load_b128 v[0:3], v21 offset:48
	v_dual_sub_nc_u32 v45, v68, v27 :: v_dual_sub_nc_u32 v7, v69, v27
	v_dual_sub_nc_u32 v6, v41, v27 :: v_dual_sub_nc_u32 v41, v60, v26
	v_dual_sub_nc_u32 v42, v61, v26 :: v_dual_sub_nc_u32 v40, v62, v26
	v_dual_sub_nc_u32 v38, v71, v26 :: v_dual_sub_nc_u32 v39, v70, v26
	v_dual_sub_nc_u32 v37, v72, v26 :: v_dual_sub_nc_u32 v36, v73, v26
	v_dual_sub_nc_u32 v33, v63, v29 :: v_dual_sub_nc_u32 v32, v64, v29
	v_dual_sub_nc_u32 v31, v65, v29 :: v_dual_sub_nc_u32 v30, v66, v29
	v_dual_sub_nc_u32 v26, v76, v29 :: v_dual_sub_nc_u32 v27, v78, v29
	v_dual_sub_nc_u32 v28, v79, v29 :: v_dual_sub_nc_u32 v25, v80, v29
	v_cvt_f32_i32_e32 v48, v48
	s_wait_dscnt 0x0
	v_fma_mix_f32 v29, v58, v0, 0 op_sel_hi:[1,1,0]
	v_cvt_f16_f32_e32 v49, v49
	v_cvt_f32_i32_e32 v47, v47
	v_cvt_f32_i32_e32 v46, v46
	v_cvt_f16_f32_e32 v48, v48
	v_fma_mix_f32 v29, v59, v0, v29 op_sel:[0,1,0] op_sel_hi:[1,1,0]
	v_cvt_f32_i32_e32 v44, v44
	v_cvt_f16_f32_e32 v47, v47
	v_cvt_f16_f32_e32 v46, v46
	v_cvt_f32_i32_e32 v50, v50
	v_fma_mix_f32 v29, v35, v1, v29 op_sel_hi:[1,1,0]
	v_cvt_f16_f32_e32 v44, v44
	v_cvt_f32_i32_e32 v45, v45
	v_cvt_f32_i32_e32 v7, v7
	;; [unrolled: 1-line block ×3, first 2 shown]
	v_fma_mix_f32 v29, v49, v1, v29 op_sel:[0,1,0] op_sel_hi:[1,1,0]
	v_cvt_f32_i32_e32 v43, v43
	v_cvt_f32_i32_e32 v41, v41
	v_cvt_f32_i32_e32 v33, v33
	v_cvt_f32_i32_e32 v32, v32
	v_fma_mix_f32 v29, v48, v2, v29 op_sel_hi:[1,1,0]
	v_cvt_f16_f32_e32 v43, v43
	v_cvt_f16_f32_e32 v41, v41
	;; [unrolled: 1-line block ×3, first 2 shown]
	v_cvt_f32_i32_e32 v42, v42
	v_fma_mix_f32 v29, v47, v2, v29 op_sel:[0,1,0] op_sel_hi:[1,1,0]
	v_cvt_f16_f32_e32 v32, v32
	v_cvt_f32_i32_e32 v31, v31
	v_cvt_f32_i32_e32 v40, v40
	v_cvt_f16_f32_e32 v42, v42
	v_fma_mix_f32 v29, v46, v3, v29 op_sel_hi:[1,1,0]
	v_cvt_f32_i32_e32 v30, v30
	v_cvt_f16_f32_e32 v31, v31
	v_cvt_f32_i32_e32 v39, v39
	v_cvt_f16_f32_e32 v40, v40
	v_fma_mix_f32 v29, v44, v3, v29 op_sel:[0,1,0] op_sel_hi:[1,1,0]
	v_cvt_f32_i32_e32 v26, v26
	v_cvt_f16_f32_e32 v30, v30
	v_cvt_f16_f32_e32 v39, v39
	v_cvt_f32_i32_e32 v38, v38
	v_fma_mixlo_f16 v29, v29, v10, 0 op_sel_hi:[0,1,0]
	v_cvt_f32_i32_e32 v27, v27
	v_cvt_f16_f32_e32 v26, v26
	v_cvt_f32_i32_e32 v37, v37
	v_cvt_f16_f32_e32 v38, v38
	v_add_f16_e32 v29, v5, v29
	v_cvt_f32_i32_e32 v5, v52
	v_cvt_f32_i32_e32 v52, v53
	;; [unrolled: 1-line block ×4, first 2 shown]
	v_cvt_f16_f32_e32 v27, v27
	v_cvt_f16_f32_e32 v56, v5
	;; [unrolled: 1-line block ×3, first 2 shown]
	v_cvt_f32_i32_e32 v5, v51
	v_cvt_f16_f32_e32 v55, v53
	v_cvt_f16_f32_e32 v53, v50
	v_fma_mix_f32 v51, v56, v0, 0 op_sel_hi:[1,1,0]
	v_cvt_f16_f32_e32 v52, v45
	v_cvt_f16_f32_e32 v54, v5
	;; [unrolled: 1-line block ×4, first 2 shown]
	v_fma_mix_f32 v51, v57, v0, v51 op_sel:[0,1,0] op_sel_hi:[1,1,0]
	v_cvt_f32_i32_e32 v36, v36
	v_cvt_f32_i32_e32 v25, v25
	v_cvt_f16_f32_e32 v28, v28
	s_delay_alu instid0(VALU_DEP_4) | instskip(SKIP_3) | instid1(VALU_DEP_4)
	v_fma_mix_f32 v5, v55, v1, v51 op_sel_hi:[1,1,0]
	v_cvt_f16_f32_e32 v51, v7
	v_cvt_f16_f32_e32 v36, v36
	;; [unrolled: 1-line block ×3, first 2 shown]
	v_fma_mix_f32 v5, v54, v1, v5 op_sel:[0,1,0] op_sel_hi:[1,1,0]
	s_delay_alu instid0(VALU_DEP_1) | instskip(NEXT) | instid1(VALU_DEP_1)
	v_fma_mix_f32 v5, v53, v2, v5 op_sel_hi:[1,1,0]
	v_fma_mix_f32 v5, v52, v2, v5 op_sel:[0,1,0] op_sel_hi:[1,1,0]
	s_delay_alu instid0(VALU_DEP_1) | instskip(NEXT) | instid1(VALU_DEP_1)
	v_fma_mix_f32 v5, v51, v3, v5 op_sel_hi:[1,1,0]
	v_fma_mix_f32 v5, v50, v3, v5 op_sel:[0,1,0] op_sel_hi:[1,1,0]
	s_delay_alu instid0(VALU_DEP_1) | instskip(NEXT) | instid1(VALU_DEP_1)
	v_fma_mixlo_f16 v5, v5, v10, 0 op_sel:[0,1,0] op_sel_hi:[0,1,0]
	v_add_f16_e32 v45, v4, v5
	ds_load_b128 v[4:7], v21 offset:304
	s_wait_dscnt 0x0
	v_fma_mix_f32 v21, v58, v4, 0 op_sel_hi:[1,1,0]
	v_fma_mix_f32 v58, v43, v0, 0 op_sel_hi:[1,1,0]
	;; [unrolled: 1-line block ×3, first 2 shown]
	s_delay_alu instid0(VALU_DEP_3) | instskip(NEXT) | instid1(VALU_DEP_3)
	v_fma_mix_f32 v21, v59, v4, v21 op_sel:[0,1,0] op_sel_hi:[1,1,0]
	v_fma_mix_f32 v58, v41, v0, v58 op_sel:[0,1,0] op_sel_hi:[1,1,0]
	s_delay_alu instid0(VALU_DEP_3)
	v_fma_mix_f32 v41, v41, v4, v43 op_sel:[0,1,0] op_sel_hi:[1,1,0]
	v_fma_mix_f32 v43, v33, v0, 0 op_sel_hi:[1,1,0]
	v_fma_mix_f32 v33, v33, v4, 0 op_sel_hi:[1,1,0]
	;; [unrolled: 1-line block ×5, first 2 shown]
	v_fma_mix_f32 v0, v32, v0, v43 op_sel:[0,1,0] op_sel_hi:[1,1,0]
	s_delay_alu instid0(VALU_DEP_3) | instskip(SKIP_1) | instid1(VALU_DEP_3)
	v_fma_mix_f32 v35, v57, v4, v35 op_sel:[0,1,0] op_sel_hi:[1,1,0]
	v_fma_mix_f32 v4, v32, v4, v33 op_sel:[0,1,0] op_sel_hi:[1,1,0]
	v_fma_mix_f32 v0, v31, v1, v0 op_sel_hi:[1,1,0]
	v_fma_mix_f32 v33, v42, v5, v41 op_sel_hi:[1,1,0]
	v_fma_mix_f32 v58, v40, v1, v58 op_sel:[0,1,0] op_sel_hi:[1,1,0]
	v_fma_mix_f32 v32, v55, v5, v35 op_sel_hi:[1,1,0]
	v_fma_mix_f32 v4, v31, v5, v4 op_sel_hi:[1,1,0]
	v_fma_mix_f32 v0, v30, v1, v0 op_sel:[0,1,0] op_sel_hi:[1,1,0]
	v_fma_mix_f32 v1, v49, v5, v21 op_sel:[0,1,0] op_sel_hi:[1,1,0]
	;; [unrolled: 1-line block ×5, first 2 shown]
	v_fma_mix_f32 v58, v39, v2, v58 op_sel_hi:[1,1,0]
	v_fma_mix_f32 v0, v26, v2, v0 op_sel_hi:[1,1,0]
	;; [unrolled: 1-line block ×6, first 2 shown]
	v_fma_mix_f32 v58, v38, v2, v58 op_sel:[0,1,0] op_sel_hi:[1,1,0]
	v_fma_mix_f32 v0, v27, v2, v0 op_sel:[0,1,0] op_sel_hi:[1,1,0]
	;; [unrolled: 1-line block ×6, first 2 shown]
	v_fma_mix_f32 v58, v37, v3, v58 op_sel_hi:[1,1,0]
	v_fma_mix_f32 v0, v28, v3, v0 op_sel_hi:[1,1,0]
	;; [unrolled: 1-line block ×6, first 2 shown]
	v_fma_mix_f32 v58, v36, v3, v58 op_sel:[0,1,0] op_sel_hi:[1,1,0]
	v_fma_mix_f32 v0, v25, v3, v0 op_sel:[0,1,0] op_sel_hi:[1,1,0]
	;; [unrolled: 1-line block ×6, first 2 shown]
	v_fma_mixlo_f16 v58, v58, v11, 0 op_sel_hi:[0,1,0]
	v_fma_mixlo_f16 v0, v0, v11, 0 op_sel:[0,1,0] op_sel_hi:[0,1,0]
	v_fma_mixlo_f16 v1, v1, v10, 0 op_sel_hi:[0,1,0]
	v_fma_mixlo_f16 v2, v2, v10, 0 op_sel:[0,1,0] op_sel_hi:[0,1,0]
	;; [unrolled: 2-line block ×3, first 2 shown]
	v_add_f16_e32 v34, v34, v58
	v_add_f16_e32 v0, v14, v0
	;; [unrolled: 1-line block ×6, first 2 shown]
	v_pack_b32_f16 v25, v29, v45
	v_pack_b32_f16 v24, v34, v0
	;; [unrolled: 1-line block ×3, first 2 shown]
	s_delay_alu instid0(VALU_DEP_4)
	v_pack_b32_f16 v22, v3, v4
	s_cbranch_scc1 .LBB22_12
.LBB22_10:                              ; =>This Inner Loop Header: Depth=1
	s_cmp_lg_u32 s15, s18
	s_cbranch_scc1 .LBB22_9
; %bb.11:                               ;   in Loop: Header=BB22_10 Depth=1
	s_add_co_i32 s17, s17, 1
	s_add_co_i32 s18, s18, s0
	s_mul_i32 s5, s17, s4
	s_delay_alu instid0(SALU_CYCLE_1) | instskip(SKIP_3) | instid1(SALU_CYCLE_1)
	s_ashr_i32 s19, s5, 31
	s_wait_xcnt 0x0
	v_add_nc_u32_e32 v0, s5, v8
	s_lshr_b32 s19, s19, 30
	s_add_co_i32 s19, s5, s19
	s_delay_alu instid0(SALU_CYCLE_1) | instskip(NEXT) | instid1(SALU_CYCLE_1)
	s_ashr_i32 s5, s19, 2
	v_add_nc_u32_e32 v2, s5, v16
	global_load_b32 v2, v2, s[2:3] scale_offset
	s_wait_loadcnt 0x0
	v_dual_lshrrev_b32 v20, 24, v2 :: v_dual_ashrrev_i32 v1, 31, v0
	v_and_b32_e32 v9, 0xff, v2
	v_bfe_u32 v18, v2, 8, 8
	v_bfe_u32 v19, v2, 16, 8
	s_delay_alu instid0(VALU_DEP_4)
	v_lshl_add_u64 v[0:1], v[0:1], 1, s[8:9]
	global_load_b64 v[10:11], v[0:1], off
	s_branch .LBB22_9
.LBB22_12:
	v_mad_u32 v0, s14, s4, v8
	s_mov_b32 s0, 0
	s_delay_alu instid0(VALU_DEP_1) | instskip(SKIP_1) | instid1(VALU_DEP_1)
	v_ashrrev_i32_e32 v1, 31, v0
	s_wait_kmcnt 0x0
	v_lshl_add_u64 v[2:3], v[0:1], 1, s[10:11]
	global_load_b32 v5, v[2:3], off
.LBB22_13:                              ; =>This Inner Loop Header: Depth=1
	s_wait_loadcnt 0x0
	v_pk_add_f16 v4, v25, v5
	global_atomic_cmpswap_b32 v1, v[2:3], v[4:5], off th:TH_ATOMIC_RETURN scope:SCOPE_DEV
	s_wait_loadcnt 0x0
	v_cmp_eq_u32_e32 vcc_lo, v5, v1
	v_mov_b32_e32 v5, v1
	s_or_b32 s0, vcc_lo, s0
	s_delay_alu instid0(SALU_CYCLE_1)
	s_and_not1_b32 exec_lo, exec_lo, s0
	s_cbranch_execnz .LBB22_13
; %bb.14:
	s_or_b32 exec_lo, exec_lo, s0
	global_load_b32 v5, v[2:3], off offset:4
	s_mov_b32 s0, 0
.LBB22_15:                              ; =>This Inner Loop Header: Depth=1
	s_wait_loadcnt 0x0
	v_pk_add_f16 v4, v24, v5
	global_atomic_cmpswap_b32 v1, v[2:3], v[4:5], off offset:4 th:TH_ATOMIC_RETURN scope:SCOPE_DEV
	s_wait_loadcnt 0x0
	v_cmp_eq_u32_e32 vcc_lo, v5, v1
	v_mov_b32_e32 v5, v1
	s_or_b32 s0, vcc_lo, s0
	s_delay_alu instid0(SALU_CYCLE_1)
	s_and_not1_b32 exec_lo, exec_lo, s0
	s_cbranch_execnz .LBB22_15
; %bb.16:
	s_or_b32 exec_lo, exec_lo, s0
	v_add_nc_u32_e32 v0, s4, v0
	s_mov_b32 s0, 0
	s_delay_alu instid0(VALU_DEP_1) | instskip(NEXT) | instid1(VALU_DEP_1)
	v_ashrrev_i32_e32 v1, 31, v0
	v_lshl_add_u64 v[0:1], v[0:1], 1, s[10:11]
	global_load_b32 v3, v[0:1], off
.LBB22_17:                              ; =>This Inner Loop Header: Depth=1
	s_wait_loadcnt 0x0
	v_pk_add_f16 v2, v23, v3
	global_atomic_cmpswap_b32 v2, v[0:1], v[2:3], off th:TH_ATOMIC_RETURN scope:SCOPE_DEV
	s_wait_loadcnt 0x0
	v_cmp_eq_u32_e32 vcc_lo, v3, v2
	v_mov_b32_e32 v3, v2
	s_or_b32 s0, vcc_lo, s0
	s_delay_alu instid0(SALU_CYCLE_1)
	s_and_not1_b32 exec_lo, exec_lo, s0
	s_cbranch_execnz .LBB22_17
; %bb.18:
	s_or_b32 exec_lo, exec_lo, s0
	global_load_b32 v3, v[0:1], off offset:4
	s_mov_b32 s0, 0
.LBB22_19:                              ; =>This Inner Loop Header: Depth=1
	s_wait_loadcnt 0x0
	v_pk_add_f16 v2, v22, v3
	global_atomic_cmpswap_b32 v2, v[0:1], v[2:3], off offset:4 th:TH_ATOMIC_RETURN scope:SCOPE_DEV
	s_wait_loadcnt 0x0
	v_cmp_eq_u32_e32 vcc_lo, v3, v2
	v_mov_b32_e32 v3, v2
	s_or_b32 s0, vcc_lo, s0
	s_delay_alu instid0(SALU_CYCLE_1)
	s_and_not1_b32 exec_lo, exec_lo, s0
	s_cbranch_execnz .LBB22_19
.LBB22_20:
	s_endpgm
	.section	.rodata,"a",@progbits
	.p2align	6, 0x0
	.amdhsa_kernel _ZN4vllm4gptq33gemm_half_q_half_gptq_8bit_kernelILb1ELi2EEEvPK6__halfPKjS6_S4_PS2_iiiibPKi
		.amdhsa_group_segment_fixed_size 512
		.amdhsa_private_segment_fixed_size 0
		.amdhsa_kernarg_size 72
		.amdhsa_user_sgpr_count 2
		.amdhsa_user_sgpr_dispatch_ptr 0
		.amdhsa_user_sgpr_queue_ptr 0
		.amdhsa_user_sgpr_kernarg_segment_ptr 1
		.amdhsa_user_sgpr_dispatch_id 0
		.amdhsa_user_sgpr_kernarg_preload_length 0
		.amdhsa_user_sgpr_kernarg_preload_offset 0
		.amdhsa_user_sgpr_private_segment_size 0
		.amdhsa_wavefront_size32 1
		.amdhsa_uses_dynamic_stack 0
		.amdhsa_enable_private_segment 0
		.amdhsa_system_sgpr_workgroup_id_x 1
		.amdhsa_system_sgpr_workgroup_id_y 1
		.amdhsa_system_sgpr_workgroup_id_z 1
		.amdhsa_system_sgpr_workgroup_info 0
		.amdhsa_system_vgpr_workitem_id 0
		.amdhsa_next_free_vgpr 81
		.amdhsa_next_free_sgpr 21
		.amdhsa_named_barrier_count 0
		.amdhsa_reserve_vcc 1
		.amdhsa_float_round_mode_32 0
		.amdhsa_float_round_mode_16_64 0
		.amdhsa_float_denorm_mode_32 3
		.amdhsa_float_denorm_mode_16_64 3
		.amdhsa_fp16_overflow 0
		.amdhsa_memory_ordered 1
		.amdhsa_forward_progress 1
		.amdhsa_inst_pref_size 57
		.amdhsa_round_robin_scheduling 0
		.amdhsa_exception_fp_ieee_invalid_op 0
		.amdhsa_exception_fp_denorm_src 0
		.amdhsa_exception_fp_ieee_div_zero 0
		.amdhsa_exception_fp_ieee_overflow 0
		.amdhsa_exception_fp_ieee_underflow 0
		.amdhsa_exception_fp_ieee_inexact 0
		.amdhsa_exception_int_div_zero 0
	.end_amdhsa_kernel
	.section	.text._ZN4vllm4gptq33gemm_half_q_half_gptq_8bit_kernelILb1ELi2EEEvPK6__halfPKjS6_S4_PS2_iiiibPKi,"axG",@progbits,_ZN4vllm4gptq33gemm_half_q_half_gptq_8bit_kernelILb1ELi2EEEvPK6__halfPKjS6_S4_PS2_iiiibPKi,comdat
.Lfunc_end22:
	.size	_ZN4vllm4gptq33gemm_half_q_half_gptq_8bit_kernelILb1ELi2EEEvPK6__halfPKjS6_S4_PS2_iiiibPKi, .Lfunc_end22-_ZN4vllm4gptq33gemm_half_q_half_gptq_8bit_kernelILb1ELi2EEEvPK6__halfPKjS6_S4_PS2_iiiibPKi
                                        ; -- End function
	.set _ZN4vllm4gptq33gemm_half_q_half_gptq_8bit_kernelILb1ELi2EEEvPK6__halfPKjS6_S4_PS2_iiiibPKi.num_vgpr, 81
	.set _ZN4vllm4gptq33gemm_half_q_half_gptq_8bit_kernelILb1ELi2EEEvPK6__halfPKjS6_S4_PS2_iiiibPKi.num_agpr, 0
	.set _ZN4vllm4gptq33gemm_half_q_half_gptq_8bit_kernelILb1ELi2EEEvPK6__halfPKjS6_S4_PS2_iiiibPKi.numbered_sgpr, 21
	.set _ZN4vllm4gptq33gemm_half_q_half_gptq_8bit_kernelILb1ELi2EEEvPK6__halfPKjS6_S4_PS2_iiiibPKi.num_named_barrier, 0
	.set _ZN4vllm4gptq33gemm_half_q_half_gptq_8bit_kernelILb1ELi2EEEvPK6__halfPKjS6_S4_PS2_iiiibPKi.private_seg_size, 0
	.set _ZN4vllm4gptq33gemm_half_q_half_gptq_8bit_kernelILb1ELi2EEEvPK6__halfPKjS6_S4_PS2_iiiibPKi.uses_vcc, 1
	.set _ZN4vllm4gptq33gemm_half_q_half_gptq_8bit_kernelILb1ELi2EEEvPK6__halfPKjS6_S4_PS2_iiiibPKi.uses_flat_scratch, 0
	.set _ZN4vllm4gptq33gemm_half_q_half_gptq_8bit_kernelILb1ELi2EEEvPK6__halfPKjS6_S4_PS2_iiiibPKi.has_dyn_sized_stack, 0
	.set _ZN4vllm4gptq33gemm_half_q_half_gptq_8bit_kernelILb1ELi2EEEvPK6__halfPKjS6_S4_PS2_iiiibPKi.has_recursion, 0
	.set _ZN4vllm4gptq33gemm_half_q_half_gptq_8bit_kernelILb1ELi2EEEvPK6__halfPKjS6_S4_PS2_iiiibPKi.has_indirect_call, 0
	.section	.AMDGPU.csdata,"",@progbits
; Kernel info:
; codeLenInByte = 7200
; TotalNumSgprs: 23
; NumVgprs: 81
; ScratchSize: 0
; MemoryBound: 0
; FloatMode: 240
; IeeeMode: 1
; LDSByteSize: 512 bytes/workgroup (compile time only)
; SGPRBlocks: 0
; VGPRBlocks: 5
; NumSGPRsForWavesPerEU: 23
; NumVGPRsForWavesPerEU: 81
; NamedBarCnt: 0
; Occupancy: 10
; WaveLimiterHint : 0
; COMPUTE_PGM_RSRC2:SCRATCH_EN: 0
; COMPUTE_PGM_RSRC2:USER_SGPR: 2
; COMPUTE_PGM_RSRC2:TRAP_HANDLER: 0
; COMPUTE_PGM_RSRC2:TGID_X_EN: 1
; COMPUTE_PGM_RSRC2:TGID_Y_EN: 1
; COMPUTE_PGM_RSRC2:TGID_Z_EN: 1
; COMPUTE_PGM_RSRC2:TIDIG_COMP_CNT: 0
	.section	.text._ZN4vllm4gptq33gemm_half_q_half_gptq_2bit_kernelILb1ELi3EEEvPK6__halfPKjS6_S4_PS2_iiiibPKi,"axG",@progbits,_ZN4vllm4gptq33gemm_half_q_half_gptq_2bit_kernelILb1ELi3EEEvPK6__halfPKjS6_S4_PS2_iiiibPKi,comdat
	.protected	_ZN4vllm4gptq33gemm_half_q_half_gptq_2bit_kernelILb1ELi3EEEvPK6__halfPKjS6_S4_PS2_iiiibPKi ; -- Begin function _ZN4vllm4gptq33gemm_half_q_half_gptq_2bit_kernelILb1ELi3EEEvPK6__halfPKjS6_S4_PS2_iiiibPKi
	.globl	_ZN4vllm4gptq33gemm_half_q_half_gptq_2bit_kernelILb1ELi3EEEvPK6__halfPKjS6_S4_PS2_iiiibPKi
	.p2align	8
	.type	_ZN4vllm4gptq33gemm_half_q_half_gptq_2bit_kernelILb1ELi3EEEvPK6__halfPKjS6_S4_PS2_iiiibPKi,@function
_ZN4vllm4gptq33gemm_half_q_half_gptq_2bit_kernelILb1ELi3EEEvPK6__halfPKjS6_S4_PS2_iiiibPKi: ; @_ZN4vllm4gptq33gemm_half_q_half_gptq_2bit_kernelILb1ELi3EEEvPK6__halfPKjS6_S4_PS2_iiiibPKi
; %bb.0:
	s_load_b128 s[4:7], s[0:1], 0x2c
	s_bfe_u32 s2, ttmp6, 0x40014
	s_lshr_b32 s3, ttmp7, 16
	s_add_co_i32 s2, s2, 1
	s_bfe_u32 s9, ttmp6, 0x40010
	s_mul_i32 s2, s3, s2
	s_bfe_u32 s8, ttmp6, 0x40008
	s_and_b32 s10, ttmp7, 0xffff
	s_add_co_i32 s9, s9, 1
	s_add_co_i32 s8, s8, s2
	s_mul_i32 s2, s10, s9
	s_bfe_u32 s9, ttmp6, 0x40004
	s_getreg_b32 s17, hwreg(HW_REG_IB_STS2, 6, 4)
	s_add_co_i32 s9, s9, s2
	s_cmp_eq_u32 s17, 0
	s_mov_b32 s12, exec_lo
	s_cselect_b32 s2, s3, s8
	s_cselect_b32 s14, s10, s9
	s_lshl_b32 s15, s2, 7
	s_mul_i32 s14, s14, 3
	s_add_co_i32 s2, s15, 0x80
	s_delay_alu instid0(SALU_CYCLE_1) | instskip(SKIP_3) | instid1(VALU_DEP_1)
	v_cvt_f64_u32_e32 v[2:3], s2
	s_load_b64 s[2:3], s[0:1], 0x10
	s_wait_kmcnt 0x0
	v_cvt_f64_i32_e32 v[4:5], s5
	v_min_num_f64_e32 v[2:3], v[2:3], v[4:5]
	s_delay_alu instid0(VALU_DEP_1) | instskip(SKIP_1) | instid1(VALU_DEP_2)
	v_cvt_i32_f64_e32 v1, v[2:3]
	v_add_nc_u32_e32 v2, s15, v0
	v_readfirstlane_b32 s16, v1
	s_delay_alu instid0(VALU_DEP_2)
	v_cmpx_lt_u32_e64 v2, v1
	s_cbranch_execz .LBB23_8
; %bb.1:
	s_clause 0x1
	s_load_b64 s[10:11], s[0:1], 0x40
	s_load_b64 s[8:9], s[0:1], 0x0
	v_mov_b32_e32 v3, 0
	s_delay_alu instid0(VALU_DEP_1)
	v_mov_b64_e32 v[6:7], v[2:3]
	s_wait_kmcnt 0x0
	v_lshl_add_u64 v[4:5], v[2:3], 2, s[10:11]
	s_cmp_lg_u64 s[10:11], 0
	s_cselect_b32 s13, -1, 0
	s_cmp_eq_u64 s[10:11], 0
	s_cbranch_scc1 .LBB23_3
; %bb.2:
	global_load_b32 v6, v[4:5], off
	s_wait_loadcnt 0x0
	v_ashrrev_i32_e32 v7, 31, v6
.LBB23_3:
	s_mul_i32 s10, s14, s5
	v_cndmask_b32_e64 v8, 0, 1, s13
	s_ashr_i32 s11, s10, 31
	v_lshlrev_b32_e32 v1, 1, v0
	s_lshl_b64 s[18:19], s[10:11], 1
	s_and_not1_b32 vcc_lo, exec_lo, s13
	s_add_nc_u64 s[18:19], s[8:9], s[18:19]
	s_delay_alu instid0(SALU_CYCLE_1)
	v_lshl_add_u64 v[6:7], v[6:7], 1, s[18:19]
	global_load_u16 v9, v[6:7], off
	s_wait_xcnt 0x0
	v_mov_b64_e32 v[6:7], v[2:3]
	s_wait_loadcnt 0x0
	ds_store_b16 v1, v9
	s_cbranch_vccnz .LBB23_5
; %bb.4:
	global_load_b32 v6, v[4:5], off
	s_wait_loadcnt 0x0
	v_ashrrev_i32_e32 v7, 31, v6
.LBB23_5:
	s_add_co_i32 s10, s10, s5
	v_cmp_ne_u32_e32 vcc_lo, 1, v8
	s_ashr_i32 s11, s10, 31
	s_delay_alu instid0(SALU_CYCLE_1) | instskip(SKIP_2) | instid1(SALU_CYCLE_1)
	s_lshl_b64 s[18:19], s[10:11], 1
	s_and_b32 vcc_lo, exec_lo, vcc_lo
	s_add_nc_u64 s[18:19], s[8:9], s[18:19]
	v_lshl_add_u64 v[6:7], v[6:7], 1, s[18:19]
	global_load_u16 v6, v[6:7], off
	s_wait_loadcnt 0x0
	ds_store_b16 v1, v6 offset:256
	s_cbranch_vccnz .LBB23_7
; %bb.6:
	global_load_b32 v2, v[4:5], off
	s_wait_loadcnt 0x0
	v_ashrrev_i32_e32 v3, 31, v2
.LBB23_7:
	s_add_co_i32 s10, s10, s5
	s_delay_alu instid0(SALU_CYCLE_1) | instskip(NEXT) | instid1(SALU_CYCLE_1)
	s_ashr_i32 s11, s10, 31
	s_lshl_b64 s[10:11], s[10:11], 1
	s_delay_alu instid0(SALU_CYCLE_1) | instskip(NEXT) | instid1(SALU_CYCLE_1)
	s_add_nc_u64 s[8:9], s[8:9], s[10:11]
	v_lshl_add_u64 v[2:3], v[2:3], 1, s[8:9]
	global_load_u16 v2, v[2:3], off
	s_wait_loadcnt 0x0
	ds_store_b16 v1, v2 offset:512
.LBB23_8:
	s_or_b32 exec_lo, exec_lo, s12
	s_clause 0x1
	s_load_b64 s[12:13], s[0:1], 0x8
	s_load_b128 s[8:11], s[0:1], 0x18
	s_wait_xcnt 0x0
	s_bfe_u32 s0, ttmp6, 0x4000c
	s_and_b32 s1, ttmp6, 15
	s_add_co_i32 s0, s0, 1
	v_lshlrev_b32_e32 v1, 2, v0
	s_mul_i32 s0, ttmp9, s0
	s_delay_alu instid0(SALU_CYCLE_1)
	s_add_co_i32 s1, s1, s0
	s_cmp_eq_u32 s17, 0
	s_cselect_b32 s0, ttmp9, s1
	s_mov_b32 s1, 0
	v_lshl_add_u32 v2, s0, 9, v1
	s_mov_b32 s0, exec_lo
	s_delay_alu instid0(VALU_DEP_1)
	v_cmpx_gt_i32_e64 s4, v2
	s_cbranch_execz .LBB23_26
; %bb.9:
	s_abs_i32 s17, s6
	v_dual_mov_b32 v24, 0 :: v_dual_mov_b32 v22, 0
	s_cvt_f32_u32 s0, s17
	v_dual_mov_b32 v21, 0 :: v_dual_mov_b32 v20, 0
	v_dual_mov_b32 v19, 0 :: v_dual_mov_b32 v18, 0
	s_delay_alu instid0(SALU_CYCLE_1)
	v_rcp_iflag_f32_e32 v1, s0
	s_cmp_ge_i32 s15, s16
	s_wait_dscnt 0x0
	s_barrier_signal -1
	s_barrier_wait -1
	v_nop
	s_delay_alu instid0(TRANS32_DEP_1)
	v_readfirstlane_b32 s0, v1
	s_cbranch_scc1 .LBB23_14
; %bb.10:
	s_mul_f32 s0, s0, 0x4f7ffffe
	s_ashr_i32 s6, s6, 31
	v_dual_mov_b32 v18, 0 :: v_dual_ashrrev_i32 v3, 31, v2
	v_mov_b32_e32 v19, 0
	s_cvt_u32_f32 s18, s0
	s_sub_co_i32 s0, 0, s17
	v_dual_mov_b32 v20, 0 :: v_dual_mov_b32 v21, 0
	s_delay_alu instid0(SALU_CYCLE_1)
	s_mul_i32 s19, s0, s18
	s_abs_i32 s0, s5
	s_mul_hi_u32 s20, s18, s19
	s_mov_b32 s19, s1
	s_add_co_i32 s18, s18, s20
	s_ashr_i32 s5, s5, 31
	s_mul_u64 s[18:19], s[0:1], s[18:19]
	s_xor_b32 s5, s5, s6
	s_mul_i32 s18, s19, s17
	s_add_co_i32 s6, s19, 1
	s_sub_co_i32 s0, s0, s18
	v_lshlrev_b32_e32 v7, 3, v0
	s_sub_co_i32 s18, s0, s17
	s_cmp_ge_u32 s0, s17
	v_mov_b32_e32 v22, 0
	s_cselect_b32 s6, s6, s19
	s_cselect_b32 s0, s18, s0
	s_add_co_i32 s18, s6, 1
	s_cmp_ge_u32 s0, s17
	s_mov_b32 s19, 0x30003
	s_cselect_b32 s0, s18, s6
	s_mov_b32 s18, 0x10001
	s_xor_b32 s0, s0, s5
	v_and_b32_e32 v25, 24, v7
	s_sub_co_i32 s0, s0, s5
	s_bitcmp1_b32 s7, 0
	s_cvt_f32_u32 s5, s0
	s_cselect_b32 s6, -1, 0
	s_sub_co_i32 s7, 0, s0
	s_xor_b32 s20, s6, -1
	v_rcp_iflag_f32_e32 v1, s5
	v_cndmask_b32_e64 v26, 0, 1, s20
	s_mov_b32 s20, 0xc000c0
	v_mov_b32_e32 v24, 0
	s_delay_alu instid0(TRANS32_DEP_1) | instskip(SKIP_1) | instid1(SALU_CYCLE_3)
	v_readfirstlane_b32 s5, v1
	s_mul_f32 s5, s5, 0x4f7ffffe
	s_cvt_u32_f32 s5, s5
	s_delay_alu instid0(SALU_CYCLE_3) | instskip(NEXT) | instid1(SALU_CYCLE_1)
	s_mul_i32 s7, s7, s5
	s_mul_hi_u32 s7, s5, s7
	s_delay_alu instid0(SALU_CYCLE_1) | instskip(NEXT) | instid1(SALU_CYCLE_1)
	s_add_co_i32 s5, s5, s7
	s_mul_hi_u32 s5, s15, s5
	s_delay_alu instid0(SALU_CYCLE_1) | instskip(NEXT) | instid1(SALU_CYCLE_1)
	s_mul_i32 s7, s5, s0
	s_sub_co_i32 s6, s15, s7
	s_add_co_i32 s7, s5, 1
	s_sub_co_i32 s17, s6, s0
	s_cmp_ge_u32 s6, s0
	s_cselect_b32 s5, s7, s5
	s_cselect_b32 s6, s17, s6
	s_add_co_i32 s7, s5, 1
	s_cmp_ge_u32 s6, s0
	s_cselect_b32 s17, s7, s5
	s_delay_alu instid0(SALU_CYCLE_1) | instskip(NEXT) | instid1(SALU_CYCLE_1)
	s_mul_i32 s5, s17, s4
	v_dual_lshrrev_b32 v1, 28, v3 :: v_dual_add_nc_u32 v4, s5, v2
	s_ashr_i32 s6, s5, 31
	s_delay_alu instid0(SALU_CYCLE_1) | instskip(NEXT) | instid1(VALU_DEP_1)
	s_lshr_b32 s6, s6, 28
	v_add_nc_u32_e32 v1, v2, v1
	s_add_co_i32 s6, s5, s6
	v_ashrrev_i32_e32 v5, 31, v4
	s_ashr_i32 s6, s6, 4
	s_lshr_b32 s5, s15, 4
	v_ashrrev_i32_e32 v23, 4, v1
	s_wait_kmcnt 0x0
	v_lshl_add_u64 v[4:5], v[4:5], 1, s[8:9]
	s_delay_alu instid0(VALU_DEP_2)
	v_add_nc_u32_e32 v1, s6, v23
	s_mul_i32 s6, s4, s5
	global_load_b64 v[4:5], v[4:5], off
	s_ashr_i32 s7, s6, 31
	s_ashr_i32 s5, s4, 31
	global_load_b32 v6, v1, s[2:3] scale_offset
	s_lshl_b64 s[6:7], s[6:7], 2
	s_delay_alu instid0(SALU_CYCLE_1)
	s_add_nc_u64 s[6:7], s[12:13], s[6:7]
	s_add_co_i32 s12, s0, s15
	s_wait_xcnt 0x0
	v_lshl_add_u64 v[0:1], v[2:3], 2, s[6:7]
	s_lshl_b64 s[6:7], s[4:5], 2
	s_mov_b32 s5, 0xc000c
	s_mov_b32 s13, 0x300030
	s_delay_alu instid0(VALU_DEP_1) | instskip(SKIP_3) | instid1(VALU_DEP_2)
	v_add_nc_u64_e32 v[0:1], 8, v[0:1]
	s_wait_loadcnt 0x0
	v_lshrrev_b32_e32 v7, v7, v6
	v_bfe_u32 v3, v6, v25, 2
	v_bfe_u32 v27, v7, 2, 2
	;; [unrolled: 1-line block ×4, first 2 shown]
	s_branch .LBB23_12
.LBB23_11:                              ;   in Loop: Header=BB23_12 Depth=1
	global_load_b128 v[32:35], v[0:1], off offset:-8
	v_dual_add_nc_u32 v7, v27, v26 :: v_dual_add_nc_u32 v9, v29, v26
	v_dual_add_nc_u32 v6, v3, v26 :: v_dual_add_nc_u32 v8, v28, v26
	v_mov_b32_e32 v16, s1
	s_delay_alu instid0(VALU_DEP_3) | instskip(SKIP_1) | instid1(VALU_DEP_4)
	v_cvt_f32_i32_e32 v12, v7
	v_and_b32_e32 v13, 0x1bff, v7
	v_cvt_f32_i32_e32 v10, v6
	v_cvt_f32_i32_e32 v14, v8
	v_and_b32_e32 v15, 0x1bff, v8
	v_cvt_f32_i32_e32 v8, v9
	v_cvt_f16_f32_e32 v43, v12
	v_and_b32_e32 v11, 0x1bff, v6
	v_cvt_f16_f32_e32 v40, v10
	v_cvt_f16_f32_e32 v44, v14
	;; [unrolled: 1-line block ×3, first 2 shown]
	v_sub_f16_e32 v12, 0xdc00, v43
	v_mad_u32_u24 v10, v15, s18, 0xe400e400
	v_and_b32_e32 v17, 0x1bff, v9
	v_mad_u32_u24 v9, v11, s18, 0xe400e400
	v_sub_f16_e32 v14, 0xdc00, v45
	v_and_b32_e32 v15, 0xffff, v12
	v_mad_u32_u24 v8, v13, s18, 0xe400e400
	v_sub_f16_e32 v11, 0xdc00, v40
	v_sub_f16_e32 v13, 0xdc00, v44
	v_and_b32_e32 v30, 0xffff, v14
	v_mul_u32_u24_e32 v14, 0x10001, v15
	v_mad_u32_u24 v12, v17, s18, 0xe400e400
	v_and_b32_e32 v11, 0xffff, v11
	v_and_b32_e32 v13, 0xffff, v13
	s_wait_xcnt 0x0
	v_add_nc_u64_e32 v[0:1], s[6:7], v[0:1]
	s_add_co_i32 s15, s15, 16
	s_add_co_i32 s1, s1, 32
	v_mul_u32_u24_e32 v17, 0x10001, v11
	v_mul_u32_u24_e32 v11, 0x10001, v13
	;; [unrolled: 1-line block ×3, first 2 shown]
	s_cmp_ge_i32 s15, s16
	s_wait_loadcnt 0x0
	v_and_or_b32 v36, v32, s19, 0x64006400
	v_and_or_b32 v37, v32, s5, 0x64006400
	;; [unrolled: 1-line block ×4, first 2 shown]
	v_lshrrev_b32_e32 v32, 8, v32
	ds_load_2addr_b32 v[6:7], v16 offset1:1
	v_and_or_b32 v38, v33, s19, 0x64006400
	v_and_or_b32 v39, v33, s5, 0x64006400
	;; [unrolled: 1-line block ×4, first 2 shown]
	v_dual_lshrrev_b32 v31, 8, v33 :: v_dual_lshrrev_b32 v30, 8, v34
	v_pk_add_f16 v50, v8, v38
	v_pk_fma_f16 v59, 0x3400, v39, v14 op_sel_hi:[0,1,1]
	ds_load_2addr_b32 v[38:39], v16 offset0:64 offset1:65
	v_and_or_b32 v33, v34, s19, 0x64006400
	v_and_or_b32 v41, v34, s5, 0x64006400
	;; [unrolled: 1-line block ×6, first 2 shown]
	v_pk_add_f16 v46, v9, v36
	v_pk_add_f16 v33, v10, v33
	v_and_or_b32 v57, v35, s13, 0x64006400
	v_pk_add_f16 v61, v12, v34
	v_and_or_b32 v58, v35, s20, 0x64006400
	v_lshrrev_b32_e32 v15, 8, v35
	v_pk_fma_f16 v47, 0x3400, v37, v17 op_sel_hi:[0,1,1]
	v_pk_fma_f16 v60, 0x3400, v41, v11 op_sel_hi:[0,1,1]
	s_wait_dscnt 0x1
	v_pk_fma_f16 v35, v46, v6, 0
	v_pk_fma_f16 v36, v50, v6, 0
	;; [unrolled: 1-line block ×3, first 2 shown]
	v_pk_fma_f16 v62, 0x3400, v42, v13 op_sel_hi:[0,1,1]
	v_pk_fma_f16 v6, v61, v6, 0
	v_pk_fma_f16 v34, v47, v7, v35
	;; [unrolled: 1-line block ×4, first 2 shown]
	s_delay_alu instid0(VALU_DEP_4) | instskip(SKIP_3) | instid1(VALU_DEP_2)
	v_pk_fma_f16 v48, v62, v7, v6
	s_wait_dscnt 0x0
	v_pk_fma_f16 v7, v50, v38, 0
	v_pk_fma_f16 v6, v46, v38, 0
	;; [unrolled: 1-line block ×4, first 2 shown]
	s_delay_alu instid0(VALU_DEP_3) | instskip(NEXT) | instid1(VALU_DEP_2)
	v_pk_fma_f16 v6, v47, v39, v6
	v_pk_fma_f16 v42, v60, v39, v7
	;; [unrolled: 1-line block ×3, first 2 shown]
	s_delay_alu instid0(VALU_DEP_1)
	v_pk_fma_f16 v49, v62, v39, v7
	ds_load_2addr_b32 v[38:39], v16 offset0:128 offset1:129
	s_wait_dscnt 0x0
	v_pk_fma_f16 v7, v46, v38, 0
	v_pk_fma_f16 v33, v33, v38, 0
	;; [unrolled: 1-line block ×3, first 2 shown]
	v_sub_f16_e32 v46, 0xd400, v45
	v_sub_f16_e32 v45, 0xcc00, v45
	v_pk_fma_f16 v7, v47, v39, v7
	v_pk_fma_f16 v47, v60, v39, v33
	v_pk_fma_f16 v33, v61, v38, 0
	v_pk_fma_f16 v41, v59, v39, v41
	v_sub_f16_e32 v38, 0xcc00, v40
	v_and_b32_e32 v61, 0xffff, v46
	s_delay_alu instid0(VALU_DEP_4)
	v_pk_fma_f16 v50, v62, v39, v33
	v_sub_f16_e32 v39, 0xd400, v43
	v_sub_f16_e32 v33, 0xd400, v40
	;; [unrolled: 1-line block ×5, first 2 shown]
	v_and_b32_e32 v38, 0xffff, v38
	v_and_b32_e32 v39, 0xffff, v39
	;; [unrolled: 1-line block ×6, first 2 shown]
	v_mul_u32_u24_e32 v45, 0x10001, v38
	v_mul_u32_u24_e32 v44, 0x10001, v39
	;; [unrolled: 1-line block ×5, first 2 shown]
	v_pk_fma_f16 v59, 0x2400, v52, v45 op_sel_hi:[0,1,1]
	v_pk_fma_f16 v60, 0x2c00, v53, v44 op_sel_hi:[0,1,1]
	ds_load_2addr_b32 v[52:53], v16 offset0:2 offset1:3
	v_and_b32_e32 v33, 0xffff, v33
	v_mul_u32_u24_e32 v38, 0x10001, v61
	v_pk_fma_f16 v55, 0x2c00, v55, v40 op_sel_hi:[0,1,1]
	v_pk_fma_f16 v54, 0x2400, v54, v43 op_sel_hi:[0,1,1]
	;; [unrolled: 1-line block ×3, first 2 shown]
	v_mul_u32_u24_e32 v46, 0x10001, v33
	v_mul_u32_u24_e32 v33, 0x10001, v62
	v_pk_fma_f16 v57, 0x2c00, v57, v38 op_sel_hi:[0,1,1]
	s_delay_alu instid0(VALU_DEP_3) | instskip(NEXT) | instid1(VALU_DEP_3)
	v_pk_fma_f16 v51, 0x2c00, v51, v46 op_sel_hi:[0,1,1]
	v_pk_fma_f16 v58, 0x2400, v58, v33 op_sel_hi:[0,1,1]
	s_wait_dscnt 0x0
	s_delay_alu instid0(VALU_DEP_2) | instskip(SKIP_3) | instid1(VALU_DEP_4)
	v_pk_fma_f16 v34, v51, v52, v34
	v_pk_fma_f16 v35, v60, v52, v35
	;; [unrolled: 1-line block ×5, first 2 shown]
	s_delay_alu instid0(VALU_DEP_4) | instskip(NEXT) | instid1(VALU_DEP_4)
	v_pk_fma_f16 v62, v54, v53, v35
	v_pk_fma_f16 v34, v56, v53, v37
	s_delay_alu instid0(VALU_DEP_4)
	v_pk_fma_f16 v35, v58, v53, v48
	ds_load_2addr_b32 v[52:53], v16 offset0:66 offset1:67
	s_wait_dscnt 0x0
	v_pk_fma_f16 v37, v55, v52, v42
	v_pk_fma_f16 v42, v57, v52, v49
	ds_load_2addr_b32 v[48:49], v16 offset0:130 offset1:131
	v_pk_fma_f16 v6, v51, v52, v6
	v_pk_fma_f16 v36, v60, v52, v36
	s_delay_alu instid0(VALU_DEP_2) | instskip(NEXT) | instid1(VALU_DEP_2)
	v_pk_fma_f16 v52, v59, v53, v6
	v_pk_fma_f16 v63, v54, v53, v36
	;; [unrolled: 1-line block ×4, first 2 shown]
	s_wait_dscnt 0x0
	v_pk_fma_f16 v6, v51, v48, v7
	v_pk_fma_f16 v7, v60, v48, v41
	v_pk_fma_f16 v41, v55, v48, v47
	v_pk_fma_f16 v42, v57, v48, v50
	v_and_or_b32 v47, v32, s19, 0x64006400
	v_pk_fma_f16 v48, v59, v49, v6
	v_pk_fma_f16 v50, v54, v49, v7
	;; [unrolled: 1-line block ×4, first 2 shown]
	v_and_or_b32 v49, v32, s5, 0x64006400
	v_and_or_b32 v51, v32, s13, 0x64006400
	;; [unrolled: 1-line block ×3, first 2 shown]
	v_pk_add_f16 v53, v9, v47
	v_and_or_b32 v9, v31, s19, 0x64006400
	v_pk_fma_f16 v47, 0x3400, v49, v17 op_sel_hi:[0,1,1]
	v_and_or_b32 v17, v31, s5, 0x64006400
	v_pk_fma_f16 v46, 0x2c00, v51, v46 op_sel_hi:[0,1,1]
	v_and_or_b32 v49, v31, s13, 0x64006400
	v_and_or_b32 v51, v31, s20, 0x64006400
	v_pk_fma_f16 v31, 0x2400, v32, v45 op_sel_hi:[0,1,1]
	v_and_or_b32 v54, v30, s19, 0x64006400
	;; [unrolled: 3-line block ×3, first 2 shown]
	ds_load_2addr_b32 v[6:7], v16 offset0:4 offset1:5
	v_pk_add_f16 v55, v8, v9
	v_pk_fma_f16 v44, 0x2c00, v49, v44 op_sel_hi:[0,1,1]
	ds_load_2addr_b32 v[8:9], v16 offset0:68 offset1:69
	v_pk_fma_f16 v32, 0x2400, v51, v43 op_sel_hi:[0,1,1]
	v_pk_add_f16 v49, v10, v54
	v_pk_fma_f16 v43, 0x3400, v56, v11 op_sel_hi:[0,1,1]
	ds_load_2addr_b32 v[10:11], v16 offset0:132 offset1:133
	v_and_or_b32 v17, v30, s20, 0x64006400
	v_pk_fma_f16 v40, 0x2c00, v14, v40 op_sel_hi:[0,1,1]
	v_and_or_b32 v14, v15, s19, 0x64006400
	s_delay_alu instid0(VALU_DEP_3) | instskip(SKIP_1) | instid1(VALU_DEP_3)
	v_pk_fma_f16 v30, 0x2400, v17, v39 op_sel_hi:[0,1,1]
	v_and_or_b32 v17, v15, s5, 0x64006400
	v_pk_add_f16 v39, v12, v14
	v_and_or_b32 v12, v15, s13, 0x64006400
	v_and_or_b32 v14, v15, s20, 0x64006400
	s_delay_alu instid0(VALU_DEP_4) | instskip(NEXT) | instid1(VALU_DEP_3)
	v_pk_fma_f16 v51, 0x3400, v17, v13 op_sel_hi:[0,1,1]
	v_pk_fma_f16 v38, 0x2c00, v12, v38 op_sel_hi:[0,1,1]
	s_delay_alu instid0(VALU_DEP_3)
	v_pk_fma_f16 v33, 0x2400, v14, v33 op_sel_hi:[0,1,1]
	ds_load_2addr_b32 v[14:15], v16 offset0:70 offset1:71
	ds_load_2addr_b32 v[12:13], v16 offset0:6 offset1:7
	;; [unrolled: 1-line block ×3, first 2 shown]
	s_wait_dscnt 0x5
	v_pk_fma_f16 v54, v53, v6, v61
	s_wait_dscnt 0x4
	v_pk_fma_f16 v52, v53, v8, v52
	;; [unrolled: 2-line block ×3, first 2 shown]
	v_pk_fma_f16 v53, v55, v6, v62
	v_pk_fma_f16 v56, v55, v8, v63
	;; [unrolled: 1-line block ×21, first 2 shown]
	s_wait_dscnt 0x1
	v_pk_fma_f16 v11, v46, v12, v37
	v_pk_fma_f16 v37, v44, v12, v39
	;; [unrolled: 1-line block ×8, first 2 shown]
	s_wait_dscnt 0x0
	v_pk_fma_f16 v9, v46, v16, v9
	v_pk_fma_f16 v14, v44, v16, v42
	;; [unrolled: 1-line block ×16, first 2 shown]
	v_pack_b32_f16 v17, v11, v16
	v_perm_b32 v11, v16, v11, 0x7060302
	v_pack_b32_f16 v16, v7, v12
	v_perm_b32 v7, v12, v7, 0x7060302
	;; [unrolled: 2-line block ×6, first 2 shown]
	v_pk_add_f16 v11, v17, v11
	v_pk_add_f16 v7, v16, v7
	;; [unrolled: 1-line block ×6, first 2 shown]
	v_pk_fma_f16 v24, v11, v4, v24
	v_pk_fma_f16 v21, v7, v4, v21
	;; [unrolled: 1-line block ×6, first 2 shown]
	s_cbranch_scc1 .LBB23_14
.LBB23_12:                              ; =>This Inner Loop Header: Depth=1
	s_cmp_lg_u32 s15, s12
	s_cbranch_scc1 .LBB23_11
; %bb.13:                               ;   in Loop: Header=BB23_12 Depth=1
	s_add_co_i32 s17, s17, 1
	s_add_co_i32 s12, s12, s0
	s_mul_i32 s21, s17, s4
	s_delay_alu instid0(SALU_CYCLE_1) | instskip(SKIP_2) | instid1(SALU_CYCLE_1)
	s_ashr_i32 s22, s21, 31
	v_add_nc_u32_e32 v4, s21, v2
	s_lshr_b32 s22, s22, 28
	s_add_co_i32 s22, s21, s22
	s_delay_alu instid0(SALU_CYCLE_1) | instskip(NEXT) | instid1(SALU_CYCLE_1)
	s_ashr_i32 s22, s22, 4
	v_add_nc_u32_e32 v3, s22, v23
	global_load_b32 v3, v3, s[2:3] scale_offset
	s_wait_loadcnt 0x0
	v_dual_ashrrev_i32 v5, 31, v4 :: v_dual_lshrrev_b32 v6, v25, v3
	s_delay_alu instid0(VALU_DEP_1) | instskip(SKIP_1) | instid1(VALU_DEP_3)
	v_lshl_add_u64 v[4:5], v[4:5], 1, s[8:9]
	v_bfe_u32 v3, v3, v25, 2
	v_bfe_u32 v27, v6, 2, 2
	global_load_b64 v[4:5], v[4:5], off
	v_bfe_u32 v28, v6, 4, 2
	v_bfe_u32 v29, v6, 6, 2
	s_branch .LBB23_11
.LBB23_14:
	v_mad_u32 v0, s14, s4, v2
	s_mov_b32 s0, 0
	s_delay_alu instid0(VALU_DEP_1) | instskip(SKIP_1) | instid1(VALU_DEP_1)
	v_ashrrev_i32_e32 v1, 31, v0
	s_wait_kmcnt 0x0
	v_lshl_add_u64 v[2:3], v[0:1], 1, s[10:11]
	global_load_b32 v5, v[2:3], off
.LBB23_15:                              ; =>This Inner Loop Header: Depth=1
	s_wait_loadcnt 0x0
	v_pk_add_f16 v4, v24, v5
	global_atomic_cmpswap_b32 v1, v[2:3], v[4:5], off th:TH_ATOMIC_RETURN scope:SCOPE_DEV
	s_wait_loadcnt 0x0
	v_cmp_eq_u32_e32 vcc_lo, v5, v1
	v_mov_b32_e32 v5, v1
	s_or_b32 s0, vcc_lo, s0
	s_delay_alu instid0(SALU_CYCLE_1)
	s_and_not1_b32 exec_lo, exec_lo, s0
	s_cbranch_execnz .LBB23_15
; %bb.16:
	s_or_b32 exec_lo, exec_lo, s0
	global_load_b32 v5, v[2:3], off offset:4
	s_mov_b32 s0, 0
.LBB23_17:                              ; =>This Inner Loop Header: Depth=1
	s_wait_loadcnt 0x0
	v_pk_add_f16 v4, v22, v5
	global_atomic_cmpswap_b32 v1, v[2:3], v[4:5], off offset:4 th:TH_ATOMIC_RETURN scope:SCOPE_DEV
	s_wait_loadcnt 0x0
	v_cmp_eq_u32_e32 vcc_lo, v5, v1
	v_mov_b32_e32 v5, v1
	s_or_b32 s0, vcc_lo, s0
	s_delay_alu instid0(SALU_CYCLE_1)
	s_and_not1_b32 exec_lo, exec_lo, s0
	s_cbranch_execnz .LBB23_17
; %bb.18:
	s_or_b32 exec_lo, exec_lo, s0
	v_add_nc_u32_e32 v0, s4, v0
	s_mov_b32 s0, 0
	s_delay_alu instid0(VALU_DEP_1) | instskip(NEXT) | instid1(VALU_DEP_1)
	v_ashrrev_i32_e32 v1, 31, v0
	v_lshl_add_u64 v[2:3], v[0:1], 1, s[10:11]
	global_load_b32 v5, v[2:3], off
.LBB23_19:                              ; =>This Inner Loop Header: Depth=1
	s_wait_loadcnt 0x0
	v_pk_add_f16 v4, v21, v5
	global_atomic_cmpswap_b32 v1, v[2:3], v[4:5], off th:TH_ATOMIC_RETURN scope:SCOPE_DEV
	s_wait_loadcnt 0x0
	v_cmp_eq_u32_e32 vcc_lo, v5, v1
	v_mov_b32_e32 v5, v1
	s_or_b32 s0, vcc_lo, s0
	s_delay_alu instid0(SALU_CYCLE_1)
	s_and_not1_b32 exec_lo, exec_lo, s0
	s_cbranch_execnz .LBB23_19
; %bb.20:
	s_or_b32 exec_lo, exec_lo, s0
	global_load_b32 v5, v[2:3], off offset:4
	s_mov_b32 s0, 0
.LBB23_21:                              ; =>This Inner Loop Header: Depth=1
	s_wait_loadcnt 0x0
	v_pk_add_f16 v4, v20, v5
	global_atomic_cmpswap_b32 v1, v[2:3], v[4:5], off offset:4 th:TH_ATOMIC_RETURN scope:SCOPE_DEV
	s_wait_loadcnt 0x0
	v_cmp_eq_u32_e32 vcc_lo, v5, v1
	v_mov_b32_e32 v5, v1
	s_or_b32 s0, vcc_lo, s0
	s_delay_alu instid0(SALU_CYCLE_1)
	s_and_not1_b32 exec_lo, exec_lo, s0
	s_cbranch_execnz .LBB23_21
; %bb.22:
	s_or_b32 exec_lo, exec_lo, s0
	v_add_nc_u32_e32 v0, s4, v0
	s_mov_b32 s0, 0
	s_delay_alu instid0(VALU_DEP_1) | instskip(NEXT) | instid1(VALU_DEP_1)
	v_ashrrev_i32_e32 v1, 31, v0
	v_lshl_add_u64 v[0:1], v[0:1], 1, s[10:11]
	global_load_b32 v3, v[0:1], off
.LBB23_23:                              ; =>This Inner Loop Header: Depth=1
	s_wait_loadcnt 0x0
	v_pk_add_f16 v2, v19, v3
	global_atomic_cmpswap_b32 v2, v[0:1], v[2:3], off th:TH_ATOMIC_RETURN scope:SCOPE_DEV
	s_wait_loadcnt 0x0
	v_cmp_eq_u32_e32 vcc_lo, v3, v2
	v_mov_b32_e32 v3, v2
	s_or_b32 s0, vcc_lo, s0
	s_delay_alu instid0(SALU_CYCLE_1)
	s_and_not1_b32 exec_lo, exec_lo, s0
	s_cbranch_execnz .LBB23_23
; %bb.24:
	s_or_b32 exec_lo, exec_lo, s0
	global_load_b32 v3, v[0:1], off offset:4
	s_mov_b32 s0, 0
.LBB23_25:                              ; =>This Inner Loop Header: Depth=1
	s_wait_loadcnt 0x0
	v_pk_add_f16 v2, v18, v3
	global_atomic_cmpswap_b32 v2, v[0:1], v[2:3], off offset:4 th:TH_ATOMIC_RETURN scope:SCOPE_DEV
	s_wait_loadcnt 0x0
	v_cmp_eq_u32_e32 vcc_lo, v3, v2
	v_mov_b32_e32 v3, v2
	s_or_b32 s0, vcc_lo, s0
	s_delay_alu instid0(SALU_CYCLE_1)
	s_and_not1_b32 exec_lo, exec_lo, s0
	s_cbranch_execnz .LBB23_25
.LBB23_26:
	s_endpgm
	.section	.rodata,"a",@progbits
	.p2align	6, 0x0
	.amdhsa_kernel _ZN4vllm4gptq33gemm_half_q_half_gptq_2bit_kernelILb1ELi3EEEvPK6__halfPKjS6_S4_PS2_iiiibPKi
		.amdhsa_group_segment_fixed_size 768
		.amdhsa_private_segment_fixed_size 0
		.amdhsa_kernarg_size 72
		.amdhsa_user_sgpr_count 2
		.amdhsa_user_sgpr_dispatch_ptr 0
		.amdhsa_user_sgpr_queue_ptr 0
		.amdhsa_user_sgpr_kernarg_segment_ptr 1
		.amdhsa_user_sgpr_dispatch_id 0
		.amdhsa_user_sgpr_kernarg_preload_length 0
		.amdhsa_user_sgpr_kernarg_preload_offset 0
		.amdhsa_user_sgpr_private_segment_size 0
		.amdhsa_wavefront_size32 1
		.amdhsa_uses_dynamic_stack 0
		.amdhsa_enable_private_segment 0
		.amdhsa_system_sgpr_workgroup_id_x 1
		.amdhsa_system_sgpr_workgroup_id_y 1
		.amdhsa_system_sgpr_workgroup_id_z 1
		.amdhsa_system_sgpr_workgroup_info 0
		.amdhsa_system_vgpr_workitem_id 0
		.amdhsa_next_free_vgpr 64
		.amdhsa_next_free_sgpr 23
		.amdhsa_named_barrier_count 0
		.amdhsa_reserve_vcc 1
		.amdhsa_float_round_mode_32 0
		.amdhsa_float_round_mode_16_64 0
		.amdhsa_float_denorm_mode_32 3
		.amdhsa_float_denorm_mode_16_64 3
		.amdhsa_fp16_overflow 0
		.amdhsa_memory_ordered 1
		.amdhsa_forward_progress 1
		.amdhsa_inst_pref_size 33
		.amdhsa_round_robin_scheduling 0
		.amdhsa_exception_fp_ieee_invalid_op 0
		.amdhsa_exception_fp_denorm_src 0
		.amdhsa_exception_fp_ieee_div_zero 0
		.amdhsa_exception_fp_ieee_overflow 0
		.amdhsa_exception_fp_ieee_underflow 0
		.amdhsa_exception_fp_ieee_inexact 0
		.amdhsa_exception_int_div_zero 0
	.end_amdhsa_kernel
	.section	.text._ZN4vllm4gptq33gemm_half_q_half_gptq_2bit_kernelILb1ELi3EEEvPK6__halfPKjS6_S4_PS2_iiiibPKi,"axG",@progbits,_ZN4vllm4gptq33gemm_half_q_half_gptq_2bit_kernelILb1ELi3EEEvPK6__halfPKjS6_S4_PS2_iiiibPKi,comdat
.Lfunc_end23:
	.size	_ZN4vllm4gptq33gemm_half_q_half_gptq_2bit_kernelILb1ELi3EEEvPK6__halfPKjS6_S4_PS2_iiiibPKi, .Lfunc_end23-_ZN4vllm4gptq33gemm_half_q_half_gptq_2bit_kernelILb1ELi3EEEvPK6__halfPKjS6_S4_PS2_iiiibPKi
                                        ; -- End function
	.set _ZN4vllm4gptq33gemm_half_q_half_gptq_2bit_kernelILb1ELi3EEEvPK6__halfPKjS6_S4_PS2_iiiibPKi.num_vgpr, 64
	.set _ZN4vllm4gptq33gemm_half_q_half_gptq_2bit_kernelILb1ELi3EEEvPK6__halfPKjS6_S4_PS2_iiiibPKi.num_agpr, 0
	.set _ZN4vllm4gptq33gemm_half_q_half_gptq_2bit_kernelILb1ELi3EEEvPK6__halfPKjS6_S4_PS2_iiiibPKi.numbered_sgpr, 23
	.set _ZN4vllm4gptq33gemm_half_q_half_gptq_2bit_kernelILb1ELi3EEEvPK6__halfPKjS6_S4_PS2_iiiibPKi.num_named_barrier, 0
	.set _ZN4vllm4gptq33gemm_half_q_half_gptq_2bit_kernelILb1ELi3EEEvPK6__halfPKjS6_S4_PS2_iiiibPKi.private_seg_size, 0
	.set _ZN4vllm4gptq33gemm_half_q_half_gptq_2bit_kernelILb1ELi3EEEvPK6__halfPKjS6_S4_PS2_iiiibPKi.uses_vcc, 1
	.set _ZN4vllm4gptq33gemm_half_q_half_gptq_2bit_kernelILb1ELi3EEEvPK6__halfPKjS6_S4_PS2_iiiibPKi.uses_flat_scratch, 0
	.set _ZN4vllm4gptq33gemm_half_q_half_gptq_2bit_kernelILb1ELi3EEEvPK6__halfPKjS6_S4_PS2_iiiibPKi.has_dyn_sized_stack, 0
	.set _ZN4vllm4gptq33gemm_half_q_half_gptq_2bit_kernelILb1ELi3EEEvPK6__halfPKjS6_S4_PS2_iiiibPKi.has_recursion, 0
	.set _ZN4vllm4gptq33gemm_half_q_half_gptq_2bit_kernelILb1ELi3EEEvPK6__halfPKjS6_S4_PS2_iiiibPKi.has_indirect_call, 0
	.section	.AMDGPU.csdata,"",@progbits
; Kernel info:
; codeLenInByte = 4204
; TotalNumSgprs: 25
; NumVgprs: 64
; ScratchSize: 0
; MemoryBound: 0
; FloatMode: 240
; IeeeMode: 1
; LDSByteSize: 768 bytes/workgroup (compile time only)
; SGPRBlocks: 0
; VGPRBlocks: 3
; NumSGPRsForWavesPerEU: 25
; NumVGPRsForWavesPerEU: 64
; NamedBarCnt: 0
; Occupancy: 16
; WaveLimiterHint : 0
; COMPUTE_PGM_RSRC2:SCRATCH_EN: 0
; COMPUTE_PGM_RSRC2:USER_SGPR: 2
; COMPUTE_PGM_RSRC2:TRAP_HANDLER: 0
; COMPUTE_PGM_RSRC2:TGID_X_EN: 1
; COMPUTE_PGM_RSRC2:TGID_Y_EN: 1
; COMPUTE_PGM_RSRC2:TGID_Z_EN: 1
; COMPUTE_PGM_RSRC2:TIDIG_COMP_CNT: 0
	.section	.text._ZN4vllm4gptq33gemm_half_q_half_gptq_3bit_kernelILb1ELi3EEEvPK6__halfPKjS6_S4_PS2_iiiibPKi,"axG",@progbits,_ZN4vllm4gptq33gemm_half_q_half_gptq_3bit_kernelILb1ELi3EEEvPK6__halfPKjS6_S4_PS2_iiiibPKi,comdat
	.protected	_ZN4vllm4gptq33gemm_half_q_half_gptq_3bit_kernelILb1ELi3EEEvPK6__halfPKjS6_S4_PS2_iiiibPKi ; -- Begin function _ZN4vllm4gptq33gemm_half_q_half_gptq_3bit_kernelILb1ELi3EEEvPK6__halfPKjS6_S4_PS2_iiiibPKi
	.globl	_ZN4vllm4gptq33gemm_half_q_half_gptq_3bit_kernelILb1ELi3EEEvPK6__halfPKjS6_S4_PS2_iiiibPKi
	.p2align	8
	.type	_ZN4vllm4gptq33gemm_half_q_half_gptq_3bit_kernelILb1ELi3EEEvPK6__halfPKjS6_S4_PS2_iiiibPKi,@function
_ZN4vllm4gptq33gemm_half_q_half_gptq_3bit_kernelILb1ELi3EEEvPK6__halfPKjS6_S4_PS2_iiiibPKi: ; @_ZN4vllm4gptq33gemm_half_q_half_gptq_3bit_kernelILb1ELi3EEEvPK6__halfPKjS6_S4_PS2_iiiibPKi
; %bb.0:
	s_clause 0x1
	s_load_b128 s[4:7], s[0:1], 0x2c
	s_load_b64 s[12:13], s[0:1], 0x10
	s_bfe_u32 s2, ttmp6, 0x40014
	s_lshr_b32 s3, ttmp7, 16
	s_add_co_i32 s2, s2, 1
	s_bfe_u32 s9, ttmp6, 0x40010
	s_mul_i32 s2, s3, s2
	s_bfe_u32 s8, ttmp6, 0x40008
	s_and_b32 s10, ttmp7, 0xffff
	s_add_co_i32 s9, s9, 1
	s_add_co_i32 s8, s8, s2
	s_mul_i32 s2, s10, s9
	s_bfe_u32 s9, ttmp6, 0x40004
	s_getreg_b32 s19, hwreg(HW_REG_IB_STS2, 6, 4)
	s_add_co_i32 s9, s9, s2
	s_cmp_eq_u32 s19, 0
	s_cselect_b32 s2, s3, s8
	s_cselect_b32 s16, s10, s9
	s_lshl_b32 s17, s2, 7
	s_wait_kmcnt 0x0
	v_cvt_f64_i32_e32 v[4:5], s5
	s_add_co_i32 s2, s17, 0x80
	s_mul_i32 s16, s16, 3
	v_cvt_f64_u32_e32 v[2:3], s2
	s_mov_b32 s10, exec_lo
	s_delay_alu instid0(VALU_DEP_1) | instskip(NEXT) | instid1(VALU_DEP_1)
	v_min_num_f64_e32 v[2:3], v[2:3], v[4:5]
	v_cvt_i32_f64_e32 v1, v[2:3]
	v_add_nc_u32_e32 v2, s17, v0
	s_delay_alu instid0(VALU_DEP_2) | instskip(NEXT) | instid1(VALU_DEP_2)
	v_readfirstlane_b32 s18, v1
	v_cmpx_lt_u32_e64 v2, v1
	s_cbranch_execz .LBB24_8
; %bb.1:
	s_clause 0x1
	s_load_b64 s[8:9], s[0:1], 0x40
	s_load_b64 s[2:3], s[0:1], 0x0
	v_mov_b32_e32 v3, 0
	s_delay_alu instid0(VALU_DEP_1)
	v_mov_b64_e32 v[6:7], v[2:3]
	s_wait_kmcnt 0x0
	v_lshl_add_u64 v[4:5], v[2:3], 2, s[8:9]
	s_cmp_lg_u64 s[8:9], 0
	s_cselect_b32 s11, -1, 0
	s_cmp_eq_u64 s[8:9], 0
	s_cbranch_scc1 .LBB24_3
; %bb.2:
	global_load_b32 v6, v[4:5], off
	s_wait_loadcnt 0x0
	v_ashrrev_i32_e32 v7, 31, v6
.LBB24_3:
	s_mul_i32 s8, s16, s5
	v_cndmask_b32_e64 v8, 0, 1, s11
	s_ashr_i32 s9, s8, 31
	v_lshlrev_b32_e32 v1, 1, v0
	s_lshl_b64 s[14:15], s[8:9], 1
	s_and_not1_b32 vcc_lo, exec_lo, s11
	s_add_nc_u64 s[14:15], s[2:3], s[14:15]
	s_delay_alu instid0(SALU_CYCLE_1)
	v_lshl_add_u64 v[6:7], v[6:7], 1, s[14:15]
	global_load_u16 v9, v[6:7], off
	s_wait_xcnt 0x0
	v_mov_b64_e32 v[6:7], v[2:3]
	s_wait_loadcnt 0x0
	ds_store_b16 v1, v9
	s_cbranch_vccnz .LBB24_5
; %bb.4:
	global_load_b32 v6, v[4:5], off
	s_wait_loadcnt 0x0
	v_ashrrev_i32_e32 v7, 31, v6
.LBB24_5:
	s_add_co_i32 s8, s8, s5
	v_cmp_ne_u32_e32 vcc_lo, 1, v8
	s_ashr_i32 s9, s8, 31
	s_delay_alu instid0(SALU_CYCLE_1) | instskip(SKIP_2) | instid1(SALU_CYCLE_1)
	s_lshl_b64 s[14:15], s[8:9], 1
	s_and_b32 vcc_lo, exec_lo, vcc_lo
	s_add_nc_u64 s[14:15], s[2:3], s[14:15]
	v_lshl_add_u64 v[6:7], v[6:7], 1, s[14:15]
	global_load_u16 v6, v[6:7], off
	s_wait_loadcnt 0x0
	ds_store_b16 v1, v6 offset:256
	s_cbranch_vccnz .LBB24_7
; %bb.6:
	global_load_b32 v2, v[4:5], off
	s_wait_loadcnt 0x0
	v_ashrrev_i32_e32 v3, 31, v2
.LBB24_7:
	s_add_co_i32 s8, s8, s5
	s_delay_alu instid0(SALU_CYCLE_1) | instskip(NEXT) | instid1(SALU_CYCLE_1)
	s_ashr_i32 s9, s8, 31
	s_lshl_b64 s[8:9], s[8:9], 1
	s_delay_alu instid0(SALU_CYCLE_1) | instskip(NEXT) | instid1(SALU_CYCLE_1)
	s_add_nc_u64 s[2:3], s[2:3], s[8:9]
	v_lshl_add_u64 v[2:3], v[2:3], 1, s[2:3]
	global_load_u16 v2, v[2:3], off
	s_wait_loadcnt 0x0
	ds_store_b16 v1, v2 offset:512
.LBB24_8:
	s_or_b32 exec_lo, exec_lo, s10
	s_clause 0x1
	s_load_b64 s[14:15], s[0:1], 0x8
	s_load_b128 s[8:11], s[0:1], 0x18
	s_wait_xcnt 0x0
	s_bfe_u32 s0, ttmp6, 0x4000c
	s_and_b32 s1, ttmp6, 15
	s_add_co_i32 s0, s0, 1
	v_lshlrev_b32_e32 v0, 2, v0
	s_mul_i32 s0, ttmp9, s0
	s_delay_alu instid0(SALU_CYCLE_1) | instskip(SKIP_2) | instid1(SALU_CYCLE_1)
	s_add_co_i32 s1, s1, s0
	s_cmp_eq_u32 s19, 0
	s_cselect_b32 s0, ttmp9, s1
	v_lshl_add_u32 v12, s0, 9, v0
	s_mov_b32 s0, exec_lo
	s_delay_alu instid0(VALU_DEP_1)
	v_cmpx_gt_i32_e64 s4, v12
	s_cbranch_execz .LBB24_58
; %bb.9:
	s_abs_i32 s0, s6
	s_abs_i32 s3, s5
	s_cvt_f32_u32 s1, s0
	s_sub_co_i32 s2, 0, s0
	v_and_b32_e32 v2, 28, v0
	s_wait_dscnt 0x0
	v_rcp_iflag_f32_e32 v1, s1
	s_barrier_signal -1
	s_barrier_wait -1
	v_cmp_lt_u32_e32 vcc_lo, 4, v2
                                        ; implicit-def: $vgpr0
	s_delay_alu instid0(TRANS32_DEP_1) | instskip(SKIP_1) | instid1(SALU_CYCLE_3)
	v_readfirstlane_b32 s1, v1
	s_mul_f32 s1, s1, 0x4f7ffffe
	s_cvt_u32_f32 s1, s1
	s_delay_alu instid0(SALU_CYCLE_3) | instskip(NEXT) | instid1(SALU_CYCLE_1)
	s_mul_i32 s2, s2, s1
	s_mul_hi_u32 s2, s1, s2
	s_delay_alu instid0(SALU_CYCLE_1) | instskip(SKIP_4) | instid1(SALU_CYCLE_1)
	s_add_co_i32 s1, s1, s2
	s_xor_b32 s2, s5, s6
	s_mul_hi_u32 s1, s3, s1
	s_ashr_i32 s2, s2, 31
	s_mul_i32 s5, s1, s0
	s_sub_co_i32 s3, s3, s5
	s_add_co_i32 s5, s1, 1
	s_sub_co_i32 s6, s3, s0
	s_cmp_ge_u32 s3, s0
	s_cselect_b32 s1, s5, s1
	s_cselect_b32 s3, s6, s3
	s_add_co_i32 s5, s1, 1
	s_cmp_ge_u32 s3, s0
	s_cselect_b32 s0, s5, s1
	s_delay_alu instid0(SALU_CYCLE_1) | instskip(NEXT) | instid1(SALU_CYCLE_1)
	s_xor_b32 s0, s0, s2
	s_sub_co_i32 s3, s0, s2
	s_delay_alu instid0(SALU_CYCLE_1) | instskip(SKIP_1) | instid1(SALU_CYCLE_2)
	s_cvt_f32_u32 s0, s3
	s_sub_co_i32 s1, 0, s3
	v_rcp_iflag_f32_e32 v1, s0
	v_nop
	s_delay_alu instid0(TRANS32_DEP_1) | instskip(SKIP_1) | instid1(SALU_CYCLE_3)
	v_readfirstlane_b32 s0, v1
                                        ; implicit-def: $vgpr1
	s_mul_f32 s0, s0, 0x4f7ffffe
	s_cvt_u32_f32 s0, s0
	s_delay_alu instid0(SALU_CYCLE_3) | instskip(NEXT) | instid1(SALU_CYCLE_1)
	s_mul_i32 s1, s1, s0
	s_mul_hi_u32 s1, s0, s1
	s_delay_alu instid0(SALU_CYCLE_1) | instskip(NEXT) | instid1(SALU_CYCLE_1)
	s_add_co_i32 s0, s0, s1
	s_mul_hi_u32 s0, s17, s0
	s_delay_alu instid0(SALU_CYCLE_1) | instskip(SKIP_2) | instid1(SALU_CYCLE_1)
	s_mul_i32 s1, s0, s3
	s_add_co_i32 s2, s0, 1
	s_sub_co_i32 s1, s17, s1
	s_sub_co_i32 s5, s1, s3
	s_cmp_ge_u32 s1, s3
	s_cselect_b32 s0, s2, s0
	s_cselect_b32 s1, s5, s1
	s_add_co_i32 s2, s0, 1
	s_cmp_ge_u32 s1, s3
	s_cselect_b32 s19, s2, s0
	s_and_saveexec_b32 s0, vcc_lo
	s_delay_alu instid0(SALU_CYCLE_1)
	s_xor_b32 s1, exec_lo, s0
	s_cbranch_execz .LBB24_23
; %bb.10:
	s_mov_b32 s2, exec_lo
                                        ; implicit-def: $vgpr1
                                        ; implicit-def: $vgpr0
	v_cmpx_ne_u32_e32 8, v2
	s_xor_b32 s2, exec_lo, s2
	s_cbranch_execz .LBB24_20
; %bb.11:
	s_mov_b32 s5, exec_lo
                                        ; implicit-def: $vgpr1
                                        ; implicit-def: $vgpr0
	v_cmpx_lt_u32_e32 16, v2
	s_xor_b32 s5, exec_lo, s5
	s_cbranch_execz .LBB24_17
; %bb.12:
	v_lshl_add_u32 v0, v12, 1, v12
	s_mul_i32 s6, s19, s4
	s_delay_alu instid0(SALU_CYCLE_1) | instskip(NEXT) | instid1(SALU_CYCLE_1)
	s_ashr_i32 s0, s6, 31
	s_lshr_b32 s0, s0, 27
	s_delay_alu instid0(VALU_DEP_1) | instskip(SKIP_1) | instid1(SALU_CYCLE_1)
	v_ashrrev_i32_e32 v1, 31, v0
	s_add_co_i32 s0, s6, s0
	s_ashr_i32 s0, s0, 5
	s_delay_alu instid0(VALU_DEP_1) | instskip(NEXT) | instid1(VALU_DEP_1)
	v_lshrrev_b32_e32 v1, 27, v1
	v_add_nc_u32_e32 v0, v0, v1
                                        ; implicit-def: $vgpr1
	s_delay_alu instid0(VALU_DEP_1) | instskip(NEXT) | instid1(VALU_DEP_1)
	v_ashrrev_i32_e32 v0, 5, v0
	v_mad_u32 v0, s0, 3, v0
	v_cmp_ne_u32_e64 s0, 20, v2
	global_load_b32 v3, v0, s[12:13] scale_offset
	s_wait_xcnt 0x0
	s_and_saveexec_b32 s20, s0
	s_delay_alu instid0(SALU_CYCLE_1)
	s_xor_b32 s0, exec_lo, s20
	s_cbranch_execz .LBB24_14
; %bb.13:
	v_mad_u32_u24 v0, v2, 3, 0xffffffc0
	s_wait_loadcnt 0x0
	s_delay_alu instid0(VALU_DEP_1)
	v_lshrrev_b32_e32 v1, v0, v3
                                        ; implicit-def: $vgpr0
                                        ; implicit-def: $vgpr3
.LBB24_14:
	s_and_not1_saveexec_b32 s0, s0
	s_cbranch_execz .LBB24_16
; %bb.15:
	v_ashrrev_i32_e32 v1, 31, v0
	s_delay_alu instid0(VALU_DEP_1) | instskip(SKIP_3) | instid1(VALU_DEP_1)
	v_lshl_add_u64 v[0:1], v[0:1], 2, s[12:13]
	global_load_b32 v0, v[0:1], off offset:4
	s_wait_loadcnt 0x0
	v_alignbit_b32 v0, v0, v3, 28
	v_and_b32_e32 v1, 0xfff, v0
.LBB24_16:
	s_or_b32 exec_lo, exec_lo, s0
	v_mov_b32_e32 v0, s6
.LBB24_17:
	s_and_not1_saveexec_b32 s0, s5
	s_cbranch_execz .LBB24_19
; %bb.18:
	v_lshl_add_u32 v0, v12, 1, v12
	s_mul_i32 s5, s19, s4
	s_delay_alu instid0(SALU_CYCLE_1) | instskip(NEXT) | instid1(SALU_CYCLE_1)
	s_ashr_i32 s6, s5, 31
	s_lshr_b32 s6, s6, 27
	s_delay_alu instid0(VALU_DEP_1) | instskip(SKIP_1) | instid1(SALU_CYCLE_1)
	v_ashrrev_i32_e32 v1, 31, v0
	s_add_co_i32 s6, s5, s6
	s_ashr_i32 s6, s6, 5
	s_delay_alu instid0(VALU_DEP_1) | instskip(NEXT) | instid1(VALU_DEP_1)
	v_lshrrev_b32_e32 v1, 27, v1
	v_add_nc_u32_e32 v0, v0, v1
	v_mad_u32_u24 v1, v2, 3, 0xffffffe0
	s_delay_alu instid0(VALU_DEP_2) | instskip(NEXT) | instid1(VALU_DEP_1)
	v_ashrrev_i32_e32 v0, 5, v0
	v_mad_u32 v0, s6, 3, v0
	global_load_b32 v0, v0, s[12:13] scale_offset
	s_wait_loadcnt 0x0
	v_dual_mov_b32 v0, s5 :: v_dual_lshrrev_b32 v1, v1, v0
.LBB24_19:
	s_or_b32 exec_lo, exec_lo, s0
.LBB24_20:
	s_and_not1_saveexec_b32 s0, s2
	s_cbranch_execz .LBB24_22
; %bb.21:
	v_lshl_add_u32 v0, v12, 1, v12
	s_mul_i32 s2, s19, s4
	s_delay_alu instid0(SALU_CYCLE_1) | instskip(NEXT) | instid1(SALU_CYCLE_1)
	s_ashr_i32 s5, s2, 31
	s_lshr_b32 s5, s5, 27
	s_delay_alu instid0(VALU_DEP_1) | instskip(SKIP_1) | instid1(SALU_CYCLE_1)
	v_ashrrev_i32_e32 v1, 31, v0
	s_add_co_i32 s5, s2, s5
	s_ashr_i32 s5, s5, 5
	s_delay_alu instid0(VALU_DEP_1) | instskip(NEXT) | instid1(VALU_DEP_1)
	v_lshrrev_b32_e32 v1, 27, v1
	v_add_nc_u32_e32 v0, v0, v1
	s_delay_alu instid0(VALU_DEP_1) | instskip(NEXT) | instid1(VALU_DEP_1)
	v_ashrrev_i32_e32 v0, 5, v0
	v_mad_u32 v0, s5, 3, v0
	s_delay_alu instid0(VALU_DEP_1) | instskip(NEXT) | instid1(VALU_DEP_1)
	v_ashrrev_i32_e32 v1, 31, v0
	v_lshl_add_u64 v[0:1], v[0:1], 2, s[12:13]
	global_load_b64 v[0:1], v[0:1], off
	s_wait_loadcnt 0x0
	v_perm_b32 v0, v0, v1, 0x2010007
	s_delay_alu instid0(VALU_DEP_1)
	v_and_b32_e32 v1, 0xfff, v0
	v_mov_b32_e32 v0, s2
.LBB24_22:
	s_or_b32 exec_lo, exec_lo, s0
.LBB24_23:
	s_or_saveexec_b32 s0, s1
	s_wait_loadcnt 0x0
	v_lshl_add_u32 v3, v12, 1, v12
	v_mul_u32_u24_e32 v32, 3, v2
	s_delay_alu instid0(VALU_DEP_2)
	v_ashrrev_i32_e32 v4, 31, v3
	s_xor_b32 exec_lo, exec_lo, s0
	s_cbranch_execz .LBB24_25
; %bb.24:
	s_delay_alu instid0(VALU_DEP_1) | instskip(SKIP_1) | instid1(SALU_CYCLE_1)
	v_lshrrev_b32_e32 v0, 27, v4
	s_mul_i32 s1, s19, s4
	s_ashr_i32 s2, s1, 31
	s_delay_alu instid0(SALU_CYCLE_1) | instskip(NEXT) | instid1(VALU_DEP_1)
	s_lshr_b32 s2, s2, 27
	v_add_nc_u32_e32 v0, v3, v0
	s_add_co_i32 s2, s1, s2
	s_delay_alu instid0(SALU_CYCLE_1) | instskip(NEXT) | instid1(VALU_DEP_1)
	s_ashr_i32 s2, s2, 5
	v_ashrrev_i32_e32 v0, 5, v0
	s_delay_alu instid0(VALU_DEP_1)
	v_mad_u32 v0, s2, 3, v0
	global_load_b32 v0, v0, s[12:13] scale_offset
	s_wait_loadcnt 0x0
	v_dual_mov_b32 v0, s1 :: v_dual_lshrrev_b32 v1, v32, v0
.LBB24_25:
	s_or_b32 exec_lo, exec_lo, s0
	v_dual_mov_b32 v35, 0 :: v_dual_mov_b32 v34, 0
	v_dual_mov_b32 v33, 0 :: v_dual_mov_b32 v31, 0
	;; [unrolled: 1-line block ×3, first 2 shown]
	s_cmp_ge_i32 s17, s18
	s_mov_b32 s20, 0
	s_cbranch_scc1 .LBB24_46
; %bb.26:
	v_dual_add_nc_u32 v6, v0, v12 :: v_dual_ashrrev_i32 v13, 31, v12
	s_lshr_b32 s0, s17, 5
	s_add_co_i32 s21, s3, s17
	s_mul_i32 s0, s0, s4
	s_delay_alu instid0(VALU_DEP_1)
	v_dual_ashrrev_i32 v7, 31, v6 :: v_dual_lshrrev_b32 v0, 27, v4
	s_mul_i32 s22, s0, 3
	v_bfe_u32 v40, v1, 9, 3
	s_ashr_i32 s23, s22, 31
	s_wait_kmcnt 0x0
	v_lshl_add_u64 v[6:7], v[6:7], 1, s[8:9]
	s_bitcmp1_b32 s7, 0
	v_dual_add_nc_u32 v0, v3, v0 :: v_dual_bitop2_b32 v43, 7, v1 bitop3:0x40
	s_cselect_b32 s0, -1, 0
	global_load_b64 v[16:17], v[6:7], off
	s_lshl_b64 s[6:7], s[22:23], 2
	s_xor_b32 s0, s0, -1
	s_add_nc_u64 s[6:7], s[14:15], s[6:7]
	v_cndmask_b32_e64 v36, 0, 1, s0
	v_bfe_u32 v41, v1, 6, 3
	v_bfe_u32 v42, v1, 3, 3
	v_cmp_ne_u32_e64 s0, 8, v2
	v_cmp_lt_u32_e64 s1, 16, v2
	v_cmp_ne_u32_e64 s2, 20, v2
	v_ashrrev_i32_e32 v37, 5, v0
	v_mad_u32_u24 v38, v2, 3, 0xffffffc0
	v_mad_u32_u24 v39, v2, 3, 0xffffffe0
	v_lshl_add_u64 v[14:15], v[12:13], 2, s[6:7]
	v_dual_mov_b32 v13, 0 :: v_dual_mov_b32 v30, 0
	v_dual_mov_b32 v31, 0 :: v_dual_mov_b32 v33, 0
	;; [unrolled: 1-line block ×3, first 2 shown]
	s_ashr_i32 s5, s4, 31
	s_mov_b32 s22, 0x70007
	s_mul_u64 s[6:7], s[4:5], 12
	s_lshl_b64 s[14:15], s[4:5], 2
	s_mov_b32 s5, 0x10001
	s_mov_b32 s23, 0x380038
	s_mov_b32 s24, 0x1c001c0
	s_branch .LBB24_29
.LBB24_27:                              ;   in Loop: Header=BB24_29 Depth=1
	s_or_b32 exec_lo, exec_lo, s26
	s_delay_alu instid0(VALU_DEP_1) | instskip(SKIP_3) | instid1(VALU_DEP_4)
	v_dual_add_nc_u32 v0, s25, v12 :: v_dual_bitop2_b32 v43, 7, v2 bitop3:0x40
	v_bfe_u32 v42, v2, 3, 3
	v_bfe_u32 v41, v2, 6, 3
	;; [unrolled: 1-line block ×3, first 2 shown]
	v_ashrrev_i32_e32 v1, 31, v0
	s_add_co_i32 s21, s21, s3
	s_delay_alu instid0(VALU_DEP_1)
	v_lshl_add_u64 v[0:1], v[0:1], 1, s[8:9]
	s_wait_loadcnt 0x1
	global_load_b64 v[16:17], v[0:1], off
.LBB24_28:                              ;   in Loop: Header=BB24_29 Depth=1
	global_load_b128 v[8:11], v[14:15], off
	s_wait_xcnt 0x1
	v_add_nc_u64_e32 v[0:1], s[14:15], v[14:15]
	v_dual_add_nc_u32 v18, v43, v36 :: v_dual_add_nc_u32 v19, v42, v36
	v_dual_add_nc_u32 v20, v41, v36 :: v_dual_add_nc_u32 v21, v40, v36
	s_add_co_i32 s17, s17, 32
	s_delay_alu instid0(VALU_DEP_2)
	v_cvt_f32_u32_e32 v22, v18
	global_load_b128 v[4:7], v[0:1], off
	s_wait_xcnt 0x0
	v_add_nc_u64_e32 v[0:1], s[14:15], v[0:1]
	v_mad_u32_u24 v26, v18, s5, 0xe400e400
	v_cvt_f32_u32_e32 v18, v19
	v_mad_u32_u24 v29, v19, s5, 0xe400e400
	v_cvt_f32_u32_e32 v19, v20
	v_cvt_f32_u32_e32 v23, v21
	v_mov_b32_e32 v28, s20
	s_wait_loadcnt 0x3
	global_load_b128 v[0:3], v[0:1], off
	v_cvt_f16_f32_e32 v76, v22
	v_cvt_f16_f32_e32 v74, v18
	;; [unrolled: 1-line block ×4, first 2 shown]
	v_mad_u32_u24 v44, v20, s5, 0xe400e400
	v_mad_u32_u24 v45, v21, s5, 0xe400e400
	v_sub_f16_e32 v20, 0xd800, v76
	v_sub_f16_e32 v21, 0xd800, v74
	;; [unrolled: 1-line block ×5, first 2 shown]
	v_and_b32_e32 v20, 0xffff, v20
	v_and_b32_e32 v21, 0xffff, v21
	;; [unrolled: 1-line block ×5, first 2 shown]
	v_mul_u32_u24_e32 v56, 0x10001, v20
	v_mul_u32_u24_e32 v25, 0x10001, v21
	;; [unrolled: 1-line block ×5, first 2 shown]
	v_add_nc_u64_e32 v[14:15], s[6:7], v[14:15]
	s_add_co_i32 s20, s20, 64
	s_cmp_ge_i32 s17, s18
	s_wait_loadcnt 0x2
	v_lshrrev_b32_e32 v82, 6, v8
	ds_load_2addr_b32 v[18:19], v28 offset1:1
	ds_load_2addr_b32 v[86:87], v28 offset0:64 offset1:65
	v_and_or_b32 v20, v8, s22, 0x64006400
	v_and_or_b32 v21, v8, s23, 0x64006400
	v_dual_lshrrev_b32 v22, 15, v8 :: v_dual_lshrrev_b32 v79, 6, v9
	v_and_or_b32 v8, v9, s22, 0x64006400
	v_and_or_b32 v23, v9, s23, 0x64006400
	v_dual_lshrrev_b32 v63, 15, v9 :: v_dual_lshrrev_b32 v81, 6, v10
	;; [unrolled: 3-line block ×3, first 2 shown]
	v_and_or_b32 v10, v11, s22, 0x64006400
	s_delay_alu instid0(VALU_DEP_4)
	v_pk_add_f16 v91, v44, v9
	v_and_or_b32 v47, v11, s23, 0x64006400
	v_pk_add_f16 v85, v26, v20
	v_pk_add_f16 v89, v29, v8
	v_pk_fma_f16 v92, 0x3000, v46, v24 op_sel_hi:[0,1,1]
	v_pk_add_f16 v93, v45, v10
	s_wait_loadcnt 0x0
	v_dual_lshrrev_b32 v70, 14, v7 :: v_dual_lshrrev_b32 v53, 6, v0
	v_and_or_b32 v51, v0, s22, 0x64006400
	v_and_or_b32 v67, v0, s23, 0x64006400
	v_dual_lshrrev_b32 v69, 13, v0 :: v_dual_lshrrev_b32 v52, 6, v1
	s_wait_dscnt 0x1
	v_pk_fma_f16 v0, v91, v18, 0
	v_dual_lshrrev_b32 v60, 15, v11 :: v_dual_lshrrev_b32 v66, 6, v4
	v_pk_fma_f16 v88, 0x3000, v21, v56 op_sel_hi:[0,1,1]
	v_pk_fma_f16 v90, 0x3000, v23, v25 op_sel_hi:[0,1,1]
	;; [unrolled: 1-line block ×3, first 2 shown]
	v_and_or_b32 v8, v4, s22, 0x64006400
	v_and_or_b32 v11, v4, s23, 0x64006400
	v_dual_lshrrev_b32 v20, 14, v4 :: v_dual_lshrrev_b32 v65, 6, v5
	v_and_or_b32 v9, v5, s22, 0x64006400
	v_and_or_b32 v21, v5, s23, 0x64006400
	v_dual_lshrrev_b32 v23, 14, v5 :: v_dual_lshrrev_b32 v64, 6, v6
	v_pk_fma_f16 v4, v85, v18, 0
	v_pk_fma_f16 v5, v89, v18, 0
	v_and_or_b32 v48, v1, s22, 0x64006400
	v_and_or_b32 v61, v1, s23, 0x64006400
	v_dual_lshrrev_b32 v68, 13, v1 :: v_dual_lshrrev_b32 v49, 6, v2
	v_pk_fma_f16 v1, v93, v18, 0
	v_pk_fma_f16 v84, v92, v19, v0
	s_wait_dscnt 0x0
	v_pk_fma_f16 v0, v89, v86, 0
	v_and_or_b32 v46, v2, s22, 0x64006400
	v_and_or_b32 v57, v2, s23, 0x64006400
	v_dual_lshrrev_b32 v59, 13, v2 :: v_dual_lshrrev_b32 v50, 6, v3
	v_and_or_b32 v47, v3, s22, 0x64006400
	v_and_or_b32 v55, v3, s23, 0x64006400
	v_lshrrev_b32_e32 v58, 13, v3
	v_pk_fma_f16 v2, v85, v86, 0
	v_pk_fma_f16 v18, v88, v19, v4
	;; [unrolled: 1-line block ×8, first 2 shown]
	v_and_or_b32 v77, v6, s22, 0x64006400
	v_pk_fma_f16 v4, v92, v87, v1
	v_and_or_b32 v72, v6, s23, 0x64006400
	v_pk_fma_f16 v5, v94, v87, v0
	ds_load_2addr_b32 v[86:87], v28 offset0:128 offset1:129
	v_dual_lshrrev_b32 v71, 14, v6 :: v_dual_lshrrev_b32 v54, 6, v7
	v_and_or_b32 v78, v7, s22, 0x64006400
	v_and_or_b32 v10, v7, s23, 0x64006400
	v_pk_fma_f16 v11, 0x3000, v11, v56 op_sel_hi:[0,1,1]
	v_pk_fma_f16 v21, 0x3000, v21, v25 op_sel_hi:[0,1,1]
	;; [unrolled: 1-line block ×3, first 2 shown]
	v_pk_add_f16 v78, v45, v78
	v_and_b32_e32 v70, 0x20002, v70
	v_and_b32_e32 v69, 0x40004, v69
	;; [unrolled: 1-line block ×3, first 2 shown]
	v_pk_fma_f16 v67, 0x3000, v67, v56 op_sel_hi:[0,1,1]
	v_and_b32_e32 v68, 0x40004, v68
	v_and_or_b32 v70, 0x10001, v60, v70
	v_and_or_b32 v60, v53, s23, 0x64006400
	;; [unrolled: 1-line block ×4, first 2 shown]
	v_pk_fma_f16 v61, 0x3000, v61, v25 op_sel_hi:[0,1,1]
	v_and_b32_e32 v59, 0x40004, v59
	s_wait_dscnt 0x0
	v_pk_fma_f16 v0, v85, v86, 0
	v_pk_fma_f16 v85, v93, v86, 0
	;; [unrolled: 1-line block ×3, first 2 shown]
	v_and_or_b32 v91, v81, s22, 0x64006400
	v_pk_fma_f16 v71, 0x3000, v71, v25 op_sel_hi:[0,1,1]
	v_pk_fma_f16 v1, v88, v87, v0
	v_pk_fma_f16 v0, v89, v86, 0
	;; [unrolled: 1-line block ×3, first 2 shown]
	ds_load_2addr_b32 v[94:95], v28 offset0:2 offset1:3
	v_pk_fma_f16 v7, v92, v87, v7
	v_and_or_b32 v89, v79, s23, 0x64006400
	v_pk_fma_f16 v6, v90, v87, v0
	v_and_or_b32 v0, v82, s22, 0x64006400
	v_and_or_b32 v87, v79, s22, 0x64006400
	;; [unrolled: 1-line block ×3, first 2 shown]
	v_pk_add_f16 v91, v44, v91
	v_and_b32_e32 v58, 0x40004, v58
	v_pk_add_f16 v88, v26, v0
	v_and_or_b32 v0, v81, s23, 0x64006400
	v_pk_add_f16 v90, v29, v87
	v_pk_fma_f16 v87, 0x3000, v89, v25 op_sel_hi:[0,1,1]
	v_pk_fma_f16 v86, 0x3000, v86, v56 op_sel_hi:[0,1,1]
	v_or3_b32 v59, v62, v59, 0x64006400
	v_pk_fma_f16 v89, 0x3000, v0, v24 op_sel_hi:[0,1,1]
	v_and_or_b32 v0, v80, s22, 0x64006400
	v_and_or_b32 v62, v49, s24, 0x64006400
	v_pk_fma_f16 v57, 0x3000, v57, v24 op_sel_hi:[0,1,1]
	v_or3_b32 v58, v70, v58, 0x64006400
	s_wait_dscnt 0x0
	v_pk_fma_f16 v18, v88, v94, v18
	v_pk_add_f16 v92, v45, v0
	v_and_or_b32 v0, v80, s23, 0x64006400
	v_pk_fma_f16 v83, v90, v94, v83
	v_pk_fma_f16 v84, v91, v94, v84
	;; [unrolled: 1-line block ×4, first 2 shown]
	v_pk_fma_f16 v0, 0x3000, v0, v27 op_sel_hi:[0,1,1]
	v_pk_fma_f16 v83, v87, v95, v83
	v_pk_fma_f16 v84, v89, v95, v84
	v_and_or_b32 v80, v80, s24, 0x64006400
	v_pk_fma_f16 v55, 0x3000, v55, v27 op_sel_hi:[0,1,1]
	v_pk_fma_f16 v94, v0, v95, v19
	ds_load_2addr_b32 v[18:19], v28 offset0:66 offset1:67
	v_pk_add_f16 v46, v44, v46
	v_pk_fma_f16 v80, 0x2400, v80, v73 op_sel_hi:[0,1,1]
	v_pk_add_f16 v47, v45, v47
	v_pk_add_f16 v51, v26, v51
	;; [unrolled: 1-line block ×3, first 2 shown]
	s_wait_dscnt 0x0
	v_pk_fma_f16 v2, v88, v18, v2
	v_pk_fma_f16 v3, v90, v18, v3
	;; [unrolled: 1-line block ×4, first 2 shown]
	s_delay_alu instid0(VALU_DEP_4) | instskip(NEXT) | instid1(VALU_DEP_4)
	v_pk_fma_f16 v95, v86, v19, v2
	v_pk_fma_f16 v96, v87, v19, v3
	ds_load_2addr_b32 v[2:3], v28 offset0:130 offset1:131
	v_pk_fma_f16 v97, v89, v19, v4
	v_pk_fma_f16 v98, v0, v19, v5
	ds_load_2addr_b32 v[18:19], v28 offset0:4 offset1:5
	s_wait_dscnt 0x1
	v_pk_fma_f16 v4, v90, v2, v6
	v_pk_fma_f16 v1, v88, v2, v1
	;; [unrolled: 1-line block ×4, first 2 shown]
	v_pk_add_f16 v90, v44, v77
	v_pk_fma_f16 v7, v87, v3, v4
	v_sub_f16_e32 v4, 0xcc00, v76
	v_pk_fma_f16 v6, v86, v3, v1
	v_pk_fma_f16 v85, v89, v3, v5
	;; [unrolled: 1-line block ×3, first 2 shown]
	ds_load_2addr_b32 v[0:1], v28 offset0:68 offset1:69
	v_and_b32_e32 v3, 0xffff, v4
	ds_load_2addr_b32 v[4:5], v28 offset0:132 offset1:133
	v_pk_add_f16 v89, v29, v9
	v_mul_u32_u24_e32 v76, 0x10001, v3
	v_and_or_b32 v3, v82, s24, 0x64006400
	s_delay_alu instid0(VALU_DEP_1) | instskip(SKIP_1) | instid1(VALU_DEP_1)
	v_pk_fma_f16 v3, 0x2400, v3, v76 op_sel_hi:[0,1,1]
	s_wait_dscnt 0x2
	v_pk_fma_f16 v82, v3, v18, v93
	s_wait_dscnt 0x1
	v_pk_fma_f16 v86, v3, v0, v95
	;; [unrolled: 2-line block ×3, first 2 shown]
	v_sub_f16_e32 v6, 0xcc00, v74
	v_sub_f16_e32 v74, 0xcc00, v75
	s_delay_alu instid0(VALU_DEP_2) | instskip(NEXT) | instid1(VALU_DEP_2)
	v_and_b32_e32 v6, 0xffff, v6
	v_and_b32_e32 v74, 0xffff, v74
	s_delay_alu instid0(VALU_DEP_2) | instskip(NEXT) | instid1(VALU_DEP_2)
	v_mul_u32_u24_e32 v75, 0x10001, v6
	v_mul_u32_u24_e32 v74, 0x10001, v74
	v_and_or_b32 v6, v79, s24, 0x64006400
	v_and_or_b32 v79, v81, s24, 0x64006400
	s_delay_alu instid0(VALU_DEP_3) | instskip(NEXT) | instid1(VALU_DEP_3)
	v_pk_fma_f16 v62, 0x2400, v62, v74 op_sel_hi:[0,1,1]
	v_pk_fma_f16 v6, 0x2400, v6, v75 op_sel_hi:[0,1,1]
	s_delay_alu instid0(VALU_DEP_3) | instskip(NEXT) | instid1(VALU_DEP_2)
	v_pk_fma_f16 v79, 0x2400, v79, v74 op_sel_hi:[0,1,1]
	v_pk_fma_f16 v81, v6, v18, v83
	s_delay_alu instid0(VALU_DEP_2)
	v_pk_fma_f16 v83, v79, v18, v84
	v_pk_fma_f16 v87, v79, v0, v97
	;; [unrolled: 1-line block ×3, first 2 shown]
	v_pk_add_f16 v85, v26, v8
	v_pk_fma_f16 v8, v80, v18, v94
	v_pk_fma_f16 v84, v6, v0, v96
	;; [unrolled: 1-line block ×3, first 2 shown]
	ds_load_2addr_b32 v[6:7], v28 offset0:6 offset1:7
	v_pk_fma_f16 v82, v85, v19, v82
	v_pk_fma_f16 v81, v89, v19, v81
	;; [unrolled: 1-line block ×4, first 2 shown]
	ds_load_2addr_b32 v[8:9], v28 offset0:70 offset1:71
	ds_load_2addr_b32 v[18:19], v28 offset0:134 offset1:135
	v_pk_fma_f16 v0, v80, v0, v98
	v_pk_fma_f16 v84, v89, v1, v84
	;; [unrolled: 1-line block ×7, first 2 shown]
	ds_load_2addr_b32 v[2:3], v28 offset0:8 offset1:9
	ds_load_2addr_b32 v[0:1], v28 offset0:10 offset1:11
	v_pk_fma_f16 v85, v89, v5, v88
	v_pk_fma_f16 v79, v90, v5, v79
	;; [unrolled: 1-line block ×3, first 2 shown]
	ds_load_2addr_b32 v[4:5], v28 offset0:12 offset1:13
	v_and_or_b32 v78, v66, s22, 0x64006400
	s_wait_dscnt 0x5
	v_pk_fma_f16 v82, v11, v6, v82
	v_pk_fma_f16 v83, v72, v6, v83
	v_pk_fma_f16 v90, 0x3000, v10, v27 op_sel_hi:[0,1,1]
	v_pk_add_f16 v92, v26, v78
	s_wait_dscnt 0x3
	v_pk_fma_f16 v89, v11, v18, v80
	v_pk_fma_f16 v80, v21, v6, v81
	;; [unrolled: 1-line block ×3, first 2 shown]
	v_and_or_b32 v84, v64, s22, 0x64006400
	v_pk_fma_f16 v21, v21, v18, v85
	v_pk_fma_f16 v85, v72, v8, v87
	;; [unrolled: 1-line block ×3, first 2 shown]
	v_and_or_b32 v72, v54, s22, 0x64006400
	v_pk_add_f16 v94, v44, v84
	v_pk_fma_f16 v18, v90, v18, v88
	v_and_b32_e32 v88, 0x20002, v23
	v_pk_fma_f16 v86, v11, v8, v86
	v_pk_add_f16 v95, v45, v72
	v_pk_fma_f16 v72, v92, v7, v82
	v_pk_fma_f16 v82, v94, v9, v85
	v_and_b32_e32 v85, 0x20002, v20
	v_and_or_b32 v11, v65, s22, 0x64006400
	v_and_or_b32 v63, 0x10001, v63, v88
	;; [unrolled: 1-line block ×5, first 2 shown]
	v_pk_add_f16 v93, v29, v11
	v_pk_fma_f16 v6, v90, v6, v77
	v_pk_fma_f16 v88, 0x3000, v88, v56 op_sel_hi:[0,1,1]
	v_pk_fma_f16 v56, 0x3000, v60, v56 op_sel_hi:[0,1,1]
	v_or3_b32 v69, v85, v69, 0x64006400
	v_and_or_b32 v85, v53, s24, 0x64006400
	v_pk_fma_f16 v66, 0x2400, v66, v76 op_sel_hi:[0,1,1]
	v_pk_fma_f16 v77, v93, v7, v80
	v_pk_fma_f16 v78, v94, v7, v83
	;; [unrolled: 1-line block ×3, first 2 shown]
	v_pk_fma_f16 v60, 0x2400, v85, v76 op_sel_hi:[0,1,1]
	v_and_or_b32 v76, v52, s23, 0x64006400
	ds_load_2addr_b32 v[6:7], v28 offset0:14 offset1:15
	ds_load_2addr_b32 v[10:11], v28 offset0:72 offset1:73
	v_pk_fma_f16 v80, v92, v9, v86
	v_pk_fma_f16 v84, v92, v19, v89
	;; [unrolled: 1-line block ×5, first 2 shown]
	ds_load_2addr_b32 v[18:19], v28 offset0:78 offset1:79
	ds_load_2addr_b32 v[22:23], v28 offset0:136 offset1:137
	v_and_or_b32 v65, v65, s24, 0x64006400
	v_pk_fma_f16 v76, 0x3000, v76, v25 op_sel_hi:[0,1,1]
	v_and_or_b32 v25, v52, s24, 0x64006400
	v_pk_fma_f16 v8, v90, v8, v91
	v_and_or_b32 v90, v64, s23, 0x64006400
	v_or3_b32 v63, v63, v68, 0x64006400
	v_and_or_b32 v68, v54, s23, 0x64006400
	v_pk_fma_f16 v65, 0x2400, v65, v75 op_sel_hi:[0,1,1]
	v_pk_fma_f16 v75, 0x2400, v25, v75 op_sel_hi:[0,1,1]
	v_and_or_b32 v25, v49, s23, 0x64006400
	v_and_or_b32 v91, v50, s23, 0x64006400
	v_pk_fma_f16 v81, v93, v9, v81
	v_pk_fma_f16 v83, v95, v9, v8
	ds_load_2addr_b32 v[8:9], v28 offset0:74 offset1:75
	ds_load_2addr_b32 v[20:21], v28 offset0:76 offset1:77
	v_and_or_b32 v64, v64, s24, 0x64006400
	v_pk_fma_f16 v85, 0x3000, v90, v24 op_sel_hi:[0,1,1]
	v_pk_fma_f16 v90, 0x3000, v25, v24 op_sel_hi:[0,1,1]
	ds_load_2addr_b32 v[24:25], v28 offset0:138 offset1:139
	v_and_or_b32 v54, v54, s24, 0x64006400
	v_pk_fma_f16 v68, 0x3000, v68, v27 op_sel_hi:[0,1,1]
	v_pk_fma_f16 v70, 0x3000, v91, v27 op_sel_hi:[0,1,1]
	v_and_or_b32 v27, v50, s24, 0x64006400
	v_and_or_b32 v49, v49, s22, 0x64006400
	;; [unrolled: 1-line block ×3, first 2 shown]
	v_pk_fma_f16 v64, 0x2400, v64, v74 op_sel_hi:[0,1,1]
	v_and_or_b32 v53, v53, s22, 0x64006400
	v_pk_fma_f16 v54, 0x2400, v54, v73 op_sel_hi:[0,1,1]
	v_pk_add_f16 v49, v44, v49
	v_pk_add_f16 v50, v45, v50
	;; [unrolled: 1-line block ×4, first 2 shown]
	s_wait_dscnt 0x9
	v_pk_fma_f16 v58, v88, v2, v72
	v_pk_fma_f16 v59, v71, v2, v77
	;; [unrolled: 1-line block ×4, first 2 shown]
	v_pk_fma_f16 v73, 0x2400, v27, v73 op_sel_hi:[0,1,1]
	v_pk_add_f16 v53, v26, v53
	v_pk_add_f16 v69, v26, v69
	ds_load_2addr_b32 v[26:27], v28 offset0:140 offset1:141
	s_wait_dscnt 0x6
	v_pk_fma_f16 v74, v88, v10, v80
	v_pk_fma_f16 v77, v71, v10, v81
	;; [unrolled: 1-line block ×4, first 2 shown]
	s_wait_dscnt 0x4
	v_pk_fma_f16 v79, v88, v22, v84
	v_pk_fma_f16 v71, v71, v22, v86
	;; [unrolled: 1-line block ×8, first 2 shown]
	v_and_or_b32 v52, v52, s22, 0x64006400
	v_pk_fma_f16 v3, v66, v11, v74
	v_pk_fma_f16 v72, v65, v11, v77
	;; [unrolled: 1-line block ×12, first 2 shown]
	v_pk_add_f16 v52, v29, v52
	s_wait_dscnt 0x3
	v_pk_fma_f16 v2, v51, v8, v3
	v_pk_fma_f16 v3, v48, v8, v72
	;; [unrolled: 1-line block ×4, first 2 shown]
	s_wait_dscnt 0x1
	v_pk_fma_f16 v10, v51, v24, v11
	v_pk_fma_f16 v11, v48, v24, v65
	;; [unrolled: 1-line block ×6, first 2 shown]
	v_pk_add_f16 v63, v29, v63
	ds_load_2addr_b32 v[28:29], v28 offset0:142 offset1:143
	v_pk_fma_f16 v1, v67, v9, v2
	v_pk_fma_f16 v2, v61, v9, v3
	;; [unrolled: 1-line block ×18, first 2 shown]
	s_wait_dscnt 0x1
	v_pk_fma_f16 v10, v53, v26, v10
	v_pk_fma_f16 v5, v60, v6, v8
	;; [unrolled: 1-line block ×17, first 2 shown]
	s_wait_dscnt 0x0
	v_pk_fma_f16 v7, v60, v28, v7
	v_pk_fma_f16 v10, v57, v25, v10
	;; [unrolled: 1-line block ×8, first 2 shown]
	v_pack_b32_f16 v18, v5, v6
	v_perm_b32 v5, v6, v5, 0x7060302
	v_pk_fma_f16 v6, v69, v29, v7
	v_pk_fma_f16 v7, v49, v26, v10
	v_pk_fma_f16 v10, v50, v26, v11
	v_pk_fma_f16 v1, v69, v19, v1
	v_pk_fma_f16 v2, v63, v19, v2
	v_pk_fma_f16 v9, v75, v28, v9
	v_pk_add_f16 v5, v18, v5
	v_pk_fma_f16 v7, v90, v27, v7
	v_pk_fma_f16 v10, v70, v27, v10
	v_pack_b32_f16 v11, v1, v2
	v_perm_b32 v1, v2, v1, 0x7060302
	v_pk_fma_f16 v2, v63, v29, v9
	v_pk_fma_f16 v35, v5, v16, v35
	;; [unrolled: 1-line block ×6, first 2 shown]
	v_pack_b32_f16 v9, v6, v2
	v_perm_b32 v2, v2, v6, 0x7060302
	v_pk_fma_f16 v5, v44, v29, v5
	v_pk_fma_f16 v6, v45, v29, v7
	v_pk_add_f16 v1, v11, v1
	v_pack_b32_f16 v7, v8, v0
	v_perm_b32 v0, v0, v8, 0x7060302
	v_pack_b32_f16 v8, v3, v4
	v_perm_b32 v3, v4, v3, 0x7060302
	;; [unrolled: 2-line block ×3, first 2 shown]
	v_pk_add_f16 v2, v9, v2
	v_pk_add_f16 v0, v7, v0
	;; [unrolled: 1-line block ×3, first 2 shown]
	v_pk_fma_f16 v33, v1, v16, v33
	v_pk_add_f16 v1, v4, v5
	v_pk_fma_f16 v30, v2, v16, v30
	v_pk_fma_f16 v34, v0, v17, v34
	;; [unrolled: 1-line block ×3, first 2 shown]
	s_delay_alu instid0(VALU_DEP_4)
	v_pk_fma_f16 v13, v1, v17, v13
	s_cbranch_scc1 .LBB24_46
.LBB24_29:                              ; =>This Inner Loop Header: Depth=1
	s_cmp_lg_u32 s17, s21
	s_cbranch_scc1 .LBB24_28
; %bb.30:                               ;   in Loop: Header=BB24_29 Depth=1
	s_add_co_i32 s19, s19, 1
                                        ; implicit-def: $vgpr2
	s_delay_alu instid0(SALU_CYCLE_1) | instskip(NEXT) | instid1(SALU_CYCLE_1)
	s_mul_i32 s25, s19, s4
	s_ashr_i32 s26, s25, 31
	s_delay_alu instid0(SALU_CYCLE_1) | instskip(NEXT) | instid1(SALU_CYCLE_1)
	s_lshr_b32 s26, s26, 27
	s_add_co_i32 s26, s25, s26
	s_delay_alu instid0(SALU_CYCLE_1) | instskip(NEXT) | instid1(SALU_CYCLE_1)
	s_ashr_i32 s26, s26, 5
	v_mad_u32 v0, s26, 3, v37
	global_load_b32 v3, v0, s[12:13] scale_offset
	s_wait_xcnt 0x0
	s_and_saveexec_b32 s26, vcc_lo
	s_delay_alu instid0(SALU_CYCLE_1)
	s_xor_b32 s26, exec_lo, s26
	s_cbranch_execz .LBB24_44
; %bb.31:                               ;   in Loop: Header=BB24_29 Depth=1
	v_ashrrev_i32_e32 v1, 31, v0
                                        ; implicit-def: $vgpr2
	s_delay_alu instid0(VALU_DEP_1) | instskip(SKIP_1) | instid1(SALU_CYCLE_1)
	v_lshl_add_u64 v[0:1], v[0:1], 2, s[12:13]
	s_and_saveexec_b32 s27, s0
	s_xor_b32 s27, exec_lo, s27
	s_cbranch_execz .LBB24_41
; %bb.32:                               ;   in Loop: Header=BB24_29 Depth=1
                                        ; implicit-def: $vgpr2
	s_and_saveexec_b32 s28, s1
	s_delay_alu instid0(SALU_CYCLE_1)
	s_xor_b32 s28, exec_lo, s28
	s_cbranch_execz .LBB24_38
; %bb.33:                               ;   in Loop: Header=BB24_29 Depth=1
                                        ; implicit-def: $vgpr2
	s_and_saveexec_b32 s29, s2
	s_delay_alu instid0(SALU_CYCLE_1)
	s_xor_b32 s29, exec_lo, s29
	s_cbranch_execz .LBB24_35
; %bb.34:                               ;   in Loop: Header=BB24_29 Depth=1
	s_wait_loadcnt 0x0
	v_lshrrev_b32_e32 v2, v38, v3
                                        ; implicit-def: $vgpr0_vgpr1
                                        ; implicit-def: $vgpr3
.LBB24_35:                              ;   in Loop: Header=BB24_29 Depth=1
	s_and_not1_saveexec_b32 s29, s29
	s_cbranch_execz .LBB24_37
; %bb.36:                               ;   in Loop: Header=BB24_29 Depth=1
	global_load_b32 v0, v[0:1], off offset:4
	s_wait_loadcnt 0x0
	v_alignbit_b32 v0, v0, v3, 28
	s_delay_alu instid0(VALU_DEP_1)
	v_and_b32_e32 v2, 0xfff, v0
.LBB24_37:                              ;   in Loop: Header=BB24_29 Depth=1
	s_or_b32 exec_lo, exec_lo, s29
                                        ; implicit-def: $vgpr3
.LBB24_38:                              ;   in Loop: Header=BB24_29 Depth=1
	s_and_not1_saveexec_b32 s28, s28
	s_cbranch_execz .LBB24_40
; %bb.39:                               ;   in Loop: Header=BB24_29 Depth=1
	s_wait_loadcnt 0x0
	v_lshrrev_b32_e32 v2, v39, v3
.LBB24_40:                              ;   in Loop: Header=BB24_29 Depth=1
	s_or_b32 exec_lo, exec_lo, s28
                                        ; implicit-def: $vgpr0_vgpr1
                                        ; implicit-def: $vgpr3
.LBB24_41:                              ;   in Loop: Header=BB24_29 Depth=1
	s_and_not1_saveexec_b32 s27, s27
	s_cbranch_execz .LBB24_43
; %bb.42:                               ;   in Loop: Header=BB24_29 Depth=1
	global_load_b32 v0, v[0:1], off offset:4
	s_wait_loadcnt 0x0
	v_perm_b32 v0, v3, v0, 0x2010007
	s_delay_alu instid0(VALU_DEP_1)
	v_and_b32_e32 v2, 0xfff, v0
.LBB24_43:                              ;   in Loop: Header=BB24_29 Depth=1
	s_or_b32 exec_lo, exec_lo, s27
                                        ; implicit-def: $vgpr3
.LBB24_44:                              ;   in Loop: Header=BB24_29 Depth=1
	s_and_not1_saveexec_b32 s26, s26
	s_cbranch_execz .LBB24_27
; %bb.45:                               ;   in Loop: Header=BB24_29 Depth=1
	s_wait_loadcnt 0x0
	v_lshrrev_b32_e32 v2, v32, v3
	s_branch .LBB24_27
.LBB24_46:
	v_mad_u32 v0, s16, s4, v12
	s_mov_b32 s0, 0
	s_delay_alu instid0(VALU_DEP_1) | instskip(SKIP_1) | instid1(VALU_DEP_1)
	v_ashrrev_i32_e32 v1, 31, v0
	s_wait_kmcnt 0x0
	v_lshl_add_u64 v[2:3], v[0:1], 1, s[10:11]
	global_load_b32 v5, v[2:3], off
.LBB24_47:                              ; =>This Inner Loop Header: Depth=1
	s_wait_loadcnt 0x0
	v_pk_add_f16 v4, v35, v5
	global_atomic_cmpswap_b32 v1, v[2:3], v[4:5], off th:TH_ATOMIC_RETURN scope:SCOPE_DEV
	s_wait_loadcnt 0x0
	v_cmp_eq_u32_e32 vcc_lo, v5, v1
	v_mov_b32_e32 v5, v1
	s_or_b32 s0, vcc_lo, s0
	s_delay_alu instid0(SALU_CYCLE_1)
	s_and_not1_b32 exec_lo, exec_lo, s0
	s_cbranch_execnz .LBB24_47
; %bb.48:
	s_or_b32 exec_lo, exec_lo, s0
	global_load_b32 v5, v[2:3], off offset:4
	s_mov_b32 s0, 0
.LBB24_49:                              ; =>This Inner Loop Header: Depth=1
	s_wait_loadcnt 0x0
	v_pk_add_f16 v4, v34, v5
	global_atomic_cmpswap_b32 v1, v[2:3], v[4:5], off offset:4 th:TH_ATOMIC_RETURN scope:SCOPE_DEV
	s_wait_loadcnt 0x0
	v_cmp_eq_u32_e32 vcc_lo, v5, v1
	v_mov_b32_e32 v5, v1
	s_or_b32 s0, vcc_lo, s0
	s_delay_alu instid0(SALU_CYCLE_1)
	s_and_not1_b32 exec_lo, exec_lo, s0
	s_cbranch_execnz .LBB24_49
; %bb.50:
	s_or_b32 exec_lo, exec_lo, s0
	v_add_nc_u32_e32 v0, s4, v0
	s_mov_b32 s0, 0
	s_delay_alu instid0(VALU_DEP_1) | instskip(NEXT) | instid1(VALU_DEP_1)
	v_ashrrev_i32_e32 v1, 31, v0
	v_lshl_add_u64 v[2:3], v[0:1], 1, s[10:11]
	global_load_b32 v5, v[2:3], off
.LBB24_51:                              ; =>This Inner Loop Header: Depth=1
	s_wait_loadcnt 0x0
	v_pk_add_f16 v4, v33, v5
	global_atomic_cmpswap_b32 v1, v[2:3], v[4:5], off th:TH_ATOMIC_RETURN scope:SCOPE_DEV
	s_wait_loadcnt 0x0
	v_cmp_eq_u32_e32 vcc_lo, v5, v1
	v_mov_b32_e32 v5, v1
	s_or_b32 s0, vcc_lo, s0
	s_delay_alu instid0(SALU_CYCLE_1)
	s_and_not1_b32 exec_lo, exec_lo, s0
	s_cbranch_execnz .LBB24_51
; %bb.52:
	s_or_b32 exec_lo, exec_lo, s0
	global_load_b32 v5, v[2:3], off offset:4
	s_mov_b32 s0, 0
.LBB24_53:                              ; =>This Inner Loop Header: Depth=1
	s_wait_loadcnt 0x0
	v_pk_add_f16 v4, v31, v5
	global_atomic_cmpswap_b32 v1, v[2:3], v[4:5], off offset:4 th:TH_ATOMIC_RETURN scope:SCOPE_DEV
	s_wait_loadcnt 0x0
	v_cmp_eq_u32_e32 vcc_lo, v5, v1
	v_mov_b32_e32 v5, v1
	s_or_b32 s0, vcc_lo, s0
	s_delay_alu instid0(SALU_CYCLE_1)
	s_and_not1_b32 exec_lo, exec_lo, s0
	s_cbranch_execnz .LBB24_53
; %bb.54:
	s_or_b32 exec_lo, exec_lo, s0
	v_add_nc_u32_e32 v0, s4, v0
	s_mov_b32 s0, 0
	s_delay_alu instid0(VALU_DEP_1) | instskip(NEXT) | instid1(VALU_DEP_1)
	v_ashrrev_i32_e32 v1, 31, v0
	v_lshl_add_u64 v[0:1], v[0:1], 1, s[10:11]
	global_load_b32 v3, v[0:1], off
.LBB24_55:                              ; =>This Inner Loop Header: Depth=1
	s_wait_loadcnt 0x0
	v_pk_add_f16 v2, v30, v3
	global_atomic_cmpswap_b32 v2, v[0:1], v[2:3], off th:TH_ATOMIC_RETURN scope:SCOPE_DEV
	s_wait_loadcnt 0x0
	v_cmp_eq_u32_e32 vcc_lo, v3, v2
	v_mov_b32_e32 v3, v2
	s_or_b32 s0, vcc_lo, s0
	s_delay_alu instid0(SALU_CYCLE_1)
	s_and_not1_b32 exec_lo, exec_lo, s0
	s_cbranch_execnz .LBB24_55
; %bb.56:
	s_or_b32 exec_lo, exec_lo, s0
	global_load_b32 v3, v[0:1], off offset:4
	s_mov_b32 s0, 0
.LBB24_57:                              ; =>This Inner Loop Header: Depth=1
	s_wait_loadcnt 0x0
	v_pk_add_f16 v2, v13, v3
	global_atomic_cmpswap_b32 v2, v[0:1], v[2:3], off offset:4 th:TH_ATOMIC_RETURN scope:SCOPE_DEV
	s_wait_loadcnt 0x0
	v_cmp_eq_u32_e32 vcc_lo, v3, v2
	v_mov_b32_e32 v3, v2
	s_or_b32 s0, vcc_lo, s0
	s_delay_alu instid0(SALU_CYCLE_1)
	s_and_not1_b32 exec_lo, exec_lo, s0
	s_cbranch_execnz .LBB24_57
.LBB24_58:
	s_endpgm
	.section	.rodata,"a",@progbits
	.p2align	6, 0x0
	.amdhsa_kernel _ZN4vllm4gptq33gemm_half_q_half_gptq_3bit_kernelILb1ELi3EEEvPK6__halfPKjS6_S4_PS2_iiiibPKi
		.amdhsa_group_segment_fixed_size 768
		.amdhsa_private_segment_fixed_size 0
		.amdhsa_kernarg_size 72
		.amdhsa_user_sgpr_count 2
		.amdhsa_user_sgpr_dispatch_ptr 0
		.amdhsa_user_sgpr_queue_ptr 0
		.amdhsa_user_sgpr_kernarg_segment_ptr 1
		.amdhsa_user_sgpr_dispatch_id 0
		.amdhsa_user_sgpr_kernarg_preload_length 0
		.amdhsa_user_sgpr_kernarg_preload_offset 0
		.amdhsa_user_sgpr_private_segment_size 0
		.amdhsa_wavefront_size32 1
		.amdhsa_uses_dynamic_stack 0
		.amdhsa_enable_private_segment 0
		.amdhsa_system_sgpr_workgroup_id_x 1
		.amdhsa_system_sgpr_workgroup_id_y 1
		.amdhsa_system_sgpr_workgroup_id_z 1
		.amdhsa_system_sgpr_workgroup_info 0
		.amdhsa_system_vgpr_workitem_id 0
		.amdhsa_next_free_vgpr 99
		.amdhsa_next_free_sgpr 30
		.amdhsa_named_barrier_count 0
		.amdhsa_reserve_vcc 1
		.amdhsa_float_round_mode_32 0
		.amdhsa_float_round_mode_16_64 0
		.amdhsa_float_denorm_mode_32 3
		.amdhsa_float_denorm_mode_16_64 3
		.amdhsa_fp16_overflow 0
		.amdhsa_memory_ordered 1
		.amdhsa_forward_progress 1
		.amdhsa_inst_pref_size 53
		.amdhsa_round_robin_scheduling 0
		.amdhsa_exception_fp_ieee_invalid_op 0
		.amdhsa_exception_fp_denorm_src 0
		.amdhsa_exception_fp_ieee_div_zero 0
		.amdhsa_exception_fp_ieee_overflow 0
		.amdhsa_exception_fp_ieee_underflow 0
		.amdhsa_exception_fp_ieee_inexact 0
		.amdhsa_exception_int_div_zero 0
	.end_amdhsa_kernel
	.section	.text._ZN4vllm4gptq33gemm_half_q_half_gptq_3bit_kernelILb1ELi3EEEvPK6__halfPKjS6_S4_PS2_iiiibPKi,"axG",@progbits,_ZN4vllm4gptq33gemm_half_q_half_gptq_3bit_kernelILb1ELi3EEEvPK6__halfPKjS6_S4_PS2_iiiibPKi,comdat
.Lfunc_end24:
	.size	_ZN4vllm4gptq33gemm_half_q_half_gptq_3bit_kernelILb1ELi3EEEvPK6__halfPKjS6_S4_PS2_iiiibPKi, .Lfunc_end24-_ZN4vllm4gptq33gemm_half_q_half_gptq_3bit_kernelILb1ELi3EEEvPK6__halfPKjS6_S4_PS2_iiiibPKi
                                        ; -- End function
	.set _ZN4vllm4gptq33gemm_half_q_half_gptq_3bit_kernelILb1ELi3EEEvPK6__halfPKjS6_S4_PS2_iiiibPKi.num_vgpr, 99
	.set _ZN4vllm4gptq33gemm_half_q_half_gptq_3bit_kernelILb1ELi3EEEvPK6__halfPKjS6_S4_PS2_iiiibPKi.num_agpr, 0
	.set _ZN4vllm4gptq33gemm_half_q_half_gptq_3bit_kernelILb1ELi3EEEvPK6__halfPKjS6_S4_PS2_iiiibPKi.numbered_sgpr, 30
	.set _ZN4vllm4gptq33gemm_half_q_half_gptq_3bit_kernelILb1ELi3EEEvPK6__halfPKjS6_S4_PS2_iiiibPKi.num_named_barrier, 0
	.set _ZN4vllm4gptq33gemm_half_q_half_gptq_3bit_kernelILb1ELi3EEEvPK6__halfPKjS6_S4_PS2_iiiibPKi.private_seg_size, 0
	.set _ZN4vllm4gptq33gemm_half_q_half_gptq_3bit_kernelILb1ELi3EEEvPK6__halfPKjS6_S4_PS2_iiiibPKi.uses_vcc, 1
	.set _ZN4vllm4gptq33gemm_half_q_half_gptq_3bit_kernelILb1ELi3EEEvPK6__halfPKjS6_S4_PS2_iiiibPKi.uses_flat_scratch, 0
	.set _ZN4vllm4gptq33gemm_half_q_half_gptq_3bit_kernelILb1ELi3EEEvPK6__halfPKjS6_S4_PS2_iiiibPKi.has_dyn_sized_stack, 0
	.set _ZN4vllm4gptq33gemm_half_q_half_gptq_3bit_kernelILb1ELi3EEEvPK6__halfPKjS6_S4_PS2_iiiibPKi.has_recursion, 0
	.set _ZN4vllm4gptq33gemm_half_q_half_gptq_3bit_kernelILb1ELi3EEEvPK6__halfPKjS6_S4_PS2_iiiibPKi.has_indirect_call, 0
	.section	.AMDGPU.csdata,"",@progbits
; Kernel info:
; codeLenInByte = 6760
; TotalNumSgprs: 32
; NumVgprs: 99
; ScratchSize: 0
; MemoryBound: 0
; FloatMode: 240
; IeeeMode: 1
; LDSByteSize: 768 bytes/workgroup (compile time only)
; SGPRBlocks: 0
; VGPRBlocks: 6
; NumSGPRsForWavesPerEU: 32
; NumVGPRsForWavesPerEU: 99
; NamedBarCnt: 0
; Occupancy: 9
; WaveLimiterHint : 0
; COMPUTE_PGM_RSRC2:SCRATCH_EN: 0
; COMPUTE_PGM_RSRC2:USER_SGPR: 2
; COMPUTE_PGM_RSRC2:TRAP_HANDLER: 0
; COMPUTE_PGM_RSRC2:TGID_X_EN: 1
; COMPUTE_PGM_RSRC2:TGID_Y_EN: 1
; COMPUTE_PGM_RSRC2:TGID_Z_EN: 1
; COMPUTE_PGM_RSRC2:TIDIG_COMP_CNT: 0
	.section	.text._ZN4vllm4gptq33gemm_half_q_half_gptq_4bit_kernelILb1ELi3EEEvPK6__halfPKjS6_S4_PS2_iiiibPKi,"axG",@progbits,_ZN4vllm4gptq33gemm_half_q_half_gptq_4bit_kernelILb1ELi3EEEvPK6__halfPKjS6_S4_PS2_iiiibPKi,comdat
	.protected	_ZN4vllm4gptq33gemm_half_q_half_gptq_4bit_kernelILb1ELi3EEEvPK6__halfPKjS6_S4_PS2_iiiibPKi ; -- Begin function _ZN4vllm4gptq33gemm_half_q_half_gptq_4bit_kernelILb1ELi3EEEvPK6__halfPKjS6_S4_PS2_iiiibPKi
	.globl	_ZN4vllm4gptq33gemm_half_q_half_gptq_4bit_kernelILb1ELi3EEEvPK6__halfPKjS6_S4_PS2_iiiibPKi
	.p2align	8
	.type	_ZN4vllm4gptq33gemm_half_q_half_gptq_4bit_kernelILb1ELi3EEEvPK6__halfPKjS6_S4_PS2_iiiibPKi,@function
_ZN4vllm4gptq33gemm_half_q_half_gptq_4bit_kernelILb1ELi3EEEvPK6__halfPKjS6_S4_PS2_iiiibPKi: ; @_ZN4vllm4gptq33gemm_half_q_half_gptq_4bit_kernelILb1ELi3EEEvPK6__halfPKjS6_S4_PS2_iiiibPKi
; %bb.0:
	s_load_b128 s[4:7], s[0:1], 0x2c
	s_bfe_u32 s2, ttmp6, 0x40014
	s_lshr_b32 s3, ttmp7, 16
	s_add_co_i32 s2, s2, 1
	s_bfe_u32 s9, ttmp6, 0x40010
	s_mul_i32 s2, s3, s2
	s_bfe_u32 s8, ttmp6, 0x40008
	s_and_b32 s10, ttmp7, 0xffff
	s_add_co_i32 s9, s9, 1
	s_add_co_i32 s8, s8, s2
	s_mul_i32 s2, s10, s9
	s_bfe_u32 s9, ttmp6, 0x40004
	s_getreg_b32 s17, hwreg(HW_REG_IB_STS2, 6, 4)
	s_add_co_i32 s9, s9, s2
	s_cmp_eq_u32 s17, 0
	s_mov_b32 s12, exec_lo
	s_cselect_b32 s2, s3, s8
	s_cselect_b32 s14, s10, s9
	s_lshl_b32 s15, s2, 7
	s_mul_i32 s14, s14, 3
	s_add_co_i32 s2, s15, 0x80
	s_delay_alu instid0(SALU_CYCLE_1) | instskip(SKIP_3) | instid1(VALU_DEP_1)
	v_cvt_f64_u32_e32 v[2:3], s2
	s_load_b64 s[2:3], s[0:1], 0x10
	s_wait_kmcnt 0x0
	v_cvt_f64_i32_e32 v[4:5], s5
	v_min_num_f64_e32 v[2:3], v[2:3], v[4:5]
	s_delay_alu instid0(VALU_DEP_1) | instskip(SKIP_1) | instid1(VALU_DEP_2)
	v_cvt_i32_f64_e32 v1, v[2:3]
	v_add_nc_u32_e32 v2, s15, v0
	v_readfirstlane_b32 s16, v1
	s_delay_alu instid0(VALU_DEP_2)
	v_cmpx_lt_u32_e64 v2, v1
	s_cbranch_execz .LBB25_8
; %bb.1:
	s_clause 0x1
	s_load_b64 s[10:11], s[0:1], 0x40
	s_load_b64 s[8:9], s[0:1], 0x0
	v_mov_b32_e32 v3, 0
	s_delay_alu instid0(VALU_DEP_1)
	v_mov_b64_e32 v[6:7], v[2:3]
	s_wait_kmcnt 0x0
	v_lshl_add_u64 v[4:5], v[2:3], 2, s[10:11]
	s_cmp_lg_u64 s[10:11], 0
	s_cselect_b32 s13, -1, 0
	s_cmp_eq_u64 s[10:11], 0
	s_cbranch_scc1 .LBB25_3
; %bb.2:
	global_load_b32 v6, v[4:5], off
	s_wait_loadcnt 0x0
	v_ashrrev_i32_e32 v7, 31, v6
.LBB25_3:
	s_mul_i32 s10, s14, s5
	v_cndmask_b32_e64 v8, 0, 1, s13
	s_ashr_i32 s11, s10, 31
	v_lshlrev_b32_e32 v1, 1, v0
	s_lshl_b64 s[18:19], s[10:11], 1
	s_and_not1_b32 vcc_lo, exec_lo, s13
	s_add_nc_u64 s[18:19], s[8:9], s[18:19]
	s_delay_alu instid0(SALU_CYCLE_1)
	v_lshl_add_u64 v[6:7], v[6:7], 1, s[18:19]
	global_load_u16 v9, v[6:7], off
	s_wait_xcnt 0x0
	v_mov_b64_e32 v[6:7], v[2:3]
	s_wait_loadcnt 0x0
	ds_store_b16 v1, v9
	s_cbranch_vccnz .LBB25_5
; %bb.4:
	global_load_b32 v6, v[4:5], off
	s_wait_loadcnt 0x0
	v_ashrrev_i32_e32 v7, 31, v6
.LBB25_5:
	s_add_co_i32 s10, s10, s5
	v_cmp_ne_u32_e32 vcc_lo, 1, v8
	s_ashr_i32 s11, s10, 31
	s_delay_alu instid0(SALU_CYCLE_1) | instskip(SKIP_2) | instid1(SALU_CYCLE_1)
	s_lshl_b64 s[18:19], s[10:11], 1
	s_and_b32 vcc_lo, exec_lo, vcc_lo
	s_add_nc_u64 s[18:19], s[8:9], s[18:19]
	v_lshl_add_u64 v[6:7], v[6:7], 1, s[18:19]
	global_load_u16 v6, v[6:7], off
	s_wait_loadcnt 0x0
	ds_store_b16 v1, v6 offset:256
	s_cbranch_vccnz .LBB25_7
; %bb.6:
	global_load_b32 v2, v[4:5], off
	s_wait_loadcnt 0x0
	v_ashrrev_i32_e32 v3, 31, v2
.LBB25_7:
	s_add_co_i32 s10, s10, s5
	s_delay_alu instid0(SALU_CYCLE_1) | instskip(NEXT) | instid1(SALU_CYCLE_1)
	s_ashr_i32 s11, s10, 31
	s_lshl_b64 s[10:11], s[10:11], 1
	s_delay_alu instid0(SALU_CYCLE_1) | instskip(NEXT) | instid1(SALU_CYCLE_1)
	s_add_nc_u64 s[8:9], s[8:9], s[10:11]
	v_lshl_add_u64 v[2:3], v[2:3], 1, s[8:9]
	global_load_u16 v2, v[2:3], off
	s_wait_loadcnt 0x0
	ds_store_b16 v1, v2 offset:512
.LBB25_8:
	s_or_b32 exec_lo, exec_lo, s12
	s_clause 0x1
	s_load_b64 s[12:13], s[0:1], 0x8
	s_load_b128 s[8:11], s[0:1], 0x18
	s_wait_xcnt 0x0
	s_bfe_u32 s0, ttmp6, 0x4000c
	s_and_b32 s1, ttmp6, 15
	s_add_co_i32 s0, s0, 1
	v_lshlrev_b32_e32 v1, 2, v0
	s_mul_i32 s0, ttmp9, s0
	s_delay_alu instid0(SALU_CYCLE_1)
	s_add_co_i32 s1, s1, s0
	s_cmp_eq_u32 s17, 0
	s_cselect_b32 s0, ttmp9, s1
	s_mov_b32 s1, 0
	v_lshl_add_u32 v2, s0, 9, v1
	s_mov_b32 s0, exec_lo
	s_delay_alu instid0(VALU_DEP_1)
	v_cmpx_gt_i32_e64 s4, v2
	s_cbranch_execz .LBB25_26
; %bb.9:
	s_abs_i32 s17, s6
	v_mov_b32_e32 v5, 0
	s_cvt_f32_u32 s0, s17
	s_cmp_ge_i32 s15, s16
	s_wait_dscnt 0x0
	s_barrier_signal -1
	v_rcp_iflag_f32_e32 v1, s0
	v_dual_mov_b32 v4, v5 :: v_dual_mov_b32 v34, v5
	v_dual_mov_b32 v11, v5 :: v_dual_mov_b32 v33, v5
	;; [unrolled: 1-line block ×4, first 2 shown]
	s_delay_alu instid0(TRANS32_DEP_1)
	v_readfirstlane_b32 s0, v1
	v_dual_mov_b32 v39, v5 :: v_dual_mov_b32 v41, v5
	v_mov_b32_e32 v40, v5
	s_barrier_wait -1
	s_cbranch_scc1 .LBB25_14
; %bb.10:
	s_mul_f32 s0, s0, 0x4f7ffffe
	v_dual_ashrrev_i32 v3, 31, v2 :: v_dual_lshlrev_b32 v0, 4, v0
	s_delay_alu instid0(SALU_CYCLE_2) | instskip(SKIP_1) | instid1(VALU_DEP_1)
	s_cvt_u32_f32 s18, s0
	s_sub_co_i32 s0, 0, s17
	v_and_b32_e32 v42, 16, v0
	s_delay_alu instid0(SALU_CYCLE_1)
	s_mul_i32 s19, s0, s18
	s_abs_i32 s0, s5
	s_mul_hi_u32 s20, s18, s19
	s_mov_b32 s19, s1
	s_add_co_i32 s18, s18, s20
	s_ashr_i32 s5, s5, 31
	s_mul_u64 s[18:19], s[0:1], s[18:19]
	s_ashr_i32 s1, s6, 31
	s_mul_i32 s6, s19, s17
	s_xor_b32 s1, s5, s1
	s_sub_co_i32 s0, s0, s6
	s_add_co_i32 s5, s19, 1
	s_sub_co_i32 s6, s0, s17
	s_cmp_ge_u32 s0, s17
	s_mov_b32 s20, 0x10001
	s_cselect_b32 s5, s5, s19
	s_cselect_b32 s0, s6, s0
	s_add_co_i32 s6, s5, 1
	s_cmp_ge_u32 s0, s17
	s_mov_b32 s19, 0
	s_cselect_b32 s0, s6, s5
	s_delay_alu instid0(SALU_CYCLE_1) | instskip(NEXT) | instid1(SALU_CYCLE_1)
	s_xor_b32 s0, s0, s1
	s_sub_co_i32 s17, s0, s1
	s_bitcmp1_b32 s7, 0
	s_cvt_f32_u32 s0, s17
	s_cselect_b32 s1, -1, 0
	s_sub_co_i32 s5, 0, s17
	s_xor_b32 s1, s1, -1
	v_rcp_iflag_f32_e32 v1, s0
	v_cndmask_b32_e64 v43, 0, 1, s1
	s_delay_alu instid0(TRANS32_DEP_1) | instskip(SKIP_1) | instid1(SALU_CYCLE_3)
	v_readfirstlane_b32 s0, v1
	s_mul_f32 s0, s0, 0x4f7ffffe
	s_cvt_u32_f32 s0, s0
	s_delay_alu instid0(SALU_CYCLE_3) | instskip(NEXT) | instid1(SALU_CYCLE_1)
	s_mul_i32 s5, s5, s0
	s_mul_hi_u32 s5, s0, s5
	s_delay_alu instid0(SALU_CYCLE_1) | instskip(NEXT) | instid1(SALU_CYCLE_1)
	s_add_co_i32 s0, s0, s5
	s_mul_hi_u32 s0, s15, s0
	s_delay_alu instid0(SALU_CYCLE_1) | instskip(SKIP_2) | instid1(SALU_CYCLE_1)
	s_mul_i32 s5, s0, s17
	s_add_co_i32 s6, s0, 1
	s_sub_co_i32 s5, s15, s5
	s_sub_co_i32 s7, s5, s17
	s_cmp_ge_u32 s5, s17
	s_cselect_b32 s0, s6, s0
	s_cselect_b32 s5, s7, s5
	s_add_co_i32 s6, s0, 1
	s_cmp_ge_u32 s5, s17
	s_cselect_b32 s18, s6, s0
	s_add_co_i32 s21, s17, s15
	s_mul_i32 s0, s18, s4
	s_delay_alu instid0(SALU_CYCLE_1) | instskip(SKIP_1) | instid1(SALU_CYCLE_1)
	v_dual_lshrrev_b32 v1, 29, v3 :: v_dual_add_nc_u32 v4, s0, v2
	s_ashr_i32 s5, s0, 31
	s_lshr_b32 s5, s5, 29
	s_delay_alu instid0(VALU_DEP_1)
	v_add_nc_u32_e32 v1, v2, v1
	s_add_co_i32 s5, s0, s5
	v_ashrrev_i32_e32 v5, 31, v4
	s_ashr_i32 s5, s5, 3
	s_lshr_b32 s0, s15, 3
	v_ashrrev_i32_e32 v37, 3, v1
	s_mul_i32 s6, s4, s0
	s_wait_kmcnt 0x0
	v_lshl_add_u64 v[4:5], v[4:5], 1, s[8:9]
	s_ashr_i32 s7, s6, 31
	v_add_nc_u32_e32 v1, s5, v37
	s_lshl_b64 s[6:7], s[6:7], 2
	global_load_b64 v[6:7], v[4:5], off
	s_wait_xcnt 0x0
	v_mov_b32_e32 v4, 0
	s_add_nc_u64 s[6:7], s[12:13], s[6:7]
	global_load_b32 v1, v1, s[2:3] scale_offset
	s_ashr_i32 s5, s4, 31
	s_mov_b32 s12, 0xf000f0
	s_lshl_b64 s[0:1], s[4:5], 4
	v_dual_mov_b32 v5, v4 :: v_dual_mov_b32 v40, v4
	v_dual_mov_b32 v41, v4 :: v_dual_mov_b32 v39, v4
	;; [unrolled: 1-line block ×5, first 2 shown]
	s_wait_loadcnt 0x1
	v_dual_mov_b32 v34, v4 :: v_dual_lshrrev_b32 v16, 16, v6
	v_lshrrev_b32_e32 v17, 16, v7
	v_cvt_f32_f16_e32 v44, v6
	s_wait_loadcnt 0x0
	v_lshrrev_b32_e32 v0, v0, v1
	v_cvt_f32_f16_e32 v6, v7
	v_cvt_f32_f16_e32 v45, v16
	;; [unrolled: 1-line block ×3, first 2 shown]
	s_delay_alu instid0(VALU_DEP_4) | instskip(NEXT) | instid1(VALU_DEP_1)
	v_lshrrev_b32_e32 v1, 12, v0
	v_dual_lshrrev_b32 v8, 8, v0 :: v_dual_bitop2_b32 v10, 15, v1 bitop3:0x40
	v_dual_lshrrev_b32 v9, 4, v0 :: v_dual_bitop2_b32 v12, 15, v0 bitop3:0x40
	v_lshl_add_u64 v[0:1], v[2:3], 2, s[6:7]
	s_delay_alu instid0(VALU_DEP_3) | instskip(NEXT) | instid1(VALU_DEP_3)
	v_dual_add_nc_u32 v3, v10, v43 :: v_dual_bitop2_b32 v8, 15, v8 bitop3:0x40
	v_and_b32_e32 v9, 15, v9
	s_lshl_b64 s[6:7], s[4:5], 2
	s_mov_b32 s5, 0xf000f
	s_delay_alu instid0(VALU_DEP_2) | instskip(SKIP_3) | instid1(VALU_DEP_3)
	v_mad_u32_u24 v49, v3, s20, 0xe400e400
	v_add_nc_u32_e32 v8, v8, v43
	v_dual_add_nc_u32 v10, v12, v43 :: v_dual_add_nc_u32 v9, v9, v43
	v_cvt_f32_ubyte0_e32 v12, v3
	v_cvt_f32_ubyte0_e32 v13, v8
	s_delay_alu instid0(VALU_DEP_3) | instskip(NEXT) | instid1(VALU_DEP_4)
	v_cvt_f32_ubyte0_e32 v14, v10
	v_cvt_f32_ubyte0_e32 v15, v9
	v_mad_u32_u24 v46, v10, s20, 0xe400e400
	v_mad_u32_u24 v47, v8, s20, 0xe400e400
	v_cvt_pk_f16_f32 v12, v13, v12
	v_mad_u32_u24 v48, v9, s20, 0xe400e400
	v_cvt_pk_f16_f32 v13, v14, v15
	s_delay_alu instid0(VALU_DEP_3) | instskip(NEXT) | instid1(VALU_DEP_2)
	v_pk_add_f16 v12, 0xd400, v12 op_sel_hi:[0,1] neg_lo:[0,1] neg_hi:[0,1]
	v_pk_add_f16 v10, 0xd400, v13 op_sel_hi:[0,1] neg_lo:[0,1] neg_hi:[0,1]
	s_delay_alu instid0(VALU_DEP_2) | instskip(NEXT) | instid1(VALU_DEP_2)
	v_and_b32_e32 v3, 0xffff, v12
	v_dual_lshrrev_b32 v8, 16, v12 :: v_dual_lshrrev_b32 v13, 16, v10
	v_and_b32_e32 v12, 0xffff, v10
	s_delay_alu instid0(VALU_DEP_3) | instskip(NEXT) | instid1(VALU_DEP_3)
	v_mul_u32_u24_e32 v10, 0x10001, v3
	v_mul_u32_u24_e32 v9, 0x10001, v8
	s_delay_alu instid0(VALU_DEP_4) | instskip(NEXT) | instid1(VALU_DEP_4)
	v_mul_u32_u24_e32 v3, 0x10001, v13
	v_mul_u32_u24_e32 v8, 0x10001, v12
	s_branch .LBB25_12
.LBB25_11:                              ;   in Loop: Header=BB25_12 Depth=1
	global_load_b128 v[12:15], v[0:1], off
	s_add_co_i32 s15, s15, 32
	v_mov_b32_e32 v28, s19
	s_add_co_i32 s19, s19, 64
	s_cmp_ge_i32 s15, s16
	s_wait_loadcnt 0x0
	v_and_or_b32 v16, v12, s5, 0x64006400
	v_and_or_b32 v17, v12, s12, 0x64006400
	v_lshrrev_b32_e32 v12, 8, v12
	s_delay_alu instid0(VALU_DEP_3) | instskip(SKIP_1) | instid1(VALU_DEP_3)
	v_pk_add_f16 v19, v46, v16
	v_and_or_b32 v16, v13, s12, 0x64006400
	v_and_or_b32 v18, v12, s5, 0x64006400
	;; [unrolled: 1-line block ×3, first 2 shown]
	v_pk_fma_f16 v20, 0x2c00, v17, v8 op_sel_hi:[0,1,1]
	s_delay_alu instid0(VALU_DEP_4) | instskip(NEXT) | instid1(VALU_DEP_4)
	v_pk_fma_f16 v24, 0x2c00, v16, v3 op_sel_hi:[0,1,1]
	v_pk_add_f16 v21, v46, v18
	s_delay_alu instid0(VALU_DEP_4) | instskip(SKIP_2) | instid1(VALU_DEP_2)
	v_pk_fma_f16 v22, 0x2c00, v12, v8 op_sel_hi:[0,1,1]
	v_and_or_b32 v12, v13, s5, 0x64006400
	v_lshrrev_b32_e32 v13, 8, v13
	v_pk_add_f16 v23, v48, v12
	s_delay_alu instid0(VALU_DEP_2) | instskip(SKIP_2) | instid1(VALU_DEP_3)
	v_and_or_b32 v17, v13, s5, 0x64006400
	v_and_or_b32 v13, v13, s12, 0x64006400
	v_and_or_b32 v12, v14, s5, 0x64006400
	v_pk_add_f16 v25, v48, v17
	s_delay_alu instid0(VALU_DEP_3) | instskip(SKIP_4) | instid1(VALU_DEP_4)
	v_pk_fma_f16 v26, 0x2c00, v13, v3 op_sel_hi:[0,1,1]
	v_and_or_b32 v13, v14, s12, 0x64006400
	v_lshrrev_b32_e32 v14, 8, v14
	v_pk_add_f16 v27, v47, v12
	v_and_or_b32 v12, v15, s5, 0x64006400
	v_pk_fma_f16 v29, 0x2c00, v13, v10 op_sel_hi:[0,1,1]
	v_and_or_b32 v13, v15, s12, 0x64006400
	v_and_or_b32 v16, v14, s5, 0x64006400
	s_delay_alu instid0(VALU_DEP_4) | instskip(SKIP_1) | instid1(VALU_DEP_4)
	v_pk_add_f16 v50, v49, v12
	v_and_or_b32 v14, v14, s12, 0x64006400
	v_pk_fma_f16 v51, 0x2c00, v13, v9 op_sel_hi:[0,1,1]
	ds_load_2addr_b32 v[12:13], v28 offset1:1
	v_pk_add_f16 v30, v47, v16
	v_pk_fma_f16 v31, 0x2c00, v14, v10 op_sel_hi:[0,1,1]
	v_lshrrev_b32_e32 v14, 8, v15
	s_delay_alu instid0(VALU_DEP_1) | instskip(SKIP_1) | instid1(VALU_DEP_2)
	v_and_or_b32 v15, v14, s5, 0x64006400
	v_and_or_b32 v14, v14, s12, 0x64006400
	v_pk_add_f16 v52, v49, v15
	s_delay_alu instid0(VALU_DEP_2) | instskip(SKIP_2) | instid1(VALU_DEP_1)
	v_pk_fma_f16 v53, 0x2c00, v14, v9 op_sel_hi:[0,1,1]
	s_wait_dscnt 0x0
	v_pk_fma_f16 v14, v19, v12, 0
	v_pk_fma_f16 v16, v20, v13, v14
	ds_load_2addr_b32 v[14:15], v28 offset0:2 offset1:3
	s_wait_dscnt 0x0
	v_pk_fma_f16 v16, v21, v14, v16
	s_delay_alu instid0(VALU_DEP_1) | instskip(NEXT) | instid1(VALU_DEP_1)
	v_pk_fma_f16 v16, v22, v15, v16
	v_cvt_f32_f16_e32 v17, v16
	v_lshrrev_b32_e32 v16, 16, v16
	s_delay_alu instid0(VALU_DEP_1) | instskip(NEXT) | instid1(VALU_DEP_1)
	v_cvt_f32_f16_e32 v16, v16
	v_add_f32_e32 v16, v16, v17
	s_delay_alu instid0(VALU_DEP_1) | instskip(SKIP_1) | instid1(VALU_DEP_1)
	v_fmac_f32_e32 v40, v16, v44
	v_pk_fma_f16 v16, v23, v12, 0
	v_pk_fma_f16 v16, v24, v13, v16
	s_delay_alu instid0(VALU_DEP_1) | instskip(NEXT) | instid1(VALU_DEP_1)
	v_pk_fma_f16 v16, v25, v14, v16
	v_pk_fma_f16 v16, v26, v15, v16
	s_delay_alu instid0(VALU_DEP_1) | instskip(SKIP_1) | instid1(VALU_DEP_1)
	v_cvt_f32_f16_e32 v17, v16
	v_lshrrev_b32_e32 v16, 16, v16
	v_cvt_f32_f16_e32 v16, v16
	s_delay_alu instid0(VALU_DEP_1) | instskip(NEXT) | instid1(VALU_DEP_1)
	v_add_f32_e32 v16, v16, v17
	v_fmac_f32_e32 v41, v16, v45
	v_pk_fma_f16 v16, v27, v12, 0
	v_pk_fma_f16 v12, v50, v12, 0
	s_delay_alu instid0(VALU_DEP_2) | instskip(NEXT) | instid1(VALU_DEP_2)
	v_pk_fma_f16 v16, v29, v13, v16
	v_pk_fma_f16 v12, v51, v13, v12
	s_delay_alu instid0(VALU_DEP_2) | instskip(NEXT) | instid1(VALU_DEP_2)
	v_pk_fma_f16 v16, v30, v14, v16
	v_pk_fma_f16 v12, v52, v14, v12
	s_delay_alu instid0(VALU_DEP_2) | instskip(NEXT) | instid1(VALU_DEP_2)
	v_pk_fma_f16 v16, v31, v15, v16
	v_pk_fma_f16 v12, v53, v15, v12
	s_delay_alu instid0(VALU_DEP_2) | instskip(NEXT) | instid1(VALU_DEP_2)
	v_cvt_f32_f16_e32 v17, v16
	v_cvt_f32_f16_e32 v13, v12
	v_lshrrev_b32_e32 v12, 16, v12
	v_lshrrev_b32_e32 v16, 16, v16
	s_delay_alu instid0(VALU_DEP_2) | instskip(NEXT) | instid1(VALU_DEP_2)
	v_cvt_f32_f16_e32 v12, v12
	v_cvt_f32_f16_e32 v16, v16
	s_delay_alu instid0(VALU_DEP_2) | instskip(NEXT) | instid1(VALU_DEP_2)
	v_add_f32_e32 v12, v12, v13
	v_add_f32_e32 v16, v16, v17
	s_delay_alu instid0(VALU_DEP_2) | instskip(SKIP_4) | instid1(VALU_DEP_1)
	v_fmac_f32_e32 v38, v12, v7
	ds_load_2addr_b32 v[12:13], v28 offset0:64 offset1:65
	v_fmac_f32_e32 v39, v16, v6
	s_wait_dscnt 0x0
	v_pk_fma_f16 v14, v19, v12, 0
	v_pk_fma_f16 v16, v20, v13, v14
	ds_load_2addr_b32 v[14:15], v28 offset0:66 offset1:67
	s_wait_dscnt 0x0
	v_pk_fma_f16 v16, v21, v14, v16
	s_delay_alu instid0(VALU_DEP_1) | instskip(NEXT) | instid1(VALU_DEP_1)
	v_pk_fma_f16 v16, v22, v15, v16
	v_cvt_f32_f16_e32 v17, v16
	v_lshrrev_b32_e32 v16, 16, v16
	s_delay_alu instid0(VALU_DEP_1) | instskip(NEXT) | instid1(VALU_DEP_1)
	v_cvt_f32_f16_e32 v16, v16
	v_add_f32_e32 v16, v16, v17
	s_delay_alu instid0(VALU_DEP_1) | instskip(SKIP_1) | instid1(VALU_DEP_1)
	v_fmac_f32_e32 v35, v16, v44
	v_pk_fma_f16 v16, v23, v12, 0
	v_pk_fma_f16 v16, v24, v13, v16
	s_delay_alu instid0(VALU_DEP_1) | instskip(NEXT) | instid1(VALU_DEP_1)
	v_pk_fma_f16 v16, v25, v14, v16
	v_pk_fma_f16 v16, v26, v15, v16
	s_delay_alu instid0(VALU_DEP_1) | instskip(SKIP_1) | instid1(VALU_DEP_1)
	v_cvt_f32_f16_e32 v17, v16
	v_lshrrev_b32_e32 v16, 16, v16
	v_cvt_f32_f16_e32 v16, v16
	s_delay_alu instid0(VALU_DEP_1) | instskip(NEXT) | instid1(VALU_DEP_1)
	v_add_f32_e32 v16, v16, v17
	v_fmac_f32_e32 v36, v16, v45
	v_pk_fma_f16 v16, v27, v12, 0
	v_pk_fma_f16 v12, v50, v12, 0
	s_delay_alu instid0(VALU_DEP_2) | instskip(NEXT) | instid1(VALU_DEP_2)
	v_pk_fma_f16 v16, v29, v13, v16
	v_pk_fma_f16 v12, v51, v13, v12
	s_delay_alu instid0(VALU_DEP_2) | instskip(NEXT) | instid1(VALU_DEP_2)
	;; [unrolled: 3-line block ×3, first 2 shown]
	v_pk_fma_f16 v16, v31, v15, v16
	v_pk_fma_f16 v12, v53, v15, v12
	s_delay_alu instid0(VALU_DEP_2) | instskip(SKIP_1) | instid1(VALU_DEP_3)
	v_cvt_f32_f16_e32 v17, v16
	v_lshrrev_b32_e32 v16, 16, v16
	v_cvt_f32_f16_e32 v13, v12
	v_lshrrev_b32_e32 v12, 16, v12
	s_delay_alu instid0(VALU_DEP_3) | instskip(NEXT) | instid1(VALU_DEP_2)
	v_cvt_f32_f16_e32 v16, v16
	v_cvt_f32_f16_e32 v12, v12
	s_delay_alu instid0(VALU_DEP_2) | instskip(NEXT) | instid1(VALU_DEP_2)
	v_add_f32_e32 v16, v16, v17
	v_add_f32_e32 v12, v12, v13
	s_delay_alu instid0(VALU_DEP_2)
	v_fmac_f32_e32 v32, v16, v6
	ds_load_2addr_b32 v[16:17], v28 offset0:128 offset1:129
	v_fmac_f32_e32 v33, v12, v7
	s_wait_dscnt 0x0
	v_pk_fma_f16 v12, v19, v16, 0
	ds_load_2addr_b32 v[18:19], v28 offset0:130 offset1:131
	v_pk_fma_f16 v12, v20, v17, v12
	s_wait_dscnt 0x0
	s_delay_alu instid0(VALU_DEP_1) | instskip(SKIP_2) | instid1(VALU_DEP_3)
	v_pk_fma_f16 v12, v21, v18, v12
	v_add_nc_u64_e32 v[20:21], s[6:7], v[0:1]
	v_add_nc_u64_e32 v[0:1], s[0:1], v[0:1]
	v_pk_fma_f16 v12, v22, v19, v12
	s_delay_alu instid0(VALU_DEP_1) | instskip(SKIP_1) | instid1(VALU_DEP_1)
	v_cvt_f32_f16_e32 v13, v12
	v_lshrrev_b32_e32 v12, 16, v12
	v_cvt_f32_f16_e32 v12, v12
	s_delay_alu instid0(VALU_DEP_1) | instskip(NEXT) | instid1(VALU_DEP_1)
	v_add_f32_e32 v12, v12, v13
	v_fmac_f32_e32 v11, v12, v44
	v_pk_fma_f16 v12, v23, v16, 0
	s_delay_alu instid0(VALU_DEP_1) | instskip(NEXT) | instid1(VALU_DEP_1)
	v_pk_fma_f16 v12, v24, v17, v12
	v_pk_fma_f16 v12, v25, v18, v12
	s_delay_alu instid0(VALU_DEP_1) | instskip(NEXT) | instid1(VALU_DEP_1)
	v_pk_fma_f16 v12, v26, v19, v12
	v_cvt_f32_f16_e32 v13, v12
	v_lshrrev_b32_e32 v12, 16, v12
	s_delay_alu instid0(VALU_DEP_1) | instskip(NEXT) | instid1(VALU_DEP_1)
	v_cvt_f32_f16_e32 v12, v12
	v_add_f32_e32 v12, v12, v13
	s_delay_alu instid0(VALU_DEP_1) | instskip(SKIP_1) | instid1(VALU_DEP_1)
	v_fmac_f32_e32 v34, v12, v45
	v_pk_fma_f16 v12, v27, v16, 0
	v_pk_fma_f16 v12, v29, v17, v12
	s_delay_alu instid0(VALU_DEP_1) | instskip(NEXT) | instid1(VALU_DEP_1)
	v_pk_fma_f16 v12, v30, v18, v12
	v_pk_fma_f16 v13, v31, v19, v12
	s_delay_alu instid0(VALU_DEP_1) | instskip(SKIP_1) | instid1(VALU_DEP_1)
	v_cvt_f32_f16_e32 v12, v13
	v_lshrrev_b32_e32 v13, 16, v13
	v_cvt_f32_f16_e32 v14, v13
	v_pk_fma_f16 v13, v50, v16, 0
	s_delay_alu instid0(VALU_DEP_1) | instskip(NEXT) | instid1(VALU_DEP_1)
	v_pk_fma_f16 v13, v51, v17, v13
	v_pk_fma_f16 v13, v52, v18, v13
	s_delay_alu instid0(VALU_DEP_1) | instskip(SKIP_3) | instid1(VALU_DEP_2)
	v_pk_fma_f16 v13, v53, v19, v13
	global_load_b128 v[16:19], v[20:21], off
	v_lshrrev_b32_e32 v15, 16, v13
	v_cvt_f32_f16_e32 v13, v13
	v_cvt_f32_f16_e32 v15, v15
	s_delay_alu instid0(VALU_DEP_1) | instskip(NEXT) | instid1(VALU_DEP_1)
	v_pk_add_f32 v[12:13], v[12:13], v[14:15]
	v_pk_fma_f32 v[4:5], v[12:13], v[6:7], v[4:5]
	s_wait_loadcnt 0x0
	v_and_or_b32 v22, v16, s5, 0x64006400
	v_and_or_b32 v23, v16, s12, 0x64006400
	v_lshrrev_b32_e32 v16, 8, v16
	s_delay_alu instid0(VALU_DEP_3) | instskip(SKIP_1) | instid1(VALU_DEP_3)
	v_pk_add_f16 v25, v46, v22
	v_and_or_b32 v22, v17, s12, 0x64006400
	v_and_or_b32 v24, v16, s5, 0x64006400
	;; [unrolled: 1-line block ×3, first 2 shown]
	v_pk_fma_f16 v26, 0x2c00, v23, v8 op_sel_hi:[0,1,1]
	s_delay_alu instid0(VALU_DEP_4) | instskip(NEXT) | instid1(VALU_DEP_4)
	v_pk_fma_f16 v31, 0x2c00, v22, v3 op_sel_hi:[0,1,1]
	v_pk_add_f16 v27, v46, v24
	s_delay_alu instid0(VALU_DEP_4) | instskip(SKIP_2) | instid1(VALU_DEP_2)
	v_pk_fma_f16 v29, 0x2c00, v16, v8 op_sel_hi:[0,1,1]
	v_and_or_b32 v16, v17, s5, 0x64006400
	v_lshrrev_b32_e32 v17, 8, v17
	v_pk_add_f16 v30, v48, v16
	s_delay_alu instid0(VALU_DEP_2) | instskip(SKIP_2) | instid1(VALU_DEP_3)
	v_and_or_b32 v23, v17, s5, 0x64006400
	v_and_or_b32 v17, v17, s12, 0x64006400
	;; [unrolled: 1-line block ×3, first 2 shown]
	v_pk_add_f16 v50, v48, v23
	s_delay_alu instid0(VALU_DEP_3) | instskip(SKIP_1) | instid1(VALU_DEP_4)
	v_pk_fma_f16 v51, 0x2c00, v17, v3 op_sel_hi:[0,1,1]
	v_and_or_b32 v17, v18, s12, 0x64006400
	v_pk_add_f16 v52, v47, v16
	v_and_or_b32 v16, v19, s5, 0x64006400
	v_lshrrev_b32_e32 v18, 8, v18
	s_delay_alu instid0(VALU_DEP_4) | instskip(SKIP_1) | instid1(VALU_DEP_4)
	v_pk_fma_f16 v53, 0x2c00, v17, v10 op_sel_hi:[0,1,1]
	v_and_or_b32 v17, v19, s12, 0x64006400
	v_pk_add_f16 v56, v49, v16
	s_delay_alu instid0(VALU_DEP_4) | instskip(SKIP_1) | instid1(VALU_DEP_4)
	v_and_or_b32 v22, v18, s5, 0x64006400
	v_and_or_b32 v18, v18, s12, 0x64006400
	v_pk_fma_f16 v57, 0x2c00, v17, v9 op_sel_hi:[0,1,1]
	ds_load_2addr_b32 v[16:17], v28 offset0:4 offset1:5
	v_pk_add_f16 v54, v47, v22
	v_pk_fma_f16 v55, 0x2c00, v18, v10 op_sel_hi:[0,1,1]
	v_lshrrev_b32_e32 v18, 8, v19
	s_delay_alu instid0(VALU_DEP_1) | instskip(SKIP_1) | instid1(VALU_DEP_2)
	v_and_or_b32 v19, v18, s5, 0x64006400
	v_and_or_b32 v18, v18, s12, 0x64006400
	v_pk_add_f16 v58, v49, v19
	s_delay_alu instid0(VALU_DEP_2) | instskip(SKIP_2) | instid1(VALU_DEP_1)
	v_pk_fma_f16 v59, 0x2c00, v18, v9 op_sel_hi:[0,1,1]
	s_wait_dscnt 0x0
	v_pk_fma_f16 v18, v25, v16, 0
	v_pk_fma_f16 v22, v26, v17, v18
	ds_load_2addr_b32 v[18:19], v28 offset0:6 offset1:7
	s_wait_dscnt 0x0
	v_pk_fma_f16 v22, v27, v18, v22
	s_delay_alu instid0(VALU_DEP_1) | instskip(NEXT) | instid1(VALU_DEP_1)
	v_pk_fma_f16 v22, v29, v19, v22
	v_cvt_f32_f16_e32 v23, v22
	v_lshrrev_b32_e32 v22, 16, v22
	s_delay_alu instid0(VALU_DEP_1) | instskip(NEXT) | instid1(VALU_DEP_1)
	v_cvt_f32_f16_e32 v22, v22
	v_add_f32_e32 v22, v22, v23
	s_delay_alu instid0(VALU_DEP_1) | instskip(SKIP_1) | instid1(VALU_DEP_1)
	v_fmac_f32_e32 v40, v22, v44
	v_pk_fma_f16 v22, v30, v16, 0
	v_pk_fma_f16 v22, v31, v17, v22
	s_delay_alu instid0(VALU_DEP_1) | instskip(NEXT) | instid1(VALU_DEP_1)
	v_pk_fma_f16 v22, v50, v18, v22
	v_pk_fma_f16 v22, v51, v19, v22
	s_delay_alu instid0(VALU_DEP_1) | instskip(SKIP_1) | instid1(VALU_DEP_1)
	v_cvt_f32_f16_e32 v23, v22
	v_lshrrev_b32_e32 v22, 16, v22
	v_cvt_f32_f16_e32 v22, v22
	s_delay_alu instid0(VALU_DEP_1) | instskip(NEXT) | instid1(VALU_DEP_1)
	v_add_f32_e32 v22, v22, v23
	v_fmac_f32_e32 v41, v22, v45
	v_pk_fma_f16 v22, v52, v16, 0
	v_pk_fma_f16 v16, v56, v16, 0
	s_delay_alu instid0(VALU_DEP_2) | instskip(NEXT) | instid1(VALU_DEP_2)
	v_pk_fma_f16 v22, v53, v17, v22
	v_pk_fma_f16 v16, v57, v17, v16
	s_delay_alu instid0(VALU_DEP_2) | instskip(NEXT) | instid1(VALU_DEP_2)
	;; [unrolled: 3-line block ×3, first 2 shown]
	v_pk_fma_f16 v22, v55, v19, v22
	v_pk_fma_f16 v16, v59, v19, v16
	s_delay_alu instid0(VALU_DEP_2) | instskip(SKIP_1) | instid1(VALU_DEP_3)
	v_cvt_f32_f16_e32 v23, v22
	v_lshrrev_b32_e32 v22, 16, v22
	v_cvt_f32_f16_e32 v17, v16
	v_lshrrev_b32_e32 v16, 16, v16
	s_delay_alu instid0(VALU_DEP_3) | instskip(NEXT) | instid1(VALU_DEP_2)
	v_cvt_f32_f16_e32 v22, v22
	v_cvt_f32_f16_e32 v16, v16
	s_delay_alu instid0(VALU_DEP_1) | instskip(NEXT) | instid1(VALU_DEP_1)
	v_dual_add_f32 v22, v22, v23 :: v_dual_add_f32 v16, v16, v17
	v_dual_fmac_f32 v39, v22, v6 :: v_dual_fmac_f32 v38, v16, v7
	ds_load_2addr_b32 v[16:17], v28 offset0:68 offset1:69
	s_wait_dscnt 0x0
	v_pk_fma_f16 v18, v25, v16, 0
	s_delay_alu instid0(VALU_DEP_1) | instskip(SKIP_3) | instid1(VALU_DEP_1)
	v_pk_fma_f16 v22, v26, v17, v18
	ds_load_2addr_b32 v[18:19], v28 offset0:70 offset1:71
	s_wait_dscnt 0x0
	v_pk_fma_f16 v22, v27, v18, v22
	v_pk_fma_f16 v22, v29, v19, v22
	s_delay_alu instid0(VALU_DEP_1) | instskip(SKIP_1) | instid1(VALU_DEP_1)
	v_cvt_f32_f16_e32 v23, v22
	v_lshrrev_b32_e32 v22, 16, v22
	v_cvt_f32_f16_e32 v22, v22
	s_delay_alu instid0(VALU_DEP_1) | instskip(NEXT) | instid1(VALU_DEP_1)
	v_add_f32_e32 v22, v22, v23
	v_fmac_f32_e32 v35, v22, v44
	v_pk_fma_f16 v22, v30, v16, 0
	s_delay_alu instid0(VALU_DEP_1) | instskip(NEXT) | instid1(VALU_DEP_1)
	v_pk_fma_f16 v22, v31, v17, v22
	v_pk_fma_f16 v22, v50, v18, v22
	s_delay_alu instid0(VALU_DEP_1) | instskip(NEXT) | instid1(VALU_DEP_1)
	v_pk_fma_f16 v22, v51, v19, v22
	v_cvt_f32_f16_e32 v23, v22
	v_lshrrev_b32_e32 v22, 16, v22
	s_delay_alu instid0(VALU_DEP_1) | instskip(NEXT) | instid1(VALU_DEP_1)
	v_cvt_f32_f16_e32 v22, v22
	v_add_f32_e32 v22, v22, v23
	s_delay_alu instid0(VALU_DEP_1) | instskip(SKIP_2) | instid1(VALU_DEP_2)
	v_fmac_f32_e32 v36, v22, v45
	v_pk_fma_f16 v22, v52, v16, 0
	v_pk_fma_f16 v16, v56, v16, 0
	;; [unrolled: 1-line block ×3, first 2 shown]
	s_delay_alu instid0(VALU_DEP_2) | instskip(NEXT) | instid1(VALU_DEP_2)
	v_pk_fma_f16 v16, v57, v17, v16
	v_pk_fma_f16 v22, v54, v18, v22
	s_delay_alu instid0(VALU_DEP_2) | instskip(NEXT) | instid1(VALU_DEP_2)
	v_pk_fma_f16 v16, v58, v18, v16
	v_pk_fma_f16 v22, v55, v19, v22
	s_delay_alu instid0(VALU_DEP_2) | instskip(NEXT) | instid1(VALU_DEP_2)
	v_pk_fma_f16 v16, v59, v19, v16
	v_cvt_f32_f16_e32 v23, v22
	v_lshrrev_b32_e32 v22, 16, v22
	s_delay_alu instid0(VALU_DEP_3) | instskip(SKIP_1) | instid1(VALU_DEP_3)
	v_cvt_f32_f16_e32 v17, v16
	v_lshrrev_b32_e32 v16, 16, v16
	v_cvt_f32_f16_e32 v22, v22
	s_delay_alu instid0(VALU_DEP_2) | instskip(NEXT) | instid1(VALU_DEP_1)
	v_cvt_f32_f16_e32 v16, v16
	v_dual_add_f32 v22, v22, v23 :: v_dual_add_f32 v16, v16, v17
	s_delay_alu instid0(VALU_DEP_1)
	v_fmac_f32_e32 v32, v22, v6
	ds_load_2addr_b32 v[22:23], v28 offset0:132 offset1:133
	v_fmac_f32_e32 v33, v16, v7
	s_wait_dscnt 0x0
	v_pk_fma_f16 v16, v25, v22, 0
	ds_load_2addr_b32 v[24:25], v28 offset0:134 offset1:135
	v_pk_fma_f16 v16, v26, v23, v16
	s_wait_dscnt 0x0
	s_delay_alu instid0(VALU_DEP_1) | instskip(NEXT) | instid1(VALU_DEP_1)
	v_pk_fma_f16 v16, v27, v24, v16
	v_pk_fma_f16 v16, v29, v25, v16
	s_delay_alu instid0(VALU_DEP_1) | instskip(SKIP_1) | instid1(VALU_DEP_1)
	v_cvt_f32_f16_e32 v17, v16
	v_lshrrev_b32_e32 v16, 16, v16
	v_cvt_f32_f16_e32 v16, v16
	s_delay_alu instid0(VALU_DEP_1) | instskip(NEXT) | instid1(VALU_DEP_1)
	v_add_f32_e32 v16, v16, v17
	v_fmac_f32_e32 v11, v16, v44
	v_pk_fma_f16 v16, v30, v22, 0
	s_delay_alu instid0(VALU_DEP_1) | instskip(NEXT) | instid1(VALU_DEP_1)
	v_pk_fma_f16 v16, v31, v23, v16
	v_pk_fma_f16 v16, v50, v24, v16
	s_delay_alu instid0(VALU_DEP_1) | instskip(NEXT) | instid1(VALU_DEP_1)
	v_pk_fma_f16 v16, v51, v25, v16
	v_cvt_f32_f16_e32 v17, v16
	v_lshrrev_b32_e32 v16, 16, v16
	s_delay_alu instid0(VALU_DEP_1) | instskip(NEXT) | instid1(VALU_DEP_1)
	v_cvt_f32_f16_e32 v16, v16
	v_add_f32_e32 v16, v16, v17
	s_delay_alu instid0(VALU_DEP_1) | instskip(SKIP_1) | instid1(VALU_DEP_1)
	v_fmac_f32_e32 v34, v16, v45
	v_pk_fma_f16 v16, v52, v22, 0
	v_pk_fma_f16 v16, v53, v23, v16
	s_delay_alu instid0(VALU_DEP_1) | instskip(NEXT) | instid1(VALU_DEP_1)
	v_pk_fma_f16 v16, v54, v24, v16
	v_pk_fma_f16 v17, v55, v25, v16
	s_delay_alu instid0(VALU_DEP_1) | instskip(SKIP_1) | instid1(VALU_DEP_1)
	v_cvt_f32_f16_e32 v16, v17
	v_lshrrev_b32_e32 v17, 16, v17
	v_cvt_f32_f16_e32 v18, v17
	v_pk_fma_f16 v17, v56, v22, 0
	s_delay_alu instid0(VALU_DEP_1) | instskip(NEXT) | instid1(VALU_DEP_1)
	v_pk_fma_f16 v17, v57, v23, v17
	v_pk_fma_f16 v17, v58, v24, v17
	s_delay_alu instid0(VALU_DEP_1) | instskip(SKIP_1) | instid1(VALU_DEP_2)
	v_pk_fma_f16 v17, v59, v25, v17
	v_add_nc_u64_e32 v[24:25], s[6:7], v[20:21]
	v_lshrrev_b32_e32 v19, 16, v17
	v_cvt_f32_f16_e32 v17, v17
	global_load_b128 v[20:23], v[24:25], off
	s_wait_xcnt 0x0
	v_add_nc_u64_e32 v[24:25], s[6:7], v[24:25]
	v_cvt_f32_f16_e32 v19, v19
	s_delay_alu instid0(VALU_DEP_1) | instskip(NEXT) | instid1(VALU_DEP_1)
	v_pk_add_f32 v[12:13], v[16:17], v[18:19]
	v_pk_fma_f32 v[4:5], v[12:13], v[6:7], v[4:5]
	s_wait_loadcnt 0x0
	v_and_or_b32 v26, v20, s5, 0x64006400
	v_and_or_b32 v27, v20, s12, 0x64006400
	v_lshrrev_b32_e32 v20, 8, v20
	s_delay_alu instid0(VALU_DEP_3) | instskip(SKIP_1) | instid1(VALU_DEP_3)
	v_pk_add_f16 v30, v46, v26
	v_and_or_b32 v26, v21, s12, 0x64006400
	v_and_or_b32 v29, v20, s5, 0x64006400
	;; [unrolled: 1-line block ×3, first 2 shown]
	v_pk_fma_f16 v31, 0x2c00, v27, v8 op_sel_hi:[0,1,1]
	s_delay_alu instid0(VALU_DEP_4) | instskip(NEXT) | instid1(VALU_DEP_4)
	v_pk_fma_f16 v52, 0x2c00, v26, v3 op_sel_hi:[0,1,1]
	v_pk_add_f16 v29, v46, v29
	s_delay_alu instid0(VALU_DEP_4) | instskip(SKIP_2) | instid1(VALU_DEP_2)
	v_pk_fma_f16 v50, 0x2c00, v20, v8 op_sel_hi:[0,1,1]
	v_and_or_b32 v20, v21, s5, 0x64006400
	v_lshrrev_b32_e32 v21, 8, v21
	v_pk_add_f16 v51, v48, v20
	s_delay_alu instid0(VALU_DEP_2) | instskip(SKIP_2) | instid1(VALU_DEP_3)
	v_and_or_b32 v27, v21, s5, 0x64006400
	v_and_or_b32 v21, v21, s12, 0x64006400
	;; [unrolled: 1-line block ×3, first 2 shown]
	v_pk_add_f16 v53, v48, v27
	s_delay_alu instid0(VALU_DEP_3) | instskip(SKIP_1) | instid1(VALU_DEP_4)
	v_pk_fma_f16 v54, 0x2c00, v21, v3 op_sel_hi:[0,1,1]
	v_and_or_b32 v21, v22, s12, 0x64006400
	v_pk_add_f16 v55, v47, v20
	v_and_or_b32 v20, v23, s5, 0x64006400
	v_lshrrev_b32_e32 v22, 8, v22
	s_delay_alu instid0(VALU_DEP_4) | instskip(SKIP_1) | instid1(VALU_DEP_4)
	v_pk_fma_f16 v56, 0x2c00, v21, v10 op_sel_hi:[0,1,1]
	v_and_or_b32 v21, v23, s12, 0x64006400
	v_pk_add_f16 v59, v49, v20
	s_delay_alu instid0(VALU_DEP_4) | instskip(SKIP_1) | instid1(VALU_DEP_4)
	v_and_or_b32 v26, v22, s5, 0x64006400
	v_and_or_b32 v22, v22, s12, 0x64006400
	v_pk_fma_f16 v60, 0x2c00, v21, v9 op_sel_hi:[0,1,1]
	ds_load_2addr_b32 v[20:21], v28 offset0:8 offset1:9
	v_pk_add_f16 v57, v47, v26
	v_pk_fma_f16 v58, 0x2c00, v22, v10 op_sel_hi:[0,1,1]
	v_lshrrev_b32_e32 v22, 8, v23
	s_delay_alu instid0(VALU_DEP_1) | instskip(SKIP_1) | instid1(VALU_DEP_2)
	v_and_or_b32 v23, v22, s5, 0x64006400
	v_and_or_b32 v22, v22, s12, 0x64006400
	v_pk_add_f16 v61, v49, v23
	s_delay_alu instid0(VALU_DEP_2) | instskip(SKIP_2) | instid1(VALU_DEP_1)
	v_pk_fma_f16 v62, 0x2c00, v22, v9 op_sel_hi:[0,1,1]
	s_wait_dscnt 0x0
	v_pk_fma_f16 v22, v30, v20, 0
	v_pk_fma_f16 v26, v31, v21, v22
	ds_load_2addr_b32 v[22:23], v28 offset0:10 offset1:11
	s_wait_dscnt 0x0
	v_pk_fma_f16 v26, v29, v22, v26
	s_delay_alu instid0(VALU_DEP_1) | instskip(NEXT) | instid1(VALU_DEP_1)
	v_pk_fma_f16 v26, v50, v23, v26
	v_cvt_f32_f16_e32 v27, v26
	v_lshrrev_b32_e32 v26, 16, v26
	s_delay_alu instid0(VALU_DEP_1) | instskip(NEXT) | instid1(VALU_DEP_1)
	v_cvt_f32_f16_e32 v26, v26
	v_add_f32_e32 v26, v26, v27
	s_delay_alu instid0(VALU_DEP_1) | instskip(SKIP_1) | instid1(VALU_DEP_1)
	v_fmac_f32_e32 v40, v26, v44
	v_pk_fma_f16 v26, v51, v20, 0
	v_pk_fma_f16 v26, v52, v21, v26
	s_delay_alu instid0(VALU_DEP_1) | instskip(NEXT) | instid1(VALU_DEP_1)
	v_pk_fma_f16 v26, v53, v22, v26
	v_pk_fma_f16 v26, v54, v23, v26
	s_delay_alu instid0(VALU_DEP_1) | instskip(SKIP_1) | instid1(VALU_DEP_1)
	v_cvt_f32_f16_e32 v27, v26
	v_lshrrev_b32_e32 v26, 16, v26
	v_cvt_f32_f16_e32 v26, v26
	s_delay_alu instid0(VALU_DEP_1) | instskip(NEXT) | instid1(VALU_DEP_1)
	v_add_f32_e32 v26, v26, v27
	v_fmac_f32_e32 v41, v26, v45
	v_pk_fma_f16 v26, v55, v20, 0
	v_pk_fma_f16 v20, v59, v20, 0
	s_delay_alu instid0(VALU_DEP_2) | instskip(NEXT) | instid1(VALU_DEP_2)
	v_pk_fma_f16 v26, v56, v21, v26
	v_pk_fma_f16 v20, v60, v21, v20
	s_delay_alu instid0(VALU_DEP_2) | instskip(NEXT) | instid1(VALU_DEP_2)
	;; [unrolled: 3-line block ×3, first 2 shown]
	v_pk_fma_f16 v26, v58, v23, v26
	v_pk_fma_f16 v20, v62, v23, v20
	s_delay_alu instid0(VALU_DEP_2) | instskip(SKIP_1) | instid1(VALU_DEP_3)
	v_cvt_f32_f16_e32 v27, v26
	v_lshrrev_b32_e32 v26, 16, v26
	v_cvt_f32_f16_e32 v21, v20
	v_lshrrev_b32_e32 v20, 16, v20
	s_delay_alu instid0(VALU_DEP_3) | instskip(NEXT) | instid1(VALU_DEP_2)
	v_cvt_f32_f16_e32 v26, v26
	v_cvt_f32_f16_e32 v20, v20
	s_delay_alu instid0(VALU_DEP_1) | instskip(NEXT) | instid1(VALU_DEP_1)
	v_dual_add_f32 v26, v26, v27 :: v_dual_add_f32 v20, v20, v21
	v_dual_fmac_f32 v39, v26, v6 :: v_dual_fmac_f32 v38, v20, v7
	ds_load_2addr_b32 v[20:21], v28 offset0:72 offset1:73
	s_wait_dscnt 0x0
	v_pk_fma_f16 v22, v30, v20, 0
	s_delay_alu instid0(VALU_DEP_1) | instskip(SKIP_3) | instid1(VALU_DEP_1)
	v_pk_fma_f16 v26, v31, v21, v22
	ds_load_2addr_b32 v[22:23], v28 offset0:74 offset1:75
	s_wait_dscnt 0x0
	v_pk_fma_f16 v26, v29, v22, v26
	v_pk_fma_f16 v26, v50, v23, v26
	s_delay_alu instid0(VALU_DEP_1) | instskip(SKIP_1) | instid1(VALU_DEP_1)
	v_cvt_f32_f16_e32 v27, v26
	v_lshrrev_b32_e32 v26, 16, v26
	v_cvt_f32_f16_e32 v26, v26
	s_delay_alu instid0(VALU_DEP_1) | instskip(NEXT) | instid1(VALU_DEP_1)
	v_add_f32_e32 v26, v26, v27
	v_fmac_f32_e32 v35, v26, v44
	v_pk_fma_f16 v26, v51, v20, 0
	s_delay_alu instid0(VALU_DEP_1) | instskip(NEXT) | instid1(VALU_DEP_1)
	v_pk_fma_f16 v26, v52, v21, v26
	v_pk_fma_f16 v26, v53, v22, v26
	s_delay_alu instid0(VALU_DEP_1) | instskip(NEXT) | instid1(VALU_DEP_1)
	v_pk_fma_f16 v26, v54, v23, v26
	v_cvt_f32_f16_e32 v27, v26
	v_lshrrev_b32_e32 v26, 16, v26
	s_delay_alu instid0(VALU_DEP_1) | instskip(NEXT) | instid1(VALU_DEP_1)
	v_cvt_f32_f16_e32 v26, v26
	v_add_f32_e32 v26, v26, v27
	s_delay_alu instid0(VALU_DEP_1) | instskip(SKIP_2) | instid1(VALU_DEP_2)
	v_fmac_f32_e32 v36, v26, v45
	v_pk_fma_f16 v26, v55, v20, 0
	v_pk_fma_f16 v20, v59, v20, 0
	;; [unrolled: 1-line block ×3, first 2 shown]
	s_delay_alu instid0(VALU_DEP_2) | instskip(NEXT) | instid1(VALU_DEP_2)
	v_pk_fma_f16 v20, v60, v21, v20
	v_pk_fma_f16 v26, v57, v22, v26
	s_delay_alu instid0(VALU_DEP_2) | instskip(NEXT) | instid1(VALU_DEP_2)
	v_pk_fma_f16 v20, v61, v22, v20
	v_pk_fma_f16 v26, v58, v23, v26
	s_delay_alu instid0(VALU_DEP_2) | instskip(NEXT) | instid1(VALU_DEP_2)
	v_pk_fma_f16 v20, v62, v23, v20
	v_cvt_f32_f16_e32 v27, v26
	v_lshrrev_b32_e32 v26, 16, v26
	s_delay_alu instid0(VALU_DEP_3) | instskip(SKIP_1) | instid1(VALU_DEP_3)
	v_cvt_f32_f16_e32 v21, v20
	v_lshrrev_b32_e32 v20, 16, v20
	v_cvt_f32_f16_e32 v26, v26
	s_delay_alu instid0(VALU_DEP_2) | instskip(NEXT) | instid1(VALU_DEP_1)
	v_cvt_f32_f16_e32 v20, v20
	v_dual_add_f32 v26, v26, v27 :: v_dual_add_f32 v20, v20, v21
	s_delay_alu instid0(VALU_DEP_1) | instskip(SKIP_4) | instid1(VALU_DEP_1)
	v_fmac_f32_e32 v32, v26, v6
	ds_load_2addr_b32 v[26:27], v28 offset0:136 offset1:137
	v_fmac_f32_e32 v33, v20, v7
	s_wait_dscnt 0x0
	v_pk_fma_f16 v20, v30, v26, 0
	v_pk_fma_f16 v20, v31, v27, v20
	ds_load_2addr_b32 v[30:31], v28 offset0:138 offset1:139
	s_wait_dscnt 0x0
	v_pk_fma_f16 v20, v29, v30, v20
	s_delay_alu instid0(VALU_DEP_1) | instskip(NEXT) | instid1(VALU_DEP_1)
	v_pk_fma_f16 v20, v50, v31, v20
	v_cvt_f32_f16_e32 v21, v20
	v_lshrrev_b32_e32 v20, 16, v20
	s_delay_alu instid0(VALU_DEP_1) | instskip(NEXT) | instid1(VALU_DEP_1)
	v_cvt_f32_f16_e32 v20, v20
	v_add_f32_e32 v20, v20, v21
	s_delay_alu instid0(VALU_DEP_1) | instskip(SKIP_1) | instid1(VALU_DEP_1)
	v_fmac_f32_e32 v11, v20, v44
	v_pk_fma_f16 v20, v51, v26, 0
	v_pk_fma_f16 v20, v52, v27, v20
	s_delay_alu instid0(VALU_DEP_1) | instskip(NEXT) | instid1(VALU_DEP_1)
	v_pk_fma_f16 v20, v53, v30, v20
	v_pk_fma_f16 v20, v54, v31, v20
	s_delay_alu instid0(VALU_DEP_1) | instskip(SKIP_1) | instid1(VALU_DEP_1)
	v_cvt_f32_f16_e32 v21, v20
	v_lshrrev_b32_e32 v20, 16, v20
	v_cvt_f32_f16_e32 v20, v20
	s_delay_alu instid0(VALU_DEP_1) | instskip(NEXT) | instid1(VALU_DEP_1)
	v_add_f32_e32 v20, v20, v21
	v_fmac_f32_e32 v34, v20, v45
	v_pk_fma_f16 v20, v55, v26, 0
	s_delay_alu instid0(VALU_DEP_1) | instskip(NEXT) | instid1(VALU_DEP_1)
	v_pk_fma_f16 v20, v56, v27, v20
	v_pk_fma_f16 v20, v57, v30, v20
	s_delay_alu instid0(VALU_DEP_1) | instskip(NEXT) | instid1(VALU_DEP_1)
	v_pk_fma_f16 v21, v58, v31, v20
	v_cvt_f32_f16_e32 v20, v21
	v_lshrrev_b32_e32 v21, 16, v21
	s_delay_alu instid0(VALU_DEP_1) | instskip(SKIP_1) | instid1(VALU_DEP_1)
	v_cvt_f32_f16_e32 v22, v21
	v_pk_fma_f16 v21, v59, v26, 0
	v_pk_fma_f16 v21, v60, v27, v21
	s_delay_alu instid0(VALU_DEP_1) | instskip(NEXT) | instid1(VALU_DEP_1)
	v_pk_fma_f16 v21, v61, v30, v21
	v_pk_fma_f16 v21, v62, v31, v21
	global_load_b128 v[60:63], v[24:25], off
	v_lshrrev_b32_e32 v23, 16, v21
	v_cvt_f32_f16_e32 v21, v21
	s_delay_alu instid0(VALU_DEP_2) | instskip(NEXT) | instid1(VALU_DEP_1)
	v_cvt_f32_f16_e32 v23, v23
	v_pk_add_f32 v[12:13], v[20:21], v[22:23]
	s_delay_alu instid0(VALU_DEP_1)
	v_pk_fma_f32 v[4:5], v[12:13], v[6:7], v[4:5]
	s_wait_loadcnt 0x0
	v_lshrrev_b32_e32 v26, 8, v60
	v_and_or_b32 v24, v60, s5, 0x64006400
	v_and_or_b32 v25, v60, s12, 0x64006400
	v_lshrrev_b32_e32 v29, 8, v61
	s_delay_alu instid0(VALU_DEP_4) | instskip(SKIP_2) | instid1(VALU_DEP_4)
	v_and_or_b32 v27, v26, s5, 0x64006400
	v_and_or_b32 v26, v26, s12, 0x64006400
	v_pk_add_f16 v24, v46, v24
	v_and_or_b32 v30, v29, s5, 0x64006400
	v_and_or_b32 v29, v29, s12, 0x64006400
	v_pk_add_f16 v59, v46, v27
	v_pk_fma_f16 v60, 0x2c00, v26, v8 op_sel_hi:[0,1,1]
	v_and_or_b32 v26, v61, s5, 0x64006400
	v_and_or_b32 v27, v61, s12, 0x64006400
	v_pk_add_f16 v57, v48, v30
	v_pk_fma_f16 v58, 0x2c00, v29, v3 op_sel_hi:[0,1,1]
	v_lshrrev_b32_e32 v29, 8, v62
	v_pk_add_f16 v55, v48, v26
	v_pk_fma_f16 v56, 0x2c00, v27, v3 op_sel_hi:[0,1,1]
	v_and_or_b32 v26, v62, s5, 0x64006400
	v_and_or_b32 v27, v62, s12, 0x64006400
	;; [unrolled: 1-line block ×4, first 2 shown]
	v_pk_fma_f16 v25, 0x2c00, v25, v8 op_sel_hi:[0,1,1]
	v_pk_add_f16 v30, v47, v26
	v_pk_fma_f16 v52, 0x2c00, v27, v10 op_sel_hi:[0,1,1]
	v_and_or_b32 v26, v63, s5, 0x64006400
	v_and_or_b32 v27, v63, s12, 0x64006400
	v_pk_fma_f16 v54, 0x2c00, v29, v10 op_sel_hi:[0,1,1]
	v_lshrrev_b32_e32 v29, 8, v63
	ds_load_2addr_b32 v[62:63], v28 offset0:14 offset1:15
	v_pk_add_f16 v51, v49, v26
	v_pk_fma_f16 v50, 0x2c00, v27, v9 op_sel_hi:[0,1,1]
	ds_load_2addr_b32 v[26:27], v28 offset0:12 offset1:13
	v_pk_add_f16 v53, v47, v31
	s_wait_dscnt 0x0
	v_pk_fma_f16 v61, v24, v26, 0
	s_delay_alu instid0(VALU_DEP_1) | instskip(NEXT) | instid1(VALU_DEP_1)
	v_pk_fma_f16 v61, v25, v27, v61
	v_pk_fma_f16 v61, v59, v62, v61
	s_delay_alu instid0(VALU_DEP_1) | instskip(NEXT) | instid1(VALU_DEP_1)
	v_pk_fma_f16 v61, v60, v63, v61
	v_cvt_f32_f16_e32 v64, v61
	v_lshrrev_b32_e32 v61, 16, v61
	s_delay_alu instid0(VALU_DEP_1) | instskip(NEXT) | instid1(VALU_DEP_1)
	v_cvt_f32_f16_e32 v61, v61
	v_add_f32_e32 v61, v61, v64
	s_delay_alu instid0(VALU_DEP_1) | instskip(SKIP_3) | instid1(VALU_DEP_3)
	v_fmac_f32_e32 v40, v61, v44
	v_pk_fma_f16 v61, v55, v26, 0
	v_and_or_b32 v31, v29, s5, 0x64006400
	v_and_or_b32 v29, v29, s12, 0x64006400
	v_pk_fma_f16 v61, v56, v27, v61
	s_delay_alu instid0(VALU_DEP_3) | instskip(NEXT) | instid1(VALU_DEP_3)
	v_pk_add_f16 v31, v49, v31
	v_pk_fma_f16 v29, 0x2c00, v29, v9 op_sel_hi:[0,1,1]
	s_delay_alu instid0(VALU_DEP_3) | instskip(NEXT) | instid1(VALU_DEP_1)
	v_pk_fma_f16 v61, v57, v62, v61
	v_pk_fma_f16 v61, v58, v63, v61
	s_delay_alu instid0(VALU_DEP_1) | instskip(SKIP_1) | instid1(VALU_DEP_1)
	v_cvt_f32_f16_e32 v64, v61
	v_lshrrev_b32_e32 v61, 16, v61
	v_cvt_f32_f16_e32 v61, v61
	s_delay_alu instid0(VALU_DEP_1) | instskip(NEXT) | instid1(VALU_DEP_1)
	v_add_f32_e32 v61, v61, v64
	v_fmac_f32_e32 v41, v61, v45
	v_pk_fma_f16 v61, v30, v26, 0
	v_pk_fma_f16 v26, v51, v26, 0
	s_delay_alu instid0(VALU_DEP_2) | instskip(NEXT) | instid1(VALU_DEP_2)
	v_pk_fma_f16 v61, v52, v27, v61
	v_pk_fma_f16 v26, v50, v27, v26
	s_delay_alu instid0(VALU_DEP_2) | instskip(NEXT) | instid1(VALU_DEP_2)
	;; [unrolled: 3-line block ×3, first 2 shown]
	v_pk_fma_f16 v61, v54, v63, v61
	v_pk_fma_f16 v26, v29, v63, v26
	ds_load_2addr_b32 v[62:63], v28 offset0:78 offset1:79
	v_cvt_f32_f16_e32 v64, v61
	v_cvt_f32_f16_e32 v27, v26
	v_lshrrev_b32_e32 v26, 16, v26
	s_delay_alu instid0(VALU_DEP_1) | instskip(NEXT) | instid1(VALU_DEP_1)
	v_cvt_f32_f16_e32 v26, v26
	v_dual_add_f32 v26, v26, v27 :: v_dual_lshrrev_b32 v61, 16, v61
	s_delay_alu instid0(VALU_DEP_1) | instskip(SKIP_2) | instid1(VALU_DEP_1)
	v_fmac_f32_e32 v38, v26, v7
	ds_load_2addr_b32 v[26:27], v28 offset0:76 offset1:77
	v_cvt_f32_f16_e32 v61, v61
	v_add_f32_e32 v61, v61, v64
	s_delay_alu instid0(VALU_DEP_1) | instskip(SKIP_2) | instid1(VALU_DEP_1)
	v_fmac_f32_e32 v39, v61, v6
	s_wait_dscnt 0x0
	v_pk_fma_f16 v61, v24, v26, 0
	v_pk_fma_f16 v61, v25, v27, v61
	s_delay_alu instid0(VALU_DEP_1) | instskip(NEXT) | instid1(VALU_DEP_1)
	v_pk_fma_f16 v61, v59, v62, v61
	v_pk_fma_f16 v61, v60, v63, v61
	s_delay_alu instid0(VALU_DEP_1) | instskip(SKIP_1) | instid1(VALU_DEP_1)
	v_cvt_f32_f16_e32 v64, v61
	v_lshrrev_b32_e32 v61, 16, v61
	v_cvt_f32_f16_e32 v61, v61
	s_delay_alu instid0(VALU_DEP_1) | instskip(NEXT) | instid1(VALU_DEP_1)
	v_add_f32_e32 v61, v61, v64
	v_fmac_f32_e32 v35, v61, v44
	v_pk_fma_f16 v61, v55, v26, 0
	s_delay_alu instid0(VALU_DEP_1) | instskip(NEXT) | instid1(VALU_DEP_1)
	v_pk_fma_f16 v61, v56, v27, v61
	v_pk_fma_f16 v61, v57, v62, v61
	s_delay_alu instid0(VALU_DEP_1) | instskip(NEXT) | instid1(VALU_DEP_1)
	v_pk_fma_f16 v61, v58, v63, v61
	v_cvt_f32_f16_e32 v64, v61
	v_lshrrev_b32_e32 v61, 16, v61
	s_delay_alu instid0(VALU_DEP_1) | instskip(NEXT) | instid1(VALU_DEP_1)
	v_cvt_f32_f16_e32 v61, v61
	v_add_f32_e32 v61, v61, v64
	s_delay_alu instid0(VALU_DEP_1) | instskip(SKIP_2) | instid1(VALU_DEP_2)
	v_fmac_f32_e32 v36, v61, v45
	v_pk_fma_f16 v61, v30, v26, 0
	v_pk_fma_f16 v26, v51, v26, 0
	;; [unrolled: 1-line block ×3, first 2 shown]
	s_delay_alu instid0(VALU_DEP_2) | instskip(NEXT) | instid1(VALU_DEP_2)
	v_pk_fma_f16 v26, v50, v27, v26
	v_pk_fma_f16 v61, v53, v62, v61
	s_delay_alu instid0(VALU_DEP_2) | instskip(NEXT) | instid1(VALU_DEP_2)
	v_pk_fma_f16 v26, v31, v62, v26
	v_pk_fma_f16 v61, v54, v63, v61
	s_delay_alu instid0(VALU_DEP_2) | instskip(NEXT) | instid1(VALU_DEP_2)
	v_pk_fma_f16 v26, v29, v63, v26
	v_cvt_f32_f16_e32 v64, v61
	s_delay_alu instid0(VALU_DEP_2) | instskip(SKIP_1) | instid1(VALU_DEP_1)
	v_cvt_f32_f16_e32 v27, v26
	v_lshrrev_b32_e32 v26, 16, v26
	v_cvt_f32_f16_e32 v26, v26
	s_delay_alu instid0(VALU_DEP_1) | instskip(NEXT) | instid1(VALU_DEP_1)
	v_dual_add_f32 v26, v26, v27 :: v_dual_lshrrev_b32 v61, 16, v61
	v_fmac_f32_e32 v33, v26, v7
	ds_load_2addr_b32 v[26:27], v28 offset0:140 offset1:141
	v_cvt_f32_f16_e32 v61, v61
	s_delay_alu instid0(VALU_DEP_1) | instskip(NEXT) | instid1(VALU_DEP_1)
	v_add_f32_e32 v61, v61, v64
	v_fmac_f32_e32 v32, v61, v6
	s_wait_dscnt 0x0
	v_pk_fma_f16 v24, v24, v26, 0
	s_delay_alu instid0(VALU_DEP_1) | instskip(SKIP_3) | instid1(VALU_DEP_1)
	v_pk_fma_f16 v61, v25, v27, v24
	ds_load_2addr_b32 v[24:25], v28 offset0:142 offset1:143
	s_wait_dscnt 0x0
	v_pk_fma_f16 v28, v59, v24, v61
	v_pk_fma_f16 v28, v60, v25, v28
	s_delay_alu instid0(VALU_DEP_1) | instskip(SKIP_1) | instid1(VALU_DEP_1)
	v_cvt_f32_f16_e32 v59, v28
	v_lshrrev_b32_e32 v28, 16, v28
	v_cvt_f32_f16_e32 v28, v28
	s_delay_alu instid0(VALU_DEP_1) | instskip(NEXT) | instid1(VALU_DEP_1)
	v_add_f32_e32 v28, v28, v59
	v_fmac_f32_e32 v11, v28, v44
	v_pk_fma_f16 v28, v55, v26, 0
	s_delay_alu instid0(VALU_DEP_1) | instskip(NEXT) | instid1(VALU_DEP_1)
	v_pk_fma_f16 v28, v56, v27, v28
	v_pk_fma_f16 v28, v57, v24, v28
	s_delay_alu instid0(VALU_DEP_1) | instskip(NEXT) | instid1(VALU_DEP_1)
	v_pk_fma_f16 v28, v58, v25, v28
	v_cvt_f32_f16_e32 v55, v28
	v_lshrrev_b32_e32 v28, 16, v28
	s_delay_alu instid0(VALU_DEP_1) | instskip(NEXT) | instid1(VALU_DEP_1)
	v_cvt_f32_f16_e32 v28, v28
	v_add_f32_e32 v28, v28, v55
	s_delay_alu instid0(VALU_DEP_1) | instskip(SKIP_2) | instid1(VALU_DEP_2)
	v_fmac_f32_e32 v34, v28, v45
	v_pk_fma_f16 v28, v30, v26, 0
	v_pk_fma_f16 v26, v51, v26, 0
	;; [unrolled: 1-line block ×3, first 2 shown]
	s_delay_alu instid0(VALU_DEP_2) | instskip(NEXT) | instid1(VALU_DEP_2)
	v_pk_fma_f16 v26, v50, v27, v26
	v_pk_fma_f16 v28, v53, v24, v28
	s_delay_alu instid0(VALU_DEP_2) | instskip(NEXT) | instid1(VALU_DEP_2)
	v_pk_fma_f16 v24, v31, v24, v26
	v_pk_fma_f16 v30, v54, v25, v28
	s_delay_alu instid0(VALU_DEP_2) | instskip(NEXT) | instid1(VALU_DEP_2)
	v_pk_fma_f16 v24, v29, v25, v24
	v_cvt_f32_f16_e32 v28, v30
	s_delay_alu instid0(VALU_DEP_2) | instskip(SKIP_1) | instid1(VALU_DEP_2)
	v_dual_lshrrev_b32 v30, 16, v30 :: v_dual_lshrrev_b32 v25, 16, v24
	v_cvt_f32_f16_e32 v29, v24
	v_cvt_f32_f16_e32 v30, v30
	s_delay_alu instid0(VALU_DEP_3) | instskip(NEXT) | instid1(VALU_DEP_1)
	v_cvt_f32_f16_e32 v31, v25
	v_pk_add_f32 v[12:13], v[28:29], v[30:31]
	s_delay_alu instid0(VALU_DEP_1)
	v_pk_fma_f32 v[4:5], v[12:13], v[6:7], v[4:5]
	s_cbranch_scc1 .LBB25_14
.LBB25_12:                              ; =>This Inner Loop Header: Depth=1
	s_cmp_lg_u32 s15, s21
	s_cbranch_scc1 .LBB25_11
; %bb.13:                               ;   in Loop: Header=BB25_12 Depth=1
	s_add_co_i32 s18, s18, 1
	s_add_co_i32 s21, s21, s17
	s_mul_i32 s13, s18, s4
	s_delay_alu instid0(SALU_CYCLE_1) | instskip(SKIP_2) | instid1(SALU_CYCLE_1)
	s_ashr_i32 s22, s13, 31
	v_add_nc_u32_e32 v6, s13, v2
	s_lshr_b32 s22, s22, 29
	s_add_co_i32 s22, s13, s22
	s_delay_alu instid0(SALU_CYCLE_1) | instskip(NEXT) | instid1(SALU_CYCLE_1)
	s_ashr_i32 s22, s22, 3
	v_add_nc_u32_e32 v3, s22, v37
	global_load_b32 v3, v3, s[2:3] scale_offset
	s_wait_loadcnt 0x0
	v_dual_ashrrev_i32 v7, 31, v6 :: v_dual_lshrrev_b32 v3, v42, v3
	s_delay_alu instid0(VALU_DEP_1) | instskip(NEXT) | instid1(VALU_DEP_2)
	v_lshl_add_u64 v[6:7], v[6:7], 1, s[8:9]
	v_dual_lshrrev_b32 v8, 4, v3 :: v_dual_lshrrev_b32 v9, 12, v3
	global_load_b64 v[6:7], v[6:7], off
	v_dual_lshrrev_b32 v10, 8, v3 :: v_dual_bitop2_b32 v3, 15, v3 bitop3:0x40
	s_delay_alu instid0(VALU_DEP_1) | instskip(NEXT) | instid1(VALU_DEP_1)
	v_dual_add_nc_u32 v3, v3, v43 :: v_dual_bitop2_b32 v8, 15, v8 bitop3:0x40
	v_dual_add_nc_u32 v8, v8, v43 :: v_dual_bitop2_b32 v9, 15, v9 bitop3:0x40
	s_delay_alu instid0(VALU_DEP_3) | instskip(NEXT) | instid1(VALU_DEP_3)
	v_and_b32_e32 v10, 15, v10
	v_cvt_f32_ubyte0_e32 v12, v3
	s_delay_alu instid0(VALU_DEP_3) | instskip(NEXT) | instid1(VALU_DEP_4)
	v_add_nc_u32_e32 v9, v9, v43
	v_cvt_f32_ubyte0_e32 v13, v8
	s_delay_alu instid0(VALU_DEP_4)
	v_add_nc_u32_e32 v10, v10, v43
	v_mad_u32_u24 v46, v3, s20, 0xe400e400
	v_mad_u32_u24 v48, v8, s20, 0xe400e400
	v_cvt_f32_ubyte0_e32 v14, v9
	v_cvt_pk_f16_f32 v12, v12, v13
	v_mad_u32_u24 v49, v9, s20, 0xe400e400
	s_delay_alu instid0(VALU_DEP_2) | instskip(NEXT) | instid1(VALU_DEP_1)
	v_pk_add_f16 v12, 0xd400, v12 op_sel_hi:[0,1] neg_lo:[0,1] neg_hi:[0,1]
	v_and_b32_e32 v8, 0xffff, v12
	s_delay_alu instid0(VALU_DEP_1)
	v_mul_u32_u24_e32 v8, 0x10001, v8
	s_wait_loadcnt 0x0
	v_lshrrev_b32_e32 v16, 16, v6
	v_cvt_f32_ubyte0_e32 v15, v10
	v_lshrrev_b32_e32 v17, 16, v7
	v_mad_u32_u24 v47, v10, s20, 0xe400e400
	v_lshrrev_b32_e32 v10, 16, v12
	v_cvt_f32_f16_e32 v44, v6
	v_cvt_pk_f16_f32 v13, v15, v14
	v_cvt_f32_f16_e32 v6, v7
	v_cvt_f32_f16_e32 v45, v16
	;; [unrolled: 1-line block ×3, first 2 shown]
	s_delay_alu instid0(VALU_DEP_4) | instskip(NEXT) | instid1(VALU_DEP_1)
	v_pk_add_f16 v3, 0xd400, v13 op_sel_hi:[0,1] neg_lo:[0,1] neg_hi:[0,1]
	v_and_b32_e32 v12, 0xffff, v3
	v_lshrrev_b32_e32 v13, 16, v3
	v_mul_u32_u24_e32 v3, 0x10001, v10
	s_delay_alu instid0(VALU_DEP_3) | instskip(NEXT) | instid1(VALU_DEP_3)
	v_mul_u32_u24_e32 v10, 0x10001, v12
	v_mul_u32_u24_e32 v9, 0x10001, v13
	s_branch .LBB25_11
.LBB25_14:
	v_mad_u32 v0, s14, s4, v2
	s_mov_b32 s0, 0
	s_delay_alu instid0(VALU_DEP_1) | instskip(SKIP_1) | instid1(VALU_DEP_1)
	v_ashrrev_i32_e32 v1, 31, v0
	s_wait_kmcnt 0x0
	v_lshl_add_u64 v[2:3], v[0:1], 1, s[10:11]
	v_cvt_pk_f16_f32 v1, v40, v41
	global_load_b32 v7, v[2:3], off
.LBB25_15:                              ; =>This Inner Loop Header: Depth=1
	s_wait_loadcnt 0x0
	v_pk_add_f16 v6, v1, v7
	global_atomic_cmpswap_b32 v6, v[2:3], v[6:7], off th:TH_ATOMIC_RETURN scope:SCOPE_DEV
	s_wait_loadcnt 0x0
	v_cmp_eq_u32_e32 vcc_lo, v7, v6
	v_mov_b32_e32 v7, v6
	s_or_b32 s0, vcc_lo, s0
	s_delay_alu instid0(SALU_CYCLE_1)
	s_and_not1_b32 exec_lo, exec_lo, s0
	s_cbranch_execnz .LBB25_15
; %bb.16:
	s_or_b32 exec_lo, exec_lo, s0
	global_load_b32 v7, v[2:3], off offset:4
	v_cvt_pk_f16_f32 v1, v39, v38
	s_mov_b32 s0, 0
.LBB25_17:                              ; =>This Inner Loop Header: Depth=1
	s_wait_loadcnt 0x0
	s_delay_alu instid0(VALU_DEP_1)
	v_pk_add_f16 v6, v1, v7
	global_atomic_cmpswap_b32 v6, v[2:3], v[6:7], off offset:4 th:TH_ATOMIC_RETURN scope:SCOPE_DEV
	s_wait_loadcnt 0x0
	v_cmp_eq_u32_e32 vcc_lo, v7, v6
	v_mov_b32_e32 v7, v6
	s_or_b32 s0, vcc_lo, s0
	s_delay_alu instid0(SALU_CYCLE_1)
	s_and_not1_b32 exec_lo, exec_lo, s0
	s_cbranch_execnz .LBB25_17
; %bb.18:
	s_or_b32 exec_lo, exec_lo, s0
	v_add_nc_u32_e32 v0, s4, v0
	s_mov_b32 s0, 0
	s_delay_alu instid0(VALU_DEP_1) | instskip(NEXT) | instid1(VALU_DEP_1)
	v_ashrrev_i32_e32 v1, 31, v0
	v_lshl_add_u64 v[2:3], v[0:1], 1, s[10:11]
	v_cvt_pk_f16_f32 v1, v35, v36
	global_load_b32 v7, v[2:3], off
.LBB25_19:                              ; =>This Inner Loop Header: Depth=1
	s_wait_loadcnt 0x0
	v_pk_add_f16 v6, v1, v7
	global_atomic_cmpswap_b32 v6, v[2:3], v[6:7], off th:TH_ATOMIC_RETURN scope:SCOPE_DEV
	s_wait_loadcnt 0x0
	v_cmp_eq_u32_e32 vcc_lo, v7, v6
	v_mov_b32_e32 v7, v6
	s_or_b32 s0, vcc_lo, s0
	s_delay_alu instid0(SALU_CYCLE_1)
	s_and_not1_b32 exec_lo, exec_lo, s0
	s_cbranch_execnz .LBB25_19
; %bb.20:
	s_or_b32 exec_lo, exec_lo, s0
	global_load_b32 v7, v[2:3], off offset:4
	v_cvt_pk_f16_f32 v1, v32, v33
	s_mov_b32 s0, 0
.LBB25_21:                              ; =>This Inner Loop Header: Depth=1
	s_wait_loadcnt 0x0
	s_delay_alu instid0(VALU_DEP_1)
	v_pk_add_f16 v6, v1, v7
	global_atomic_cmpswap_b32 v6, v[2:3], v[6:7], off offset:4 th:TH_ATOMIC_RETURN scope:SCOPE_DEV
	s_wait_loadcnt 0x0
	v_cmp_eq_u32_e32 vcc_lo, v7, v6
	v_mov_b32_e32 v7, v6
	s_or_b32 s0, vcc_lo, s0
	s_delay_alu instid0(SALU_CYCLE_1)
	s_and_not1_b32 exec_lo, exec_lo, s0
	s_cbranch_execnz .LBB25_21
; %bb.22:
	s_or_b32 exec_lo, exec_lo, s0
	v_add_nc_u32_e32 v0, s4, v0
	v_cvt_pk_f16_f32 v6, v11, v34
	s_mov_b32 s0, 0
	s_delay_alu instid0(VALU_DEP_2) | instskip(NEXT) | instid1(VALU_DEP_1)
	v_ashrrev_i32_e32 v1, 31, v0
	v_lshl_add_u64 v[0:1], v[0:1], 1, s[10:11]
	global_load_b32 v3, v[0:1], off
.LBB25_23:                              ; =>This Inner Loop Header: Depth=1
	s_wait_loadcnt 0x0
	v_pk_add_f16 v2, v6, v3
	global_atomic_cmpswap_b32 v2, v[0:1], v[2:3], off th:TH_ATOMIC_RETURN scope:SCOPE_DEV
	s_wait_loadcnt 0x0
	v_cmp_eq_u32_e32 vcc_lo, v3, v2
	v_mov_b32_e32 v3, v2
	s_or_b32 s0, vcc_lo, s0
	s_delay_alu instid0(SALU_CYCLE_1)
	s_and_not1_b32 exec_lo, exec_lo, s0
	s_cbranch_execnz .LBB25_23
; %bb.24:
	s_or_b32 exec_lo, exec_lo, s0
	global_load_b32 v3, v[0:1], off offset:4
	v_cvt_pk_f16_f32 v4, v4, v5
	s_mov_b32 s0, 0
.LBB25_25:                              ; =>This Inner Loop Header: Depth=1
	s_wait_loadcnt 0x0
	s_delay_alu instid0(VALU_DEP_1)
	v_pk_add_f16 v2, v4, v3
	global_atomic_cmpswap_b32 v2, v[0:1], v[2:3], off offset:4 th:TH_ATOMIC_RETURN scope:SCOPE_DEV
	s_wait_loadcnt 0x0
	v_cmp_eq_u32_e32 vcc_lo, v3, v2
	v_mov_b32_e32 v3, v2
	s_or_b32 s0, vcc_lo, s0
	s_delay_alu instid0(SALU_CYCLE_1)
	s_and_not1_b32 exec_lo, exec_lo, s0
	s_cbranch_execnz .LBB25_25
.LBB25_26:
	s_endpgm
	.section	.rodata,"a",@progbits
	.p2align	6, 0x0
	.amdhsa_kernel _ZN4vllm4gptq33gemm_half_q_half_gptq_4bit_kernelILb1ELi3EEEvPK6__halfPKjS6_S4_PS2_iiiibPKi
		.amdhsa_group_segment_fixed_size 768
		.amdhsa_private_segment_fixed_size 0
		.amdhsa_kernarg_size 72
		.amdhsa_user_sgpr_count 2
		.amdhsa_user_sgpr_dispatch_ptr 0
		.amdhsa_user_sgpr_queue_ptr 0
		.amdhsa_user_sgpr_kernarg_segment_ptr 1
		.amdhsa_user_sgpr_dispatch_id 0
		.amdhsa_user_sgpr_kernarg_preload_length 0
		.amdhsa_user_sgpr_kernarg_preload_offset 0
		.amdhsa_user_sgpr_private_segment_size 0
		.amdhsa_wavefront_size32 1
		.amdhsa_uses_dynamic_stack 0
		.amdhsa_enable_private_segment 0
		.amdhsa_system_sgpr_workgroup_id_x 1
		.amdhsa_system_sgpr_workgroup_id_y 1
		.amdhsa_system_sgpr_workgroup_id_z 1
		.amdhsa_system_sgpr_workgroup_info 0
		.amdhsa_system_vgpr_workitem_id 0
		.amdhsa_next_free_vgpr 65
		.amdhsa_next_free_sgpr 23
		.amdhsa_named_barrier_count 0
		.amdhsa_reserve_vcc 1
		.amdhsa_float_round_mode_32 0
		.amdhsa_float_round_mode_16_64 0
		.amdhsa_float_denorm_mode_32 3
		.amdhsa_float_denorm_mode_16_64 3
		.amdhsa_fp16_overflow 0
		.amdhsa_memory_ordered 1
		.amdhsa_forward_progress 1
		.amdhsa_inst_pref_size 59
		.amdhsa_round_robin_scheduling 0
		.amdhsa_exception_fp_ieee_invalid_op 0
		.amdhsa_exception_fp_denorm_src 0
		.amdhsa_exception_fp_ieee_div_zero 0
		.amdhsa_exception_fp_ieee_overflow 0
		.amdhsa_exception_fp_ieee_underflow 0
		.amdhsa_exception_fp_ieee_inexact 0
		.amdhsa_exception_int_div_zero 0
	.end_amdhsa_kernel
	.section	.text._ZN4vllm4gptq33gemm_half_q_half_gptq_4bit_kernelILb1ELi3EEEvPK6__halfPKjS6_S4_PS2_iiiibPKi,"axG",@progbits,_ZN4vllm4gptq33gemm_half_q_half_gptq_4bit_kernelILb1ELi3EEEvPK6__halfPKjS6_S4_PS2_iiiibPKi,comdat
.Lfunc_end25:
	.size	_ZN4vllm4gptq33gemm_half_q_half_gptq_4bit_kernelILb1ELi3EEEvPK6__halfPKjS6_S4_PS2_iiiibPKi, .Lfunc_end25-_ZN4vllm4gptq33gemm_half_q_half_gptq_4bit_kernelILb1ELi3EEEvPK6__halfPKjS6_S4_PS2_iiiibPKi
                                        ; -- End function
	.set _ZN4vllm4gptq33gemm_half_q_half_gptq_4bit_kernelILb1ELi3EEEvPK6__halfPKjS6_S4_PS2_iiiibPKi.num_vgpr, 65
	.set _ZN4vllm4gptq33gemm_half_q_half_gptq_4bit_kernelILb1ELi3EEEvPK6__halfPKjS6_S4_PS2_iiiibPKi.num_agpr, 0
	.set _ZN4vllm4gptq33gemm_half_q_half_gptq_4bit_kernelILb1ELi3EEEvPK6__halfPKjS6_S4_PS2_iiiibPKi.numbered_sgpr, 23
	.set _ZN4vllm4gptq33gemm_half_q_half_gptq_4bit_kernelILb1ELi3EEEvPK6__halfPKjS6_S4_PS2_iiiibPKi.num_named_barrier, 0
	.set _ZN4vllm4gptq33gemm_half_q_half_gptq_4bit_kernelILb1ELi3EEEvPK6__halfPKjS6_S4_PS2_iiiibPKi.private_seg_size, 0
	.set _ZN4vllm4gptq33gemm_half_q_half_gptq_4bit_kernelILb1ELi3EEEvPK6__halfPKjS6_S4_PS2_iiiibPKi.uses_vcc, 1
	.set _ZN4vllm4gptq33gemm_half_q_half_gptq_4bit_kernelILb1ELi3EEEvPK6__halfPKjS6_S4_PS2_iiiibPKi.uses_flat_scratch, 0
	.set _ZN4vllm4gptq33gemm_half_q_half_gptq_4bit_kernelILb1ELi3EEEvPK6__halfPKjS6_S4_PS2_iiiibPKi.has_dyn_sized_stack, 0
	.set _ZN4vllm4gptq33gemm_half_q_half_gptq_4bit_kernelILb1ELi3EEEvPK6__halfPKjS6_S4_PS2_iiiibPKi.has_recursion, 0
	.set _ZN4vllm4gptq33gemm_half_q_half_gptq_4bit_kernelILb1ELi3EEEvPK6__halfPKjS6_S4_PS2_iiiibPKi.has_indirect_call, 0
	.section	.AMDGPU.csdata,"",@progbits
; Kernel info:
; codeLenInByte = 7508
; TotalNumSgprs: 25
; NumVgprs: 65
; ScratchSize: 0
; MemoryBound: 0
; FloatMode: 240
; IeeeMode: 1
; LDSByteSize: 768 bytes/workgroup (compile time only)
; SGPRBlocks: 0
; VGPRBlocks: 4
; NumSGPRsForWavesPerEU: 25
; NumVGPRsForWavesPerEU: 65
; NamedBarCnt: 0
; Occupancy: 12
; WaveLimiterHint : 0
; COMPUTE_PGM_RSRC2:SCRATCH_EN: 0
; COMPUTE_PGM_RSRC2:USER_SGPR: 2
; COMPUTE_PGM_RSRC2:TRAP_HANDLER: 0
; COMPUTE_PGM_RSRC2:TGID_X_EN: 1
; COMPUTE_PGM_RSRC2:TGID_Y_EN: 1
; COMPUTE_PGM_RSRC2:TGID_Z_EN: 1
; COMPUTE_PGM_RSRC2:TIDIG_COMP_CNT: 0
	.section	.text._ZN4vllm4gptq33gemm_half_q_half_gptq_8bit_kernelILb1ELi3EEEvPK6__halfPKjS6_S4_PS2_iiiibPKi,"axG",@progbits,_ZN4vllm4gptq33gemm_half_q_half_gptq_8bit_kernelILb1ELi3EEEvPK6__halfPKjS6_S4_PS2_iiiibPKi,comdat
	.protected	_ZN4vllm4gptq33gemm_half_q_half_gptq_8bit_kernelILb1ELi3EEEvPK6__halfPKjS6_S4_PS2_iiiibPKi ; -- Begin function _ZN4vllm4gptq33gemm_half_q_half_gptq_8bit_kernelILb1ELi3EEEvPK6__halfPKjS6_S4_PS2_iiiibPKi
	.globl	_ZN4vllm4gptq33gemm_half_q_half_gptq_8bit_kernelILb1ELi3EEEvPK6__halfPKjS6_S4_PS2_iiiibPKi
	.p2align	8
	.type	_ZN4vllm4gptq33gemm_half_q_half_gptq_8bit_kernelILb1ELi3EEEvPK6__halfPKjS6_S4_PS2_iiiibPKi,@function
_ZN4vllm4gptq33gemm_half_q_half_gptq_8bit_kernelILb1ELi3EEEvPK6__halfPKjS6_S4_PS2_iiiibPKi: ; @_ZN4vllm4gptq33gemm_half_q_half_gptq_8bit_kernelILb1ELi3EEEvPK6__halfPKjS6_S4_PS2_iiiibPKi
; %bb.0:
	s_load_b128 s[4:7], s[0:1], 0x2c
	s_bfe_u32 s2, ttmp6, 0x40014
	s_lshr_b32 s3, ttmp7, 16
	s_add_co_i32 s2, s2, 1
	s_bfe_u32 s9, ttmp6, 0x40010
	s_mul_i32 s2, s3, s2
	s_bfe_u32 s8, ttmp6, 0x40008
	s_and_b32 s10, ttmp7, 0xffff
	s_add_co_i32 s9, s9, 1
	s_add_co_i32 s8, s8, s2
	s_mul_i32 s2, s10, s9
	s_bfe_u32 s9, ttmp6, 0x40004
	s_getreg_b32 s17, hwreg(HW_REG_IB_STS2, 6, 4)
	s_add_co_i32 s9, s9, s2
	s_cmp_eq_u32 s17, 0
	s_mov_b32 s12, exec_lo
	s_cselect_b32 s2, s3, s8
	s_cselect_b32 s14, s10, s9
	s_lshl_b32 s15, s2, 7
	s_mul_i32 s14, s14, 3
	s_add_co_i32 s2, s15, 0x80
	s_delay_alu instid0(SALU_CYCLE_1) | instskip(SKIP_3) | instid1(VALU_DEP_1)
	v_cvt_f64_u32_e32 v[2:3], s2
	s_load_b64 s[2:3], s[0:1], 0x10
	s_wait_kmcnt 0x0
	v_cvt_f64_i32_e32 v[4:5], s5
	v_min_num_f64_e32 v[2:3], v[2:3], v[4:5]
	s_delay_alu instid0(VALU_DEP_1) | instskip(SKIP_1) | instid1(VALU_DEP_2)
	v_cvt_i32_f64_e32 v1, v[2:3]
	v_add_nc_u32_e32 v2, s15, v0
	v_readfirstlane_b32 s16, v1
	s_delay_alu instid0(VALU_DEP_2)
	v_cmpx_lt_u32_e64 v2, v1
	s_cbranch_execz .LBB26_8
; %bb.1:
	s_clause 0x1
	s_load_b64 s[10:11], s[0:1], 0x40
	s_load_b64 s[8:9], s[0:1], 0x0
	v_mov_b32_e32 v3, 0
	s_delay_alu instid0(VALU_DEP_1)
	v_mov_b64_e32 v[6:7], v[2:3]
	s_wait_kmcnt 0x0
	v_lshl_add_u64 v[4:5], v[2:3], 2, s[10:11]
	s_cmp_lg_u64 s[10:11], 0
	s_cselect_b32 s13, -1, 0
	s_cmp_eq_u64 s[10:11], 0
	s_cbranch_scc1 .LBB26_3
; %bb.2:
	global_load_b32 v6, v[4:5], off
	s_wait_loadcnt 0x0
	v_ashrrev_i32_e32 v7, 31, v6
.LBB26_3:
	s_mul_i32 s10, s14, s5
	v_cndmask_b32_e64 v8, 0, 1, s13
	s_ashr_i32 s11, s10, 31
	v_lshlrev_b32_e32 v1, 1, v0
	s_lshl_b64 s[18:19], s[10:11], 1
	s_and_not1_b32 vcc_lo, exec_lo, s13
	s_add_nc_u64 s[18:19], s[8:9], s[18:19]
	s_delay_alu instid0(SALU_CYCLE_1)
	v_lshl_add_u64 v[6:7], v[6:7], 1, s[18:19]
	global_load_u16 v9, v[6:7], off
	s_wait_xcnt 0x0
	v_mov_b64_e32 v[6:7], v[2:3]
	s_wait_loadcnt 0x0
	ds_store_b16 v1, v9
	s_cbranch_vccnz .LBB26_5
; %bb.4:
	global_load_b32 v6, v[4:5], off
	s_wait_loadcnt 0x0
	v_ashrrev_i32_e32 v7, 31, v6
.LBB26_5:
	s_add_co_i32 s10, s10, s5
	v_cmp_ne_u32_e32 vcc_lo, 1, v8
	s_ashr_i32 s11, s10, 31
	s_delay_alu instid0(SALU_CYCLE_1) | instskip(SKIP_2) | instid1(SALU_CYCLE_1)
	s_lshl_b64 s[18:19], s[10:11], 1
	s_and_b32 vcc_lo, exec_lo, vcc_lo
	s_add_nc_u64 s[18:19], s[8:9], s[18:19]
	v_lshl_add_u64 v[6:7], v[6:7], 1, s[18:19]
	global_load_u16 v6, v[6:7], off
	s_wait_loadcnt 0x0
	ds_store_b16 v1, v6 offset:256
	s_cbranch_vccnz .LBB26_7
; %bb.6:
	global_load_b32 v2, v[4:5], off
	s_wait_loadcnt 0x0
	v_ashrrev_i32_e32 v3, 31, v2
.LBB26_7:
	s_add_co_i32 s10, s10, s5
	s_delay_alu instid0(SALU_CYCLE_1) | instskip(NEXT) | instid1(SALU_CYCLE_1)
	s_ashr_i32 s11, s10, 31
	s_lshl_b64 s[10:11], s[10:11], 1
	s_delay_alu instid0(SALU_CYCLE_1) | instskip(NEXT) | instid1(SALU_CYCLE_1)
	s_add_nc_u64 s[8:9], s[8:9], s[10:11]
	v_lshl_add_u64 v[2:3], v[2:3], 1, s[8:9]
	global_load_u16 v2, v[2:3], off
	s_wait_loadcnt 0x0
	ds_store_b16 v1, v2 offset:512
.LBB26_8:
	s_or_b32 exec_lo, exec_lo, s12
	s_clause 0x1
	s_load_b64 s[12:13], s[0:1], 0x8
	s_load_b128 s[8:11], s[0:1], 0x18
	s_wait_xcnt 0x0
	s_bfe_u32 s0, ttmp6, 0x4000c
	s_and_b32 s1, ttmp6, 15
	s_add_co_i32 s0, s0, 1
	v_lshlrev_b32_e32 v0, 2, v0
	s_mul_i32 s0, ttmp9, s0
	s_delay_alu instid0(SALU_CYCLE_1)
	s_add_co_i32 s1, s1, s0
	s_cmp_eq_u32 s17, 0
	s_cselect_b32 s0, ttmp9, s1
	s_mov_b32 s1, 0
	v_lshl_add_u32 v16, s0, 9, v0
	s_mov_b32 s0, exec_lo
	s_delay_alu instid0(VALU_DEP_1)
	v_cmpx_gt_i32_e64 s4, v16
	s_cbranch_execz .LBB26_26
; %bb.9:
	s_abs_i32 s17, s6
	v_dual_mov_b32 v15, 0 :: v_dual_mov_b32 v14, 0
	s_cvt_f32_u32 s0, s17
	v_dual_mov_b32 v23, 0 :: v_dual_mov_b32 v22, 0
	v_dual_mov_b32 v36, 0 :: v_dual_mov_b32 v34, 0
	s_delay_alu instid0(SALU_CYCLE_1)
	v_rcp_iflag_f32_e32 v0, s0
	s_cmp_ge_i32 s15, s16
	s_wait_dscnt 0x0
	s_barrier_signal -1
	s_barrier_wait -1
	v_nop
	s_delay_alu instid0(TRANS32_DEP_1)
	v_readfirstlane_b32 s0, v0
	s_cbranch_scc1 .LBB26_14
; %bb.10:
	s_mul_f32 s0, s0, 0x4f7ffffe
	s_ashr_i32 s6, s6, 31
	v_dual_mov_b32 v22, 0 :: v_dual_ashrrev_i32 v17, 31, v16
	s_delay_alu instid0(SALU_CYCLE_1) | instskip(SKIP_2) | instid1(SALU_CYCLE_1)
	s_cvt_u32_f32 s18, s0
	s_sub_co_i32 s0, 0, s17
	v_dual_mov_b32 v23, 0 :: v_dual_mov_b32 v14, 0
	s_mul_i32 s19, s0, s18
	s_abs_i32 s0, s5
	s_mul_hi_u32 s20, s18, s19
	s_mov_b32 s19, s1
	s_add_co_i32 s18, s18, s20
	s_ashr_i32 s5, s5, 31
	s_mul_u64 s[18:19], s[0:1], s[18:19]
	s_xor_b32 s5, s5, s6
	s_mul_i32 s18, s19, s17
	s_add_co_i32 s6, s19, 1
	s_sub_co_i32 s0, s0, s18
	v_mov_b32_e32 v36, 0
	s_sub_co_i32 s18, s0, s17
	s_cmp_ge_u32 s0, s17
	v_mov_b32_e32 v34, 0
	s_cselect_b32 s6, s6, s19
	s_cselect_b32 s0, s18, s0
	s_add_co_i32 s18, s6, 1
	s_cmp_ge_u32 s0, s17
	v_mov_b32_e32 v15, 0
	s_cselect_b32 s0, s18, s6
	s_delay_alu instid0(SALU_CYCLE_1) | instskip(NEXT) | instid1(SALU_CYCLE_1)
	s_xor_b32 s0, s0, s5
	s_sub_co_i32 s0, s0, s5
	s_bitcmp1_b32 s7, 0
	s_cvt_f32_u32 s5, s0
	s_cselect_b32 s6, -1, 0
	s_sub_co_i32 s7, 0, s0
	s_xor_b32 s18, s6, -1
	v_rcp_iflag_f32_e32 v0, s5
	v_cndmask_b32_e64 v25, 0, 1, s18
	s_delay_alu instid0(TRANS32_DEP_1) | instskip(SKIP_1) | instid1(SALU_CYCLE_3)
	v_readfirstlane_b32 s5, v0
	s_mul_f32 s5, s5, 0x4f7ffffe
	s_cvt_u32_f32 s5, s5
	s_delay_alu instid0(SALU_CYCLE_3) | instskip(NEXT) | instid1(SALU_CYCLE_1)
	s_mul_i32 s7, s7, s5
	s_mul_hi_u32 s7, s5, s7
	s_delay_alu instid0(SALU_CYCLE_1) | instskip(NEXT) | instid1(SALU_CYCLE_1)
	s_add_co_i32 s5, s5, s7
	s_mul_hi_u32 s5, s15, s5
	s_delay_alu instid0(SALU_CYCLE_1) | instskip(NEXT) | instid1(SALU_CYCLE_1)
	s_mul_i32 s7, s5, s0
	s_sub_co_i32 s6, s15, s7
	s_add_co_i32 s7, s5, 1
	s_sub_co_i32 s17, s6, s0
	s_cmp_ge_u32 s6, s0
	s_cselect_b32 s5, s7, s5
	s_cselect_b32 s6, s17, s6
	s_add_co_i32 s7, s5, 1
	s_cmp_ge_u32 s6, s0
	s_cselect_b32 s17, s7, s5
	s_add_co_i32 s18, s0, s15
	s_mul_i32 s5, s17, s4
	s_delay_alu instid0(SALU_CYCLE_1) | instskip(SKIP_1) | instid1(SALU_CYCLE_1)
	v_dual_ashrrev_i32 v24, 2, v16 :: v_dual_add_nc_u32 v0, s5, v16
	s_ashr_i32 s6, s5, 31
	s_lshr_b32 s6, s6, 30
	s_delay_alu instid0(SALU_CYCLE_1) | instskip(NEXT) | instid1(VALU_DEP_1)
	s_add_co_i32 s6, s5, s6
	v_ashrrev_i32_e32 v1, 31, v0
	s_ashr_i32 s6, s6, 2
	s_lshr_b32 s5, s15, 2
	v_add_nc_u32_e32 v2, s6, v24
	s_mul_i32 s6, s4, s5
	s_wait_kmcnt 0x0
	v_lshl_add_u64 v[0:1], v[0:1], 1, s[8:9]
	s_ashr_i32 s7, s6, 31
	s_ashr_i32 s5, s4, 31
	global_load_b32 v2, v2, s[2:3] scale_offset
	s_lshl_b64 s[6:7], s[6:7], 2
	global_load_b64 v[18:19], v[0:1], off
	s_add_nc_u64 s[6:7], s[12:13], s[6:7]
	s_lshl_b64 s[12:13], s[4:5], 2
	v_lshl_add_u64 v[20:21], v[16:17], 2, s[6:7]
	s_lshl_b64 s[6:7], s[4:5], 5
	s_wait_loadcnt 0x1
	v_and_b32_e32 v17, 0xff, v2
	v_bfe_u32 v26, v2, 8, 8
	v_bfe_u32 v27, v2, 16, 8
	v_lshrrev_b32_e32 v28, 24, v2
	s_branch .LBB26_12
.LBB26_11:                              ;   in Loop: Header=BB26_12 Depth=1
	global_load_b128 v[0:3], v[20:21], off
	v_add_nc_u64_e32 v[12:13], s[12:13], v[20:21]
	v_dual_add_nc_u32 v33, v17, v25 :: v_dual_add_nc_u32 v32, v26, v25
	v_dual_add_nc_u32 v31, v27, v25 :: v_dual_add_nc_u32 v30, v28, v25
	s_add_co_i32 s15, s15, 32
	v_mov_b32_e32 v29, s1
	global_load_b128 v[4:7], v[12:13], off
	s_wait_xcnt 0x0
	v_add_nc_u64_e32 v[12:13], s[12:13], v[12:13]
	v_add_nc_u64_e32 v[20:21], s[6:7], v[20:21]
	s_add_co_i32 s1, s1, 64
	s_cmp_ge_i32 s15, s16
	s_wait_loadcnt 0x1
	v_and_b32_e32 v8, 0xff, v0
	s_delay_alu instid0(VALU_DEP_1) | instskip(NEXT) | instid1(VALU_DEP_1)
	v_sub_nc_u32_e32 v8, v8, v33
	v_cvt_f32_i32_e32 v8, v8
	s_delay_alu instid0(VALU_DEP_1) | instskip(SKIP_1) | instid1(VALU_DEP_1)
	v_cvt_f16_f32_e32 v35, v8
	v_bfe_u32 v8, v0, 8, 8
	v_sub_nc_u32_e32 v8, v8, v33
	s_delay_alu instid0(VALU_DEP_1) | instskip(NEXT) | instid1(VALU_DEP_1)
	v_cvt_f32_i32_e32 v8, v8
	v_cvt_f16_f32_e32 v37, v8
	v_bfe_u32 v8, v0, 16, 8
	s_delay_alu instid0(VALU_DEP_1) | instskip(NEXT) | instid1(VALU_DEP_1)
	v_dual_lshrrev_b32 v0, 24, v0 :: v_dual_sub_nc_u32 v8, v8, v33
	v_sub_nc_u32_e32 v0, v0, v33
	s_delay_alu instid0(VALU_DEP_1) | instskip(NEXT) | instid1(VALU_DEP_1)
	v_cvt_f32_i32_e32 v0, v0
	v_cvt_f16_f32_e32 v39, v0
	s_wait_loadcnt 0x0
	v_and_b32_e32 v0, 0xff, v4
	s_delay_alu instid0(VALU_DEP_1) | instskip(NEXT) | instid1(VALU_DEP_1)
	v_sub_nc_u32_e32 v0, v0, v33
	v_cvt_f32_i32_e32 v0, v0
	s_delay_alu instid0(VALU_DEP_1) | instskip(SKIP_1) | instid1(VALU_DEP_1)
	v_cvt_f16_f32_e32 v40, v0
	v_bfe_u32 v0, v4, 8, 8
	v_sub_nc_u32_e32 v0, v0, v33
	s_delay_alu instid0(VALU_DEP_1) | instskip(NEXT) | instid1(VALU_DEP_1)
	v_cvt_f32_i32_e32 v0, v0
	v_cvt_f16_f32_e32 v41, v0
	v_bfe_u32 v0, v4, 16, 8
	s_delay_alu instid0(VALU_DEP_1) | instskip(NEXT) | instid1(VALU_DEP_1)
	v_sub_nc_u32_e32 v0, v0, v33
	v_cvt_f32_i32_e32 v0, v0
	s_delay_alu instid0(VALU_DEP_1) | instskip(SKIP_1) | instid1(VALU_DEP_1)
	v_cvt_f16_f32_e32 v42, v0
	v_lshrrev_b32_e32 v0, 24, v4
	v_sub_nc_u32_e32 v0, v0, v33
	s_delay_alu instid0(VALU_DEP_1) | instskip(NEXT) | instid1(VALU_DEP_1)
	v_cvt_f32_i32_e32 v0, v0
	v_cvt_f16_f32_e32 v43, v0
	v_and_b32_e32 v0, 0xff, v1
	s_delay_alu instid0(VALU_DEP_1) | instskip(NEXT) | instid1(VALU_DEP_1)
	v_sub_nc_u32_e32 v0, v0, v32
	v_cvt_f32_i32_e32 v0, v0
	s_delay_alu instid0(VALU_DEP_1) | instskip(SKIP_1) | instid1(VALU_DEP_1)
	v_cvt_f16_f32_e32 v44, v0
	v_bfe_u32 v0, v1, 8, 8
	v_sub_nc_u32_e32 v0, v0, v32
	s_delay_alu instid0(VALU_DEP_1) | instskip(NEXT) | instid1(VALU_DEP_1)
	v_cvt_f32_i32_e32 v0, v0
	v_cvt_f16_f32_e32 v45, v0
	v_bfe_u32 v0, v1, 16, 8
	s_delay_alu instid0(VALU_DEP_1) | instskip(NEXT) | instid1(VALU_DEP_1)
	v_sub_nc_u32_e32 v0, v0, v32
	v_cvt_f32_i32_e32 v0, v0
	s_delay_alu instid0(VALU_DEP_1) | instskip(SKIP_1) | instid1(VALU_DEP_1)
	v_cvt_f16_f32_e32 v46, v0
	v_lshrrev_b32_e32 v0, 24, v1
	v_sub_nc_u32_e32 v0, v0, v32
	s_delay_alu instid0(VALU_DEP_1) | instskip(NEXT) | instid1(VALU_DEP_1)
	v_cvt_f32_i32_e32 v0, v0
	v_cvt_f16_f32_e32 v47, v0
	;; [unrolled: 22-line block ×3, first 2 shown]
	v_and_b32_e32 v0, 0xff, v2
	s_delay_alu instid0(VALU_DEP_1) | instskip(NEXT) | instid1(VALU_DEP_1)
	v_sub_nc_u32_e32 v0, v0, v31
	v_cvt_f32_i32_e32 v0, v0
	s_delay_alu instid0(VALU_DEP_1) | instskip(SKIP_1) | instid1(VALU_DEP_1)
	v_cvt_f16_f32_e32 v52, v0
	v_bfe_u32 v0, v2, 8, 8
	v_sub_nc_u32_e32 v0, v0, v31
	s_delay_alu instid0(VALU_DEP_1) | instskip(NEXT) | instid1(VALU_DEP_1)
	v_cvt_f32_i32_e32 v0, v0
	v_cvt_f16_f32_e32 v53, v0
	v_bfe_u32 v0, v2, 16, 8
	s_delay_alu instid0(VALU_DEP_1) | instskip(NEXT) | instid1(VALU_DEP_1)
	v_sub_nc_u32_e32 v0, v0, v31
	v_cvt_f32_i32_e32 v0, v0
	s_delay_alu instid0(VALU_DEP_1) | instskip(SKIP_2) | instid1(VALU_DEP_2)
	v_cvt_f16_f32_e32 v54, v0
	v_lshrrev_b32_e32 v0, 24, v2
	v_cvt_f32_i32_e32 v8, v8
	v_sub_nc_u32_e32 v0, v0, v31
	s_delay_alu instid0(VALU_DEP_2) | instskip(NEXT) | instid1(VALU_DEP_2)
	v_cvt_f16_f32_e32 v38, v8
	v_cvt_f32_i32_e32 v0, v0
	s_delay_alu instid0(VALU_DEP_1) | instskip(SKIP_1) | instid1(VALU_DEP_1)
	v_cvt_f16_f32_e32 v55, v0
	v_and_b32_e32 v0, 0xff, v6
	v_sub_nc_u32_e32 v0, v0, v31
	s_delay_alu instid0(VALU_DEP_1) | instskip(NEXT) | instid1(VALU_DEP_1)
	v_cvt_f32_i32_e32 v0, v0
	v_cvt_f16_f32_e32 v56, v0
	v_bfe_u32 v0, v6, 8, 8
	s_delay_alu instid0(VALU_DEP_1) | instskip(NEXT) | instid1(VALU_DEP_1)
	v_sub_nc_u32_e32 v0, v0, v31
	v_cvt_f32_i32_e32 v0, v0
	s_delay_alu instid0(VALU_DEP_1) | instskip(SKIP_1) | instid1(VALU_DEP_1)
	v_cvt_f16_f32_e32 v57, v0
	v_bfe_u32 v0, v6, 16, 8
	v_sub_nc_u32_e32 v0, v0, v31
	s_delay_alu instid0(VALU_DEP_1) | instskip(NEXT) | instid1(VALU_DEP_1)
	v_cvt_f32_i32_e32 v0, v0
	v_cvt_f16_f32_e32 v58, v0
	v_lshrrev_b32_e32 v0, 24, v6
	s_delay_alu instid0(VALU_DEP_1) | instskip(NEXT) | instid1(VALU_DEP_1)
	v_sub_nc_u32_e32 v0, v0, v31
	v_cvt_f32_i32_e32 v0, v0
	s_delay_alu instid0(VALU_DEP_1) | instskip(SKIP_1) | instid1(VALU_DEP_1)
	v_cvt_f16_f32_e32 v59, v0
	v_and_b32_e32 v0, 0xff, v3
	v_sub_nc_u32_e32 v0, v0, v30
	s_delay_alu instid0(VALU_DEP_1) | instskip(NEXT) | instid1(VALU_DEP_1)
	v_cvt_f32_i32_e32 v0, v0
	v_cvt_f16_f32_e32 v60, v0
	v_bfe_u32 v0, v3, 8, 8
	s_delay_alu instid0(VALU_DEP_1) | instskip(NEXT) | instid1(VALU_DEP_1)
	v_sub_nc_u32_e32 v0, v0, v30
	v_cvt_f32_i32_e32 v0, v0
	s_delay_alu instid0(VALU_DEP_1) | instskip(SKIP_1) | instid1(VALU_DEP_1)
	v_cvt_f16_f32_e32 v61, v0
	v_bfe_u32 v0, v3, 16, 8
	v_sub_nc_u32_e32 v0, v0, v30
	s_delay_alu instid0(VALU_DEP_1) | instskip(NEXT) | instid1(VALU_DEP_1)
	v_cvt_f32_i32_e32 v0, v0
	v_cvt_f16_f32_e32 v62, v0
	v_lshrrev_b32_e32 v0, 24, v3
	s_delay_alu instid0(VALU_DEP_1) | instskip(NEXT) | instid1(VALU_DEP_1)
	v_sub_nc_u32_e32 v0, v0, v30
	;; [unrolled: 22-line block ×3, first 2 shown]
	v_cvt_f32_i32_e32 v0, v0
	s_delay_alu instid0(VALU_DEP_1)
	v_cvt_f16_f32_e32 v67, v0
	ds_load_b128 v[68:71], v29
	ds_load_b128 v[8:11], v29 offset:16
	ds_load_b128 v[4:7], v29 offset:32
	ds_load_b128 v[0:3], v29 offset:48
	s_wait_dscnt 0x3
	v_fma_mix_f32 v72, v35, v68, 0 op_sel_hi:[1,1,0]
	s_delay_alu instid0(VALU_DEP_1) | instskip(NEXT) | instid1(VALU_DEP_1)
	v_fma_mix_f32 v72, v37, v68, v72 op_sel:[0,1,0] op_sel_hi:[1,1,0]
	v_fma_mix_f32 v72, v38, v69, v72 op_sel_hi:[1,1,0]
	s_delay_alu instid0(VALU_DEP_1) | instskip(NEXT) | instid1(VALU_DEP_1)
	v_fma_mix_f32 v72, v39, v69, v72 op_sel:[0,1,0] op_sel_hi:[1,1,0]
	;; [unrolled: 3-line block ×4, first 2 shown]
	v_fma_mixlo_f16 v72, v72, v18, 0 op_sel_hi:[0,1,0]
	s_delay_alu instid0(VALU_DEP_1) | instskip(SKIP_2) | instid1(VALU_DEP_2)
	v_add_f16_e32 v78, v15, v72
	v_fma_mix_f32 v72, v44, v68, 0 op_sel_hi:[1,1,0]
	v_lshrrev_b32_e32 v15, 16, v15
	v_fma_mix_f32 v72, v45, v68, v72 op_sel:[0,1,0] op_sel_hi:[1,1,0]
	s_delay_alu instid0(VALU_DEP_1) | instskip(NEXT) | instid1(VALU_DEP_1)
	v_fma_mix_f32 v72, v46, v69, v72 op_sel_hi:[1,1,0]
	v_fma_mix_f32 v72, v47, v69, v72 op_sel:[0,1,0] op_sel_hi:[1,1,0]
	s_delay_alu instid0(VALU_DEP_1) | instskip(NEXT) | instid1(VALU_DEP_1)
	v_fma_mix_f32 v72, v48, v70, v72 op_sel_hi:[1,1,0]
	;; [unrolled: 3-line block ×3, first 2 shown]
	v_fma_mix_f32 v72, v51, v71, v72 op_sel:[0,1,0] op_sel_hi:[1,1,0]
	s_delay_alu instid0(VALU_DEP_1) | instskip(NEXT) | instid1(VALU_DEP_1)
	v_fma_mixlo_f16 v72, v72, v18, 0 op_sel:[0,1,0] op_sel_hi:[0,1,0]
	v_add_f16_e32 v79, v15, v72
	v_fma_mix_f32 v15, v52, v68, 0 op_sel_hi:[1,1,0]
	s_delay_alu instid0(VALU_DEP_1) | instskip(NEXT) | instid1(VALU_DEP_1)
	v_fma_mix_f32 v15, v53, v68, v15 op_sel:[0,1,0] op_sel_hi:[1,1,0]
	v_fma_mix_f32 v15, v54, v69, v15 op_sel_hi:[1,1,0]
	s_delay_alu instid0(VALU_DEP_1) | instskip(NEXT) | instid1(VALU_DEP_1)
	v_fma_mix_f32 v15, v55, v69, v15 op_sel:[0,1,0] op_sel_hi:[1,1,0]
	;; [unrolled: 3-line block ×4, first 2 shown]
	v_fma_mixlo_f16 v15, v15, v19, 0 op_sel_hi:[0,1,0]
	s_delay_alu instid0(VALU_DEP_1) | instskip(SKIP_2) | instid1(VALU_DEP_2)
	v_add_f16_e32 v80, v14, v15
	v_fma_mix_f32 v15, v60, v68, 0 op_sel_hi:[1,1,0]
	v_lshrrev_b32_e32 v14, 16, v14
	v_fma_mix_f32 v15, v61, v68, v15 op_sel:[0,1,0] op_sel_hi:[1,1,0]
	s_delay_alu instid0(VALU_DEP_1) | instskip(NEXT) | instid1(VALU_DEP_1)
	v_fma_mix_f32 v15, v62, v69, v15 op_sel_hi:[1,1,0]
	v_fma_mix_f32 v15, v63, v69, v15 op_sel:[0,1,0] op_sel_hi:[1,1,0]
	s_delay_alu instid0(VALU_DEP_1) | instskip(NEXT) | instid1(VALU_DEP_1)
	v_fma_mix_f32 v15, v64, v70, v15 op_sel_hi:[1,1,0]
	v_fma_mix_f32 v15, v65, v70, v15 op_sel:[0,1,0] op_sel_hi:[1,1,0]
	s_delay_alu instid0(VALU_DEP_1) | instskip(NEXT) | instid1(VALU_DEP_1)
	v_fma_mix_f32 v15, v66, v71, v15 op_sel_hi:[1,1,0]
	v_fma_mix_f32 v15, v67, v71, v15 op_sel:[0,1,0] op_sel_hi:[1,1,0]
	ds_load_b128 v[68:71], v29 offset:256
	v_fma_mixlo_f16 v15, v15, v19, 0 op_sel:[0,1,0] op_sel_hi:[0,1,0]
	s_delay_alu instid0(VALU_DEP_1) | instskip(SKIP_4) | instid1(VALU_DEP_2)
	v_add_f16_e32 v81, v14, v15
	v_lshrrev_b32_e32 v15, 16, v23
	s_wait_dscnt 0x0
	v_fma_mix_f32 v14, v35, v68, 0 op_sel_hi:[1,1,0]
	v_fma_mix_f32 v72, v60, v68, 0 op_sel_hi:[1,1,0]
	v_fma_mix_f32 v14, v37, v68, v14 op_sel:[0,1,0] op_sel_hi:[1,1,0]
	s_delay_alu instid0(VALU_DEP_1) | instskip(NEXT) | instid1(VALU_DEP_1)
	v_fma_mix_f32 v14, v38, v69, v14 op_sel_hi:[1,1,0]
	v_fma_mix_f32 v14, v39, v69, v14 op_sel:[0,1,0] op_sel_hi:[1,1,0]
	s_delay_alu instid0(VALU_DEP_1) | instskip(NEXT) | instid1(VALU_DEP_1)
	;; [unrolled: 3-line block ×4, first 2 shown]
	v_fma_mixlo_f16 v14, v14, v18, 0 op_sel_hi:[0,1,0]
	v_add_f16_e32 v14, v23, v14
	v_fma_mix_f32 v23, v44, v68, 0 op_sel_hi:[1,1,0]
	s_delay_alu instid0(VALU_DEP_1) | instskip(NEXT) | instid1(VALU_DEP_1)
	v_fma_mix_f32 v23, v45, v68, v23 op_sel:[0,1,0] op_sel_hi:[1,1,0]
	v_fma_mix_f32 v23, v46, v69, v23 op_sel_hi:[1,1,0]
	s_delay_alu instid0(VALU_DEP_1) | instskip(NEXT) | instid1(VALU_DEP_1)
	v_fma_mix_f32 v23, v47, v69, v23 op_sel:[0,1,0] op_sel_hi:[1,1,0]
	;; [unrolled: 3-line block ×4, first 2 shown]
	v_fma_mixlo_f16 v23, v23, v18, 0 op_sel:[0,1,0] op_sel_hi:[0,1,0]
	s_delay_alu instid0(VALU_DEP_1) | instskip(SKIP_1) | instid1(VALU_DEP_1)
	v_add_f16_e32 v15, v15, v23
	v_fma_mix_f32 v23, v52, v68, 0 op_sel_hi:[1,1,0]
	v_fma_mix_f32 v23, v53, v68, v23 op_sel:[0,1,0] op_sel_hi:[1,1,0]
	v_fma_mix_f32 v68, v61, v68, v72 op_sel:[0,1,0] op_sel_hi:[1,1,0]
	s_delay_alu instid0(VALU_DEP_2) | instskip(NEXT) | instid1(VALU_DEP_2)
	v_fma_mix_f32 v23, v54, v69, v23 op_sel_hi:[1,1,0]
	v_fma_mix_f32 v68, v62, v69, v68 op_sel_hi:[1,1,0]
	s_delay_alu instid0(VALU_DEP_2) | instskip(NEXT) | instid1(VALU_DEP_2)
	v_fma_mix_f32 v23, v55, v69, v23 op_sel:[0,1,0] op_sel_hi:[1,1,0]
	v_fma_mix_f32 v68, v63, v69, v68 op_sel:[0,1,0] op_sel_hi:[1,1,0]
	s_delay_alu instid0(VALU_DEP_2) | instskip(NEXT) | instid1(VALU_DEP_2)
	v_fma_mix_f32 v23, v56, v70, v23 op_sel_hi:[1,1,0]
	v_fma_mix_f32 v68, v64, v70, v68 op_sel_hi:[1,1,0]
	s_delay_alu instid0(VALU_DEP_2) | instskip(NEXT) | instid1(VALU_DEP_2)
	;; [unrolled: 6-line block ×3, first 2 shown]
	v_fma_mix_f32 v23, v59, v71, v23 op_sel:[0,1,0] op_sel_hi:[1,1,0]
	v_fma_mix_f32 v68, v67, v71, v68 op_sel:[0,1,0] op_sel_hi:[1,1,0]
	s_delay_alu instid0(VALU_DEP_2) | instskip(NEXT) | instid1(VALU_DEP_2)
	v_fma_mixlo_f16 v23, v23, v19, 0 op_sel_hi:[0,1,0]
	v_fma_mixlo_f16 v68, v68, v19, 0 op_sel:[0,1,0] op_sel_hi:[0,1,0]
	s_delay_alu instid0(VALU_DEP_2) | instskip(SKIP_1) | instid1(VALU_DEP_1)
	v_add_f16_e32 v23, v22, v23
	v_lshrrev_b32_e32 v22, 16, v22
	v_add_f16_e32 v22, v22, v68
	ds_load_b128 v[68:71], v29 offset:512
	s_wait_dscnt 0x0
	v_fma_mix_f32 v35, v35, v68, 0 op_sel_hi:[1,1,0]
	s_delay_alu instid0(VALU_DEP_1) | instskip(NEXT) | instid1(VALU_DEP_1)
	v_fma_mix_f32 v35, v37, v68, v35 op_sel:[0,1,0] op_sel_hi:[1,1,0]
	v_fma_mix_f32 v35, v38, v69, v35 op_sel_hi:[1,1,0]
	s_delay_alu instid0(VALU_DEP_1) | instskip(NEXT) | instid1(VALU_DEP_1)
	v_fma_mix_f32 v35, v39, v69, v35 op_sel:[0,1,0] op_sel_hi:[1,1,0]
	;; [unrolled: 3-line block ×4, first 2 shown]
	v_fma_mixlo_f16 v35, v35, v18, 0 op_sel_hi:[0,1,0]
	s_delay_alu instid0(VALU_DEP_1) | instskip(SKIP_2) | instid1(VALU_DEP_1)
	v_add_f16_e32 v42, v36, v35
	v_lshrrev_b32_e32 v35, 16, v36
	v_fma_mix_f32 v36, v44, v68, 0 op_sel_hi:[1,1,0]
	v_fma_mix_f32 v36, v45, v68, v36 op_sel:[0,1,0] op_sel_hi:[1,1,0]
	s_delay_alu instid0(VALU_DEP_1) | instskip(NEXT) | instid1(VALU_DEP_1)
	v_fma_mix_f32 v36, v46, v69, v36 op_sel_hi:[1,1,0]
	v_fma_mix_f32 v36, v47, v69, v36 op_sel:[0,1,0] op_sel_hi:[1,1,0]
	s_delay_alu instid0(VALU_DEP_1) | instskip(NEXT) | instid1(VALU_DEP_1)
	;; [unrolled: 3-line block ×4, first 2 shown]
	v_fma_mixlo_f16 v36, v36, v18, 0 op_sel:[0,1,0] op_sel_hi:[0,1,0]
	v_add_f16_e32 v43, v35, v36
	v_fma_mix_f32 v35, v52, v68, 0 op_sel_hi:[1,1,0]
	s_delay_alu instid0(VALU_DEP_1) | instskip(NEXT) | instid1(VALU_DEP_1)
	v_fma_mix_f32 v35, v53, v68, v35 op_sel:[0,1,0] op_sel_hi:[1,1,0]
	v_fma_mix_f32 v35, v54, v69, v35 op_sel_hi:[1,1,0]
	s_delay_alu instid0(VALU_DEP_1) | instskip(NEXT) | instid1(VALU_DEP_1)
	v_fma_mix_f32 v35, v55, v69, v35 op_sel:[0,1,0] op_sel_hi:[1,1,0]
	;; [unrolled: 3-line block ×4, first 2 shown]
	v_fma_mixlo_f16 v35, v35, v19, 0 op_sel_hi:[0,1,0]
	s_delay_alu instid0(VALU_DEP_1) | instskip(SKIP_2) | instid1(VALU_DEP_2)
	v_add_f16_e32 v44, v34, v35
	v_fma_mix_f32 v35, v60, v68, 0 op_sel_hi:[1,1,0]
	v_lshrrev_b32_e32 v34, 16, v34
	v_fma_mix_f32 v35, v61, v68, v35 op_sel:[0,1,0] op_sel_hi:[1,1,0]
	s_delay_alu instid0(VALU_DEP_1) | instskip(NEXT) | instid1(VALU_DEP_1)
	v_fma_mix_f32 v35, v62, v69, v35 op_sel_hi:[1,1,0]
	v_fma_mix_f32 v35, v63, v69, v35 op_sel:[0,1,0] op_sel_hi:[1,1,0]
	s_delay_alu instid0(VALU_DEP_1) | instskip(NEXT) | instid1(VALU_DEP_1)
	v_fma_mix_f32 v35, v64, v70, v35 op_sel_hi:[1,1,0]
	;; [unrolled: 3-line block ×3, first 2 shown]
	v_fma_mix_f32 v35, v67, v71, v35 op_sel:[0,1,0] op_sel_hi:[1,1,0]
	s_delay_alu instid0(VALU_DEP_1) | instskip(NEXT) | instid1(VALU_DEP_1)
	v_fma_mixlo_f16 v35, v35, v19, 0 op_sel:[0,1,0] op_sel_hi:[0,1,0]
	v_add_f16_e32 v45, v34, v35
	global_load_b128 v[34:37], v[12:13], off
	s_wait_xcnt 0x0
	v_add_nc_u64_e32 v[12:13], s[12:13], v[12:13]
	global_load_b128 v[38:41], v[12:13], off
	s_wait_loadcnt 0x1
	v_and_b32_e32 v46, 0xff, v34
	v_bfe_u32 v47, v34, 8, 8
	v_bfe_u32 v48, v34, 16, 8
	s_delay_alu instid0(VALU_DEP_3) | instskip(NEXT) | instid1(VALU_DEP_2)
	v_dual_lshrrev_b32 v34, 24, v34 :: v_dual_sub_nc_u32 v46, v46, v33
	v_dual_sub_nc_u32 v47, v47, v33 :: v_dual_sub_nc_u32 v48, v48, v33
	s_delay_alu instid0(VALU_DEP_2) | instskip(NEXT) | instid1(VALU_DEP_3)
	v_sub_nc_u32_e32 v34, v34, v33
	v_cvt_f32_i32_e32 v46, v46
	s_delay_alu instid0(VALU_DEP_3) | instskip(NEXT) | instid1(VALU_DEP_4)
	v_cvt_f32_i32_e32 v47, v47
	v_cvt_f32_i32_e32 v48, v48
	s_delay_alu instid0(VALU_DEP_4) | instskip(NEXT) | instid1(VALU_DEP_4)
	v_cvt_f32_i32_e32 v34, v34
	v_cvt_f16_f32_e32 v46, v46
	s_delay_alu instid0(VALU_DEP_4) | instskip(NEXT) | instid1(VALU_DEP_4)
	v_cvt_f16_f32_e32 v47, v47
	v_cvt_f16_f32_e32 v48, v48
	s_delay_alu instid0(VALU_DEP_4) | instskip(SKIP_2) | instid1(VALU_DEP_1)
	v_cvt_f16_f32_e32 v49, v34
	s_wait_loadcnt 0x0
	v_and_b32_e32 v34, 0xff, v38
	v_sub_nc_u32_e32 v34, v34, v33
	s_delay_alu instid0(VALU_DEP_1) | instskip(NEXT) | instid1(VALU_DEP_1)
	v_cvt_f32_i32_e32 v34, v34
	v_cvt_f16_f32_e32 v50, v34
	v_bfe_u32 v34, v38, 8, 8
	s_delay_alu instid0(VALU_DEP_1) | instskip(NEXT) | instid1(VALU_DEP_1)
	v_sub_nc_u32_e32 v34, v34, v33
	v_cvt_f32_i32_e32 v34, v34
	s_delay_alu instid0(VALU_DEP_1) | instskip(SKIP_1) | instid1(VALU_DEP_1)
	v_cvt_f16_f32_e32 v51, v34
	v_bfe_u32 v34, v38, 16, 8
	v_sub_nc_u32_e32 v34, v34, v33
	s_delay_alu instid0(VALU_DEP_1) | instskip(NEXT) | instid1(VALU_DEP_1)
	v_cvt_f32_i32_e32 v34, v34
	v_cvt_f16_f32_e32 v52, v34
	v_lshrrev_b32_e32 v34, 24, v38
	s_delay_alu instid0(VALU_DEP_1) | instskip(NEXT) | instid1(VALU_DEP_1)
	v_sub_nc_u32_e32 v34, v34, v33
	v_cvt_f32_i32_e32 v34, v34
	s_delay_alu instid0(VALU_DEP_1) | instskip(SKIP_1) | instid1(VALU_DEP_1)
	v_cvt_f16_f32_e32 v53, v34
	v_and_b32_e32 v34, 0xff, v35
	v_sub_nc_u32_e32 v34, v34, v32
	s_delay_alu instid0(VALU_DEP_1) | instskip(NEXT) | instid1(VALU_DEP_1)
	v_cvt_f32_i32_e32 v34, v34
	v_cvt_f16_f32_e32 v54, v34
	v_bfe_u32 v34, v35, 8, 8
	s_delay_alu instid0(VALU_DEP_1) | instskip(NEXT) | instid1(VALU_DEP_1)
	v_sub_nc_u32_e32 v34, v34, v32
	v_cvt_f32_i32_e32 v34, v34
	s_delay_alu instid0(VALU_DEP_1) | instskip(SKIP_1) | instid1(VALU_DEP_1)
	v_cvt_f16_f32_e32 v55, v34
	v_bfe_u32 v34, v35, 16, 8
	v_sub_nc_u32_e32 v34, v34, v32
	s_delay_alu instid0(VALU_DEP_1) | instskip(NEXT) | instid1(VALU_DEP_1)
	v_cvt_f32_i32_e32 v34, v34
	v_cvt_f16_f32_e32 v56, v34
	v_lshrrev_b32_e32 v34, 24, v35
	s_delay_alu instid0(VALU_DEP_1) | instskip(NEXT) | instid1(VALU_DEP_1)
	v_sub_nc_u32_e32 v34, v34, v32
	v_cvt_f32_i32_e32 v34, v34
	s_delay_alu instid0(VALU_DEP_1) | instskip(SKIP_1) | instid1(VALU_DEP_1)
	v_cvt_f16_f32_e32 v57, v34
	;; [unrolled: 22-line block ×7, first 2 shown]
	v_fma_mix_f32 v34, v46, v8, 0 op_sel_hi:[1,1,0]
	v_fma_mix_f32 v34, v47, v8, v34 op_sel:[0,1,0] op_sel_hi:[1,1,0]
	s_delay_alu instid0(VALU_DEP_1) | instskip(NEXT) | instid1(VALU_DEP_1)
	v_fma_mix_f32 v34, v48, v9, v34 op_sel_hi:[1,1,0]
	v_fma_mix_f32 v34, v49, v9, v34 op_sel:[0,1,0] op_sel_hi:[1,1,0]
	s_delay_alu instid0(VALU_DEP_1) | instskip(NEXT) | instid1(VALU_DEP_1)
	;; [unrolled: 3-line block ×4, first 2 shown]
	v_fma_mixlo_f16 v34, v34, v18, 0 op_sel_hi:[0,1,0]
	v_add_f16_e32 v37, v78, v34
	v_fma_mix_f32 v34, v54, v8, 0 op_sel_hi:[1,1,0]
	s_delay_alu instid0(VALU_DEP_1) | instskip(NEXT) | instid1(VALU_DEP_1)
	v_fma_mix_f32 v34, v55, v8, v34 op_sel:[0,1,0] op_sel_hi:[1,1,0]
	v_fma_mix_f32 v34, v56, v9, v34 op_sel_hi:[1,1,0]
	s_delay_alu instid0(VALU_DEP_1) | instskip(NEXT) | instid1(VALU_DEP_1)
	v_fma_mix_f32 v34, v57, v9, v34 op_sel:[0,1,0] op_sel_hi:[1,1,0]
	;; [unrolled: 3-line block ×4, first 2 shown]
	v_fma_mixlo_f16 v34, v34, v18, 0 op_sel:[0,1,0] op_sel_hi:[0,1,0]
	s_delay_alu instid0(VALU_DEP_1) | instskip(SKIP_1) | instid1(VALU_DEP_1)
	v_add_f16_e32 v36, v79, v34
	v_fma_mix_f32 v34, v62, v8, 0 op_sel_hi:[1,1,0]
	v_fma_mix_f32 v34, v63, v8, v34 op_sel:[0,1,0] op_sel_hi:[1,1,0]
	s_delay_alu instid0(VALU_DEP_1) | instskip(NEXT) | instid1(VALU_DEP_1)
	v_fma_mix_f32 v34, v64, v9, v34 op_sel_hi:[1,1,0]
	v_fma_mix_f32 v34, v65, v9, v34 op_sel:[0,1,0] op_sel_hi:[1,1,0]
	s_delay_alu instid0(VALU_DEP_1) | instskip(NEXT) | instid1(VALU_DEP_1)
	;; [unrolled: 3-line block ×4, first 2 shown]
	v_fma_mixlo_f16 v34, v34, v19, 0 op_sel_hi:[0,1,0]
	v_add_f16_e32 v35, v80, v34
	v_fma_mix_f32 v34, v70, v8, 0 op_sel_hi:[1,1,0]
	s_delay_alu instid0(VALU_DEP_1) | instskip(NEXT) | instid1(VALU_DEP_1)
	v_fma_mix_f32 v8, v71, v8, v34 op_sel:[0,1,0] op_sel_hi:[1,1,0]
	v_fma_mix_f32 v8, v72, v9, v8 op_sel_hi:[1,1,0]
	s_delay_alu instid0(VALU_DEP_1) | instskip(NEXT) | instid1(VALU_DEP_1)
	v_fma_mix_f32 v8, v73, v9, v8 op_sel:[0,1,0] op_sel_hi:[1,1,0]
	;; [unrolled: 3-line block ×4, first 2 shown]
	v_fma_mixlo_f16 v8, v8, v19, 0 op_sel:[0,1,0] op_sel_hi:[0,1,0]
	s_delay_alu instid0(VALU_DEP_1) | instskip(SKIP_3) | instid1(VALU_DEP_1)
	v_add_f16_e32 v34, v81, v8
	ds_load_b128 v[8:11], v29 offset:272
	s_wait_dscnt 0x0
	v_fma_mix_f32 v38, v46, v8, 0 op_sel_hi:[1,1,0]
	v_fma_mix_f32 v38, v47, v8, v38 op_sel:[0,1,0] op_sel_hi:[1,1,0]
	s_delay_alu instid0(VALU_DEP_1) | instskip(NEXT) | instid1(VALU_DEP_1)
	v_fma_mix_f32 v38, v48, v9, v38 op_sel_hi:[1,1,0]
	v_fma_mix_f32 v38, v49, v9, v38 op_sel:[0,1,0] op_sel_hi:[1,1,0]
	s_delay_alu instid0(VALU_DEP_1) | instskip(NEXT) | instid1(VALU_DEP_1)
	;; [unrolled: 3-line block ×4, first 2 shown]
	v_fma_mixlo_f16 v38, v38, v18, 0 op_sel_hi:[0,1,0]
	v_add_f16_e32 v38, v14, v38
	v_fma_mix_f32 v14, v54, v8, 0 op_sel_hi:[1,1,0]
	s_delay_alu instid0(VALU_DEP_1) | instskip(NEXT) | instid1(VALU_DEP_1)
	v_fma_mix_f32 v14, v55, v8, v14 op_sel:[0,1,0] op_sel_hi:[1,1,0]
	v_fma_mix_f32 v14, v56, v9, v14 op_sel_hi:[1,1,0]
	s_delay_alu instid0(VALU_DEP_1) | instskip(NEXT) | instid1(VALU_DEP_1)
	v_fma_mix_f32 v14, v57, v9, v14 op_sel:[0,1,0] op_sel_hi:[1,1,0]
	;; [unrolled: 3-line block ×4, first 2 shown]
	v_fma_mixlo_f16 v14, v14, v18, 0 op_sel:[0,1,0] op_sel_hi:[0,1,0]
	s_delay_alu instid0(VALU_DEP_1) | instskip(SKIP_1) | instid1(VALU_DEP_1)
	v_add_f16_e32 v39, v15, v14
	v_fma_mix_f32 v14, v62, v8, 0 op_sel_hi:[1,1,0]
	v_fma_mix_f32 v14, v63, v8, v14 op_sel:[0,1,0] op_sel_hi:[1,1,0]
	s_delay_alu instid0(VALU_DEP_1) | instskip(NEXT) | instid1(VALU_DEP_1)
	v_fma_mix_f32 v14, v64, v9, v14 op_sel_hi:[1,1,0]
	v_fma_mix_f32 v14, v65, v9, v14 op_sel:[0,1,0] op_sel_hi:[1,1,0]
	s_delay_alu instid0(VALU_DEP_1) | instskip(NEXT) | instid1(VALU_DEP_1)
	;; [unrolled: 3-line block ×4, first 2 shown]
	v_fma_mixlo_f16 v14, v14, v19, 0 op_sel_hi:[0,1,0]
	v_add_f16_e32 v40, v23, v14
	v_fma_mix_f32 v14, v70, v8, 0 op_sel_hi:[1,1,0]
	s_delay_alu instid0(VALU_DEP_1) | instskip(NEXT) | instid1(VALU_DEP_1)
	v_fma_mix_f32 v8, v71, v8, v14 op_sel:[0,1,0] op_sel_hi:[1,1,0]
	v_fma_mix_f32 v8, v72, v9, v8 op_sel_hi:[1,1,0]
	s_delay_alu instid0(VALU_DEP_1) | instskip(NEXT) | instid1(VALU_DEP_1)
	v_fma_mix_f32 v8, v73, v9, v8 op_sel:[0,1,0] op_sel_hi:[1,1,0]
	;; [unrolled: 3-line block ×4, first 2 shown]
	v_fma_mixlo_f16 v8, v8, v19, 0 op_sel:[0,1,0] op_sel_hi:[0,1,0]
	s_delay_alu instid0(VALU_DEP_1) | instskip(SKIP_3) | instid1(VALU_DEP_1)
	v_add_f16_e32 v41, v22, v8
	ds_load_b128 v[8:11], v29 offset:528
	s_wait_dscnt 0x0
	v_fma_mix_f32 v14, v46, v8, 0 op_sel_hi:[1,1,0]
	v_fma_mix_f32 v14, v47, v8, v14 op_sel:[0,1,0] op_sel_hi:[1,1,0]
	s_delay_alu instid0(VALU_DEP_1) | instskip(NEXT) | instid1(VALU_DEP_1)
	v_fma_mix_f32 v14, v48, v9, v14 op_sel_hi:[1,1,0]
	v_fma_mix_f32 v14, v49, v9, v14 op_sel:[0,1,0] op_sel_hi:[1,1,0]
	s_delay_alu instid0(VALU_DEP_1) | instskip(NEXT) | instid1(VALU_DEP_1)
	;; [unrolled: 3-line block ×4, first 2 shown]
	v_fma_mixlo_f16 v14, v14, v18, 0 op_sel_hi:[0,1,0]
	v_add_f16_e32 v42, v42, v14
	v_fma_mix_f32 v14, v54, v8, 0 op_sel_hi:[1,1,0]
	s_delay_alu instid0(VALU_DEP_1) | instskip(NEXT) | instid1(VALU_DEP_1)
	v_fma_mix_f32 v14, v55, v8, v14 op_sel:[0,1,0] op_sel_hi:[1,1,0]
	v_fma_mix_f32 v14, v56, v9, v14 op_sel_hi:[1,1,0]
	s_delay_alu instid0(VALU_DEP_1) | instskip(NEXT) | instid1(VALU_DEP_1)
	v_fma_mix_f32 v14, v57, v9, v14 op_sel:[0,1,0] op_sel_hi:[1,1,0]
	;; [unrolled: 3-line block ×4, first 2 shown]
	v_fma_mixlo_f16 v14, v14, v18, 0 op_sel:[0,1,0] op_sel_hi:[0,1,0]
	s_delay_alu instid0(VALU_DEP_1) | instskip(SKIP_1) | instid1(VALU_DEP_1)
	v_add_f16_e32 v43, v43, v14
	v_fma_mix_f32 v14, v62, v8, 0 op_sel_hi:[1,1,0]
	v_fma_mix_f32 v14, v63, v8, v14 op_sel:[0,1,0] op_sel_hi:[1,1,0]
	s_delay_alu instid0(VALU_DEP_1) | instskip(NEXT) | instid1(VALU_DEP_1)
	v_fma_mix_f32 v14, v64, v9, v14 op_sel_hi:[1,1,0]
	v_fma_mix_f32 v14, v65, v9, v14 op_sel:[0,1,0] op_sel_hi:[1,1,0]
	s_delay_alu instid0(VALU_DEP_1) | instskip(NEXT) | instid1(VALU_DEP_1)
	;; [unrolled: 3-line block ×4, first 2 shown]
	v_fma_mixlo_f16 v14, v14, v19, 0 op_sel_hi:[0,1,0]
	v_add_f16_e32 v44, v44, v14
	v_fma_mix_f32 v14, v70, v8, 0 op_sel_hi:[1,1,0]
	s_delay_alu instid0(VALU_DEP_1) | instskip(NEXT) | instid1(VALU_DEP_1)
	v_fma_mix_f32 v8, v71, v8, v14 op_sel:[0,1,0] op_sel_hi:[1,1,0]
	v_fma_mix_f32 v8, v72, v9, v8 op_sel_hi:[1,1,0]
	s_delay_alu instid0(VALU_DEP_1) | instskip(NEXT) | instid1(VALU_DEP_1)
	v_fma_mix_f32 v8, v73, v9, v8 op_sel:[0,1,0] op_sel_hi:[1,1,0]
	;; [unrolled: 3-line block ×4, first 2 shown]
	v_fma_mixlo_f16 v8, v8, v19, 0 op_sel:[0,1,0] op_sel_hi:[0,1,0]
	s_delay_alu instid0(VALU_DEP_1) | instskip(SKIP_1) | instid1(VALU_DEP_1)
	v_add_f16_e32 v45, v45, v8
	v_add_nc_u64_e32 v[8:9], s[12:13], v[12:13]
	v_add_nc_u64_e32 v[22:23], s[12:13], v[8:9]
	s_clause 0x1
	global_load_b128 v[12:15], v[8:9], off
	global_load_b128 v[8:11], v[22:23], off
	s_wait_loadcnt 0x1
	v_and_b32_e32 v46, 0xff, v12
	v_bfe_u32 v47, v12, 8, 8
	v_bfe_u32 v48, v12, 16, 8
	v_lshrrev_b32_e32 v12, 24, v12
	v_and_b32_e32 v52, 0xff, v13
	v_bfe_u32 v53, v13, 8, 8
	s_wait_loadcnt 0x0
	v_bfe_u32 v57, v9, 16, 8
	v_and_b32_e32 v55, 0xff, v9
	v_bfe_u32 v56, v9, 8, 8
	v_lshrrev_b32_e32 v9, 24, v9
	s_delay_alu instid0(VALU_DEP_4) | instskip(SKIP_2) | instid1(VALU_DEP_3)
	v_dual_sub_nc_u32 v46, v46, v33 :: v_dual_sub_nc_u32 v57, v57, v32
	v_sub_nc_u32_e32 v47, v47, v33
	v_dual_sub_nc_u32 v55, v55, v32 :: v_dual_sub_nc_u32 v48, v48, v33
	v_cvt_f32_i32_e32 v46, v46
	s_delay_alu instid0(VALU_DEP_4) | instskip(NEXT) | instid1(VALU_DEP_4)
	v_cvt_f32_i32_e32 v57, v57
	v_cvt_f32_i32_e32 v47, v47
	v_sub_nc_u32_e32 v12, v12, v33
	v_cvt_f32_i32_e32 v48, v48
	v_cvt_f16_f32_e32 v46, v46
	v_cvt_f16_f32_e32 v61, v57
	v_and_b32_e32 v57, 0xff, v14
	v_cvt_f16_f32_e32 v47, v47
	v_and_b32_e32 v49, 0xff, v8
	v_cvt_f16_f32_e32 v48, v48
	v_cvt_f32_i32_e32 v12, v12
	v_sub_nc_u32_e32 v57, v57, v31
	v_bfe_u32 v50, v8, 8, 8
	v_sub_nc_u32_e32 v49, v49, v33
	v_bfe_u32 v51, v8, 16, 8
	v_cvt_f16_f32_e32 v12, v12
	v_cvt_f32_i32_e32 v57, v57
	v_dual_sub_nc_u32 v50, v50, v33 :: v_dual_sub_nc_u32 v56, v56, v32
	v_cvt_f32_i32_e32 v49, v49
	v_sub_nc_u32_e32 v51, v51, v33
	s_delay_alu instid0(VALU_DEP_4)
	v_cvt_f16_f32_e32 v62, v57
	v_bfe_u32 v57, v14, 8, 8
	v_cvt_f32_i32_e32 v50, v50
	v_cvt_f16_f32_e32 v49, v49
	v_lshrrev_b32_e32 v8, 24, v8
	v_cvt_f32_i32_e32 v51, v51
	v_sub_nc_u32_e32 v57, v57, v31
	v_cvt_f16_f32_e32 v50, v50
	v_sub_nc_u32_e32 v52, v52, v32
	v_sub_nc_u32_e32 v8, v8, v33
	v_cvt_f16_f32_e32 v51, v51
	v_cvt_f32_i32_e32 v57, v57
	v_sub_nc_u32_e32 v53, v53, v32
	v_cvt_f32_i32_e32 v52, v52
	v_cvt_f32_i32_e32 v8, v8
	v_bfe_u32 v54, v13, 16, 8
	v_cvt_f16_f32_e32 v63, v57
	v_bfe_u32 v57, v14, 16, 8
	v_cvt_f16_f32_e32 v52, v52
	v_cvt_f16_f32_e32 v8, v8
	v_cvt_f32_i32_e32 v53, v53
	s_delay_alu instid0(VALU_DEP_4) | instskip(SKIP_2) | instid1(VALU_DEP_4)
	v_dual_sub_nc_u32 v54, v54, v32 :: v_dual_sub_nc_u32 v57, v57, v31
	v_lshrrev_b32_e32 v13, 24, v13
	v_cvt_f32_i32_e32 v55, v55
	v_cvt_f16_f32_e32 v53, v53
	s_delay_alu instid0(VALU_DEP_4)
	v_cvt_f32_i32_e32 v54, v54
	v_cvt_f32_i32_e32 v57, v57
	v_sub_nc_u32_e32 v13, v13, v32
	v_cvt_f16_f32_e32 v55, v55
	v_cvt_f32_i32_e32 v56, v56
	v_cvt_f16_f32_e32 v54, v54
	v_cvt_f16_f32_e32 v64, v57
	v_and_b32_e32 v57, 0xff, v10
	v_cvt_f32_i32_e32 v13, v13
	v_cvt_f16_f32_e32 v56, v56
	v_dual_sub_nc_u32 v9, v9, v32 :: v_dual_lshrrev_b32 v14, 24, v14
	s_delay_alu instid0(VALU_DEP_4) | instskip(NEXT) | instid1(VALU_DEP_4)
	v_sub_nc_u32_e32 v57, v57, v31
	v_cvt_f16_f32_e32 v13, v13
	s_delay_alu instid0(VALU_DEP_3) | instskip(NEXT) | instid1(VALU_DEP_4)
	v_cvt_f32_i32_e32 v9, v9
	v_sub_nc_u32_e32 v14, v14, v31
	s_delay_alu instid0(VALU_DEP_4) | instskip(NEXT) | instid1(VALU_DEP_3)
	v_cvt_f32_i32_e32 v57, v57
	v_cvt_f16_f32_e32 v9, v9
	s_delay_alu instid0(VALU_DEP_3) | instskip(NEXT) | instid1(VALU_DEP_3)
	v_cvt_f32_i32_e32 v14, v14
	v_cvt_f16_f32_e32 v65, v57
	v_bfe_u32 v57, v10, 8, 8
	s_delay_alu instid0(VALU_DEP_3) | instskip(NEXT) | instid1(VALU_DEP_2)
	v_cvt_f16_f32_e32 v14, v14
	v_sub_nc_u32_e32 v57, v57, v31
	s_delay_alu instid0(VALU_DEP_1) | instskip(NEXT) | instid1(VALU_DEP_1)
	v_cvt_f32_i32_e32 v57, v57
	v_cvt_f16_f32_e32 v66, v57
	v_bfe_u32 v57, v10, 16, 8
	s_delay_alu instid0(VALU_DEP_1) | instskip(NEXT) | instid1(VALU_DEP_1)
	v_dual_lshrrev_b32 v10, 24, v10 :: v_dual_sub_nc_u32 v57, v57, v31
	v_sub_nc_u32_e32 v10, v10, v31
	s_delay_alu instid0(VALU_DEP_2) | instskip(NEXT) | instid1(VALU_DEP_2)
	v_cvt_f32_i32_e32 v57, v57
	v_cvt_f32_i32_e32 v10, v10
	s_delay_alu instid0(VALU_DEP_2) | instskip(SKIP_1) | instid1(VALU_DEP_3)
	v_cvt_f16_f32_e32 v67, v57
	v_and_b32_e32 v57, 0xff, v15
	v_cvt_f16_f32_e32 v10, v10
	s_delay_alu instid0(VALU_DEP_2) | instskip(NEXT) | instid1(VALU_DEP_1)
	v_sub_nc_u32_e32 v57, v57, v30
	v_cvt_f32_i32_e32 v57, v57
	s_delay_alu instid0(VALU_DEP_1) | instskip(SKIP_1) | instid1(VALU_DEP_1)
	v_cvt_f16_f32_e32 v68, v57
	v_bfe_u32 v57, v15, 8, 8
	v_sub_nc_u32_e32 v57, v57, v30
	s_delay_alu instid0(VALU_DEP_1) | instskip(NEXT) | instid1(VALU_DEP_1)
	v_cvt_f32_i32_e32 v57, v57
	v_cvt_f16_f32_e32 v69, v57
	v_bfe_u32 v57, v15, 16, 8
	s_delay_alu instid0(VALU_DEP_1) | instskip(NEXT) | instid1(VALU_DEP_1)
	v_dual_lshrrev_b32 v15, 24, v15 :: v_dual_sub_nc_u32 v57, v57, v30
	v_sub_nc_u32_e32 v15, v15, v30
	s_delay_alu instid0(VALU_DEP_2) | instskip(NEXT) | instid1(VALU_DEP_2)
	v_cvt_f32_i32_e32 v57, v57
	v_cvt_f32_i32_e32 v15, v15
	s_delay_alu instid0(VALU_DEP_2) | instskip(SKIP_1) | instid1(VALU_DEP_3)
	v_cvt_f16_f32_e32 v70, v57
	v_and_b32_e32 v57, 0xff, v11
	v_cvt_f16_f32_e32 v15, v15
	s_delay_alu instid0(VALU_DEP_2) | instskip(NEXT) | instid1(VALU_DEP_1)
	v_sub_nc_u32_e32 v57, v57, v30
	v_cvt_f32_i32_e32 v57, v57
	s_delay_alu instid0(VALU_DEP_1) | instskip(SKIP_1) | instid1(VALU_DEP_1)
	v_cvt_f16_f32_e32 v71, v57
	v_bfe_u32 v57, v11, 8, 8
	v_sub_nc_u32_e32 v57, v57, v30
	s_delay_alu instid0(VALU_DEP_1) | instskip(NEXT) | instid1(VALU_DEP_1)
	v_cvt_f32_i32_e32 v57, v57
	v_cvt_f16_f32_e32 v72, v57
	v_bfe_u32 v57, v11, 16, 8
	s_delay_alu instid0(VALU_DEP_1) | instskip(NEXT) | instid1(VALU_DEP_1)
	v_dual_lshrrev_b32 v11, 24, v11 :: v_dual_sub_nc_u32 v57, v57, v30
	v_sub_nc_u32_e32 v11, v11, v30
	s_delay_alu instid0(VALU_DEP_2) | instskip(NEXT) | instid1(VALU_DEP_2)
	v_cvt_f32_i32_e32 v57, v57
	v_cvt_f32_i32_e32 v11, v11
	s_delay_alu instid0(VALU_DEP_2) | instskip(SKIP_1) | instid1(VALU_DEP_3)
	v_cvt_f16_f32_e32 v73, v57
	v_fma_mix_f32 v57, v46, v4, 0 op_sel_hi:[1,1,0]
	v_cvt_f16_f32_e32 v11, v11
	s_delay_alu instid0(VALU_DEP_2) | instskip(NEXT) | instid1(VALU_DEP_1)
	v_fma_mix_f32 v57, v47, v4, v57 op_sel:[0,1,0] op_sel_hi:[1,1,0]
	v_fma_mix_f32 v57, v48, v5, v57 op_sel_hi:[1,1,0]
	s_delay_alu instid0(VALU_DEP_1) | instskip(NEXT) | instid1(VALU_DEP_1)
	v_fma_mix_f32 v57, v12, v5, v57 op_sel:[0,1,0] op_sel_hi:[1,1,0]
	v_fma_mix_f32 v57, v49, v6, v57 op_sel_hi:[1,1,0]
	s_delay_alu instid0(VALU_DEP_1) | instskip(NEXT) | instid1(VALU_DEP_1)
	;; [unrolled: 3-line block ×3, first 2 shown]
	v_fma_mix_f32 v57, v8, v7, v57 op_sel:[0,1,0] op_sel_hi:[1,1,0]
	v_fma_mixlo_f16 v57, v57, v18, 0 op_sel_hi:[0,1,0]
	s_delay_alu instid0(VALU_DEP_1) | instskip(SKIP_1) | instid1(VALU_DEP_1)
	v_add_f16_e32 v74, v37, v57
	v_fma_mix_f32 v37, v52, v4, 0 op_sel_hi:[1,1,0]
	v_fma_mix_f32 v37, v53, v4, v37 op_sel:[0,1,0] op_sel_hi:[1,1,0]
	s_delay_alu instid0(VALU_DEP_1) | instskip(NEXT) | instid1(VALU_DEP_1)
	v_fma_mix_f32 v37, v54, v5, v37 op_sel_hi:[1,1,0]
	v_fma_mix_f32 v37, v13, v5, v37 op_sel:[0,1,0] op_sel_hi:[1,1,0]
	s_delay_alu instid0(VALU_DEP_1) | instskip(NEXT) | instid1(VALU_DEP_1)
	;; [unrolled: 3-line block ×4, first 2 shown]
	v_fma_mixlo_f16 v37, v37, v18, 0 op_sel:[0,1,0] op_sel_hi:[0,1,0]
	v_add_f16_e32 v75, v36, v37
	v_fma_mix_f32 v36, v62, v4, 0 op_sel_hi:[1,1,0]
	s_delay_alu instid0(VALU_DEP_1) | instskip(NEXT) | instid1(VALU_DEP_1)
	v_fma_mix_f32 v36, v63, v4, v36 op_sel:[0,1,0] op_sel_hi:[1,1,0]
	v_fma_mix_f32 v36, v64, v5, v36 op_sel_hi:[1,1,0]
	s_delay_alu instid0(VALU_DEP_1) | instskip(NEXT) | instid1(VALU_DEP_1)
	v_fma_mix_f32 v36, v14, v5, v36 op_sel:[0,1,0] op_sel_hi:[1,1,0]
	v_fma_mix_f32 v36, v65, v6, v36 op_sel_hi:[1,1,0]
	s_delay_alu instid0(VALU_DEP_1) | instskip(NEXT) | instid1(VALU_DEP_1)
	v_fma_mix_f32 v36, v66, v6, v36 op_sel:[0,1,0] op_sel_hi:[1,1,0]
	v_fma_mix_f32 v36, v67, v7, v36 op_sel_hi:[1,1,0]
	s_delay_alu instid0(VALU_DEP_1) | instskip(NEXT) | instid1(VALU_DEP_1)
	v_fma_mix_f32 v36, v10, v7, v36 op_sel:[0,1,0] op_sel_hi:[1,1,0]
	v_fma_mixlo_f16 v36, v36, v19, 0 op_sel_hi:[0,1,0]
	s_delay_alu instid0(VALU_DEP_1) | instskip(SKIP_1) | instid1(VALU_DEP_1)
	v_add_f16_e32 v76, v35, v36
	v_fma_mix_f32 v35, v68, v4, 0 op_sel_hi:[1,1,0]
	v_fma_mix_f32 v4, v69, v4, v35 op_sel:[0,1,0] op_sel_hi:[1,1,0]
	s_delay_alu instid0(VALU_DEP_1) | instskip(NEXT) | instid1(VALU_DEP_1)
	v_fma_mix_f32 v4, v70, v5, v4 op_sel_hi:[1,1,0]
	v_fma_mix_f32 v4, v15, v5, v4 op_sel:[0,1,0] op_sel_hi:[1,1,0]
	s_delay_alu instid0(VALU_DEP_1) | instskip(NEXT) | instid1(VALU_DEP_1)
	;; [unrolled: 3-line block ×4, first 2 shown]
	v_fma_mixlo_f16 v4, v4, v19, 0 op_sel:[0,1,0] op_sel_hi:[0,1,0]
	v_add_f16_e32 v77, v34, v4
	ds_load_b128 v[4:7], v29 offset:288
	s_wait_dscnt 0x0
	v_fma_mix_f32 v34, v46, v4, 0 op_sel_hi:[1,1,0]
	s_delay_alu instid0(VALU_DEP_1) | instskip(NEXT) | instid1(VALU_DEP_1)
	v_fma_mix_f32 v34, v47, v4, v34 op_sel:[0,1,0] op_sel_hi:[1,1,0]
	v_fma_mix_f32 v34, v48, v5, v34 op_sel_hi:[1,1,0]
	s_delay_alu instid0(VALU_DEP_1) | instskip(NEXT) | instid1(VALU_DEP_1)
	v_fma_mix_f32 v34, v12, v5, v34 op_sel:[0,1,0] op_sel_hi:[1,1,0]
	v_fma_mix_f32 v34, v49, v6, v34 op_sel_hi:[1,1,0]
	s_delay_alu instid0(VALU_DEP_1) | instskip(NEXT) | instid1(VALU_DEP_1)
	v_fma_mix_f32 v34, v50, v6, v34 op_sel:[0,1,0] op_sel_hi:[1,1,0]
	v_fma_mix_f32 v34, v51, v7, v34 op_sel_hi:[1,1,0]
	s_delay_alu instid0(VALU_DEP_1) | instskip(NEXT) | instid1(VALU_DEP_1)
	v_fma_mix_f32 v34, v8, v7, v34 op_sel:[0,1,0] op_sel_hi:[1,1,0]
	v_fma_mixlo_f16 v34, v34, v18, 0 op_sel_hi:[0,1,0]
	s_delay_alu instid0(VALU_DEP_1) | instskip(SKIP_1) | instid1(VALU_DEP_1)
	v_add_f16_e32 v59, v38, v34
	v_fma_mix_f32 v34, v52, v4, 0 op_sel_hi:[1,1,0]
	v_fma_mix_f32 v34, v53, v4, v34 op_sel:[0,1,0] op_sel_hi:[1,1,0]
	s_delay_alu instid0(VALU_DEP_1) | instskip(NEXT) | instid1(VALU_DEP_1)
	v_fma_mix_f32 v34, v54, v5, v34 op_sel_hi:[1,1,0]
	v_fma_mix_f32 v34, v13, v5, v34 op_sel:[0,1,0] op_sel_hi:[1,1,0]
	s_delay_alu instid0(VALU_DEP_1) | instskip(NEXT) | instid1(VALU_DEP_1)
	;; [unrolled: 3-line block ×4, first 2 shown]
	v_fma_mixlo_f16 v34, v34, v18, 0 op_sel:[0,1,0] op_sel_hi:[0,1,0]
	v_add_f16_e32 v60, v39, v34
	v_fma_mix_f32 v34, v62, v4, 0 op_sel_hi:[1,1,0]
	s_delay_alu instid0(VALU_DEP_1) | instskip(NEXT) | instid1(VALU_DEP_1)
	v_fma_mix_f32 v34, v63, v4, v34 op_sel:[0,1,0] op_sel_hi:[1,1,0]
	v_fma_mix_f32 v34, v64, v5, v34 op_sel_hi:[1,1,0]
	s_delay_alu instid0(VALU_DEP_1) | instskip(NEXT) | instid1(VALU_DEP_1)
	v_fma_mix_f32 v34, v14, v5, v34 op_sel:[0,1,0] op_sel_hi:[1,1,0]
	;; [unrolled: 3-line block ×4, first 2 shown]
	v_fma_mixlo_f16 v34, v34, v19, 0 op_sel_hi:[0,1,0]
	s_delay_alu instid0(VALU_DEP_1) | instskip(SKIP_1) | instid1(VALU_DEP_1)
	v_add_f16_e32 v57, v40, v34
	v_fma_mix_f32 v34, v68, v4, 0 op_sel_hi:[1,1,0]
	v_fma_mix_f32 v4, v69, v4, v34 op_sel:[0,1,0] op_sel_hi:[1,1,0]
	ds_load_b128 v[34:37], v29 offset:544
	v_fma_mix_f32 v4, v70, v5, v4 op_sel_hi:[1,1,0]
	s_delay_alu instid0(VALU_DEP_1) | instskip(NEXT) | instid1(VALU_DEP_1)
	v_fma_mix_f32 v4, v15, v5, v4 op_sel:[0,1,0] op_sel_hi:[1,1,0]
	v_fma_mix_f32 v4, v71, v6, v4 op_sel_hi:[1,1,0]
	s_delay_alu instid0(VALU_DEP_1) | instskip(NEXT) | instid1(VALU_DEP_1)
	v_fma_mix_f32 v4, v72, v6, v4 op_sel:[0,1,0] op_sel_hi:[1,1,0]
	v_fma_mix_f32 v4, v73, v7, v4 op_sel_hi:[1,1,0]
	s_delay_alu instid0(VALU_DEP_1) | instskip(SKIP_1) | instid1(VALU_DEP_2)
	v_fma_mix_f32 v4, v11, v7, v4 op_sel:[0,1,0] op_sel_hi:[1,1,0]
	v_add_nc_u64_e32 v[6:7], s[12:13], v[22:23]
	v_fma_mixlo_f16 v4, v4, v19, 0 op_sel:[0,1,0] op_sel_hi:[0,1,0]
	s_delay_alu instid0(VALU_DEP_1) | instskip(SKIP_2) | instid1(VALU_DEP_1)
	v_add_f16_e32 v58, v41, v4
	s_wait_dscnt 0x0
	v_fma_mix_f32 v4, v46, v34, 0 op_sel_hi:[1,1,0]
	v_fma_mix_f32 v4, v47, v34, v4 op_sel:[0,1,0] op_sel_hi:[1,1,0]
	s_delay_alu instid0(VALU_DEP_1) | instskip(NEXT) | instid1(VALU_DEP_1)
	v_fma_mix_f32 v4, v48, v35, v4 op_sel_hi:[1,1,0]
	v_fma_mix_f32 v4, v12, v35, v4 op_sel:[0,1,0] op_sel_hi:[1,1,0]
	s_delay_alu instid0(VALU_DEP_1) | instskip(NEXT) | instid1(VALU_DEP_1)
	;; [unrolled: 3-line block ×4, first 2 shown]
	v_fma_mixlo_f16 v4, v4, v18, 0 op_sel_hi:[0,1,0]
	v_add_f16_e32 v12, v42, v4
	v_fma_mix_f32 v4, v52, v34, 0 op_sel_hi:[1,1,0]
	s_delay_alu instid0(VALU_DEP_1) | instskip(NEXT) | instid1(VALU_DEP_1)
	v_fma_mix_f32 v4, v53, v34, v4 op_sel:[0,1,0] op_sel_hi:[1,1,0]
	v_fma_mix_f32 v4, v54, v35, v4 op_sel_hi:[1,1,0]
	s_delay_alu instid0(VALU_DEP_1) | instskip(NEXT) | instid1(VALU_DEP_1)
	v_fma_mix_f32 v4, v13, v35, v4 op_sel:[0,1,0] op_sel_hi:[1,1,0]
	;; [unrolled: 3-line block ×4, first 2 shown]
	v_fma_mixlo_f16 v4, v4, v18, 0 op_sel:[0,1,0] op_sel_hi:[0,1,0]
	s_delay_alu instid0(VALU_DEP_1) | instskip(SKIP_1) | instid1(VALU_DEP_1)
	v_add_f16_e32 v8, v43, v4
	v_fma_mix_f32 v4, v62, v34, 0 op_sel_hi:[1,1,0]
	v_fma_mix_f32 v4, v63, v34, v4 op_sel:[0,1,0] op_sel_hi:[1,1,0]
	s_delay_alu instid0(VALU_DEP_1) | instskip(NEXT) | instid1(VALU_DEP_1)
	v_fma_mix_f32 v4, v64, v35, v4 op_sel_hi:[1,1,0]
	v_fma_mix_f32 v4, v14, v35, v4 op_sel:[0,1,0] op_sel_hi:[1,1,0]
	s_delay_alu instid0(VALU_DEP_1) | instskip(SKIP_4) | instid1(VALU_DEP_1)
	v_fma_mix_f32 v4, v65, v36, v4 op_sel_hi:[1,1,0]
	global_load_b128 v[62:65], v[6:7], off
	s_wait_xcnt 0x0
	v_add_nc_u64_e32 v[6:7], s[12:13], v[6:7]
	v_fma_mix_f32 v4, v66, v36, v4 op_sel:[0,1,0] op_sel_hi:[1,1,0]
	v_fma_mix_f32 v4, v67, v37, v4 op_sel_hi:[1,1,0]
	s_delay_alu instid0(VALU_DEP_1) | instskip(NEXT) | instid1(VALU_DEP_1)
	v_fma_mix_f32 v4, v10, v37, v4 op_sel:[0,1,0] op_sel_hi:[1,1,0]
	v_fma_mixlo_f16 v4, v4, v19, 0 op_sel_hi:[0,1,0]
	s_delay_alu instid0(VALU_DEP_1) | instskip(SKIP_1) | instid1(VALU_DEP_1)
	v_add_f16_e32 v5, v44, v4
	v_fma_mix_f32 v4, v68, v34, 0 op_sel_hi:[1,1,0]
	v_fma_mix_f32 v4, v69, v34, v4 op_sel:[0,1,0] op_sel_hi:[1,1,0]
	global_load_b128 v[66:69], v[6:7], off
	v_fma_mix_f32 v4, v70, v35, v4 op_sel_hi:[1,1,0]
	s_delay_alu instid0(VALU_DEP_1) | instskip(NEXT) | instid1(VALU_DEP_1)
	v_fma_mix_f32 v4, v15, v35, v4 op_sel:[0,1,0] op_sel_hi:[1,1,0]
	v_fma_mix_f32 v4, v71, v36, v4 op_sel_hi:[1,1,0]
	s_delay_alu instid0(VALU_DEP_1) | instskip(NEXT) | instid1(VALU_DEP_1)
	v_fma_mix_f32 v4, v72, v36, v4 op_sel:[0,1,0] op_sel_hi:[1,1,0]
	;; [unrolled: 3-line block ×3, first 2 shown]
	v_fma_mixlo_f16 v4, v4, v19, 0 op_sel:[0,1,0] op_sel_hi:[0,1,0]
	s_delay_alu instid0(VALU_DEP_1) | instskip(SKIP_3) | instid1(VALU_DEP_1)
	v_add_f16_e32 v4, v45, v4
	s_wait_loadcnt 0x1
	s_wait_xcnt 0x0
	v_and_b32_e32 v6, 0xff, v62
	v_sub_nc_u32_e32 v6, v6, v33
	s_delay_alu instid0(VALU_DEP_1) | instskip(NEXT) | instid1(VALU_DEP_1)
	v_cvt_f32_i32_e32 v6, v6
	v_cvt_f16_f32_e32 v40, v6
	v_bfe_u32 v6, v62, 8, 8
	s_delay_alu instid0(VALU_DEP_2) | instskip(NEXT) | instid1(VALU_DEP_2)
	v_fma_mix_f32 v14, v40, v0, 0 op_sel_hi:[1,1,0]
	v_sub_nc_u32_e32 v6, v6, v33
	s_delay_alu instid0(VALU_DEP_1) | instskip(NEXT) | instid1(VALU_DEP_1)
	v_cvt_f32_i32_e32 v6, v6
	v_cvt_f16_f32_e32 v43, v6
	v_bfe_u32 v6, v62, 16, 8
	s_delay_alu instid0(VALU_DEP_2) | instskip(NEXT) | instid1(VALU_DEP_2)
	v_fma_mix_f32 v14, v43, v0, v14 op_sel:[0,1,0] op_sel_hi:[1,1,0]
	v_sub_nc_u32_e32 v6, v6, v33
	s_delay_alu instid0(VALU_DEP_1) | instskip(NEXT) | instid1(VALU_DEP_1)
	v_cvt_f32_i32_e32 v6, v6
	v_cvt_f16_f32_e32 v46, v6
	v_lshrrev_b32_e32 v6, 24, v62
	s_delay_alu instid0(VALU_DEP_2) | instskip(NEXT) | instid1(VALU_DEP_2)
	v_fma_mix_f32 v14, v46, v1, v14 op_sel_hi:[1,1,0]
	v_sub_nc_u32_e32 v6, v6, v33
	s_delay_alu instid0(VALU_DEP_1) | instskip(NEXT) | instid1(VALU_DEP_1)
	v_cvt_f32_i32_e32 v6, v6
	v_cvt_f16_f32_e32 v49, v6
	s_wait_loadcnt 0x0
	v_and_b32_e32 v6, 0xff, v66
	s_delay_alu instid0(VALU_DEP_2) | instskip(NEXT) | instid1(VALU_DEP_2)
	v_fma_mix_f32 v14, v49, v1, v14 op_sel:[0,1,0] op_sel_hi:[1,1,0]
	v_sub_nc_u32_e32 v6, v6, v33
	s_delay_alu instid0(VALU_DEP_1) | instskip(NEXT) | instid1(VALU_DEP_1)
	v_cvt_f32_i32_e32 v6, v6
	v_cvt_f16_f32_e32 v51, v6
	v_bfe_u32 v6, v66, 8, 8
	s_delay_alu instid0(VALU_DEP_2) | instskip(NEXT) | instid1(VALU_DEP_2)
	v_fma_mix_f32 v14, v51, v2, v14 op_sel_hi:[1,1,0]
	v_sub_nc_u32_e32 v6, v6, v33
	s_delay_alu instid0(VALU_DEP_1) | instskip(NEXT) | instid1(VALU_DEP_1)
	v_cvt_f32_i32_e32 v6, v6
	v_cvt_f16_f32_e32 v53, v6
	v_bfe_u32 v6, v66, 16, 8
	s_delay_alu instid0(VALU_DEP_2) | instskip(NEXT) | instid1(VALU_DEP_2)
	v_fma_mix_f32 v14, v53, v2, v14 op_sel:[0,1,0] op_sel_hi:[1,1,0]
	v_sub_nc_u32_e32 v6, v6, v33
	s_delay_alu instid0(VALU_DEP_1) | instskip(NEXT) | instid1(VALU_DEP_1)
	v_cvt_f32_i32_e32 v6, v6
	v_cvt_f16_f32_e32 v55, v6
	v_lshrrev_b32_e32 v6, 24, v66
	s_delay_alu instid0(VALU_DEP_2) | instskip(NEXT) | instid1(VALU_DEP_2)
	v_fma_mix_f32 v14, v55, v3, v14 op_sel_hi:[1,1,0]
	v_sub_nc_u32_e32 v6, v6, v33
	s_delay_alu instid0(VALU_DEP_1) | instskip(NEXT) | instid1(VALU_DEP_1)
	v_cvt_f32_i32_e32 v6, v6
	v_cvt_f16_f32_e32 v56, v6
	v_and_b32_e32 v6, 0xff, v63
	s_delay_alu instid0(VALU_DEP_2) | instskip(NEXT) | instid1(VALU_DEP_2)
	v_fma_mix_f32 v14, v56, v3, v14 op_sel:[0,1,0] op_sel_hi:[1,1,0]
	v_sub_nc_u32_e32 v6, v6, v32
	s_delay_alu instid0(VALU_DEP_2) | instskip(NEXT) | instid1(VALU_DEP_2)
	v_fma_mixlo_f16 v14, v14, v18, 0 op_sel_hi:[0,1,0]
	v_cvt_f32_i32_e32 v6, v6
	s_delay_alu instid0(VALU_DEP_2) | instskip(NEXT) | instid1(VALU_DEP_2)
	v_add_f16_e32 v14, v74, v14
	v_cvt_f16_f32_e32 v36, v6
	v_bfe_u32 v6, v63, 8, 8
	s_delay_alu instid0(VALU_DEP_2) | instskip(NEXT) | instid1(VALU_DEP_2)
	v_fma_mix_f32 v15, v36, v0, 0 op_sel_hi:[1,1,0]
	v_sub_nc_u32_e32 v6, v6, v32
	s_delay_alu instid0(VALU_DEP_1) | instskip(NEXT) | instid1(VALU_DEP_1)
	v_cvt_f32_i32_e32 v6, v6
	v_cvt_f16_f32_e32 v38, v6
	v_bfe_u32 v6, v63, 16, 8
	s_delay_alu instid0(VALU_DEP_2) | instskip(NEXT) | instid1(VALU_DEP_2)
	v_fma_mix_f32 v15, v38, v0, v15 op_sel:[0,1,0] op_sel_hi:[1,1,0]
	v_sub_nc_u32_e32 v6, v6, v32
	s_delay_alu instid0(VALU_DEP_1) | instskip(NEXT) | instid1(VALU_DEP_1)
	v_cvt_f32_i32_e32 v6, v6
	v_cvt_f16_f32_e32 v41, v6
	v_lshrrev_b32_e32 v6, 24, v63
	s_delay_alu instid0(VALU_DEP_2) | instskip(NEXT) | instid1(VALU_DEP_2)
	v_fma_mix_f32 v15, v41, v1, v15 op_sel_hi:[1,1,0]
	v_sub_nc_u32_e32 v6, v6, v32
	s_delay_alu instid0(VALU_DEP_1) | instskip(NEXT) | instid1(VALU_DEP_1)
	v_cvt_f32_i32_e32 v6, v6
	v_cvt_f16_f32_e32 v44, v6
	v_and_b32_e32 v6, 0xff, v67
	s_delay_alu instid0(VALU_DEP_2) | instskip(NEXT) | instid1(VALU_DEP_2)
	v_fma_mix_f32 v15, v44, v1, v15 op_sel:[0,1,0] op_sel_hi:[1,1,0]
	v_sub_nc_u32_e32 v6, v6, v32
	s_delay_alu instid0(VALU_DEP_1) | instskip(NEXT) | instid1(VALU_DEP_1)
	v_cvt_f32_i32_e32 v6, v6
	v_cvt_f16_f32_e32 v47, v6
	v_bfe_u32 v6, v67, 8, 8
	s_delay_alu instid0(VALU_DEP_2) | instskip(NEXT) | instid1(VALU_DEP_2)
	v_fma_mix_f32 v15, v47, v2, v15 op_sel_hi:[1,1,0]
	v_sub_nc_u32_e32 v6, v6, v32
	s_delay_alu instid0(VALU_DEP_1) | instskip(NEXT) | instid1(VALU_DEP_1)
	v_cvt_f32_i32_e32 v6, v6
	v_cvt_f16_f32_e32 v50, v6
	v_bfe_u32 v6, v67, 16, 8
	s_delay_alu instid0(VALU_DEP_2) | instskip(NEXT) | instid1(VALU_DEP_2)
	v_fma_mix_f32 v15, v50, v2, v15 op_sel:[0,1,0] op_sel_hi:[1,1,0]
	v_sub_nc_u32_e32 v6, v6, v32
	s_delay_alu instid0(VALU_DEP_1) | instskip(NEXT) | instid1(VALU_DEP_1)
	v_cvt_f32_i32_e32 v6, v6
	v_cvt_f16_f32_e32 v52, v6
	v_lshrrev_b32_e32 v6, 24, v67
	s_delay_alu instid0(VALU_DEP_2) | instskip(NEXT) | instid1(VALU_DEP_2)
	v_fma_mix_f32 v15, v52, v3, v15 op_sel_hi:[1,1,0]
	v_sub_nc_u32_e32 v6, v6, v32
	s_delay_alu instid0(VALU_DEP_1) | instskip(NEXT) | instid1(VALU_DEP_1)
	v_cvt_f32_i32_e32 v6, v6
	v_cvt_f16_f32_e32 v54, v6
	v_and_b32_e32 v6, 0xff, v64
	s_delay_alu instid0(VALU_DEP_2) | instskip(NEXT) | instid1(VALU_DEP_2)
	v_fma_mix_f32 v15, v54, v3, v15 op_sel:[0,1,0] op_sel_hi:[1,1,0]
	v_sub_nc_u32_e32 v6, v6, v31
	s_delay_alu instid0(VALU_DEP_2) | instskip(NEXT) | instid1(VALU_DEP_2)
	v_fma_mixlo_f16 v15, v15, v18, 0 op_sel:[0,1,0] op_sel_hi:[0,1,0]
	v_cvt_f32_i32_e32 v6, v6
	s_delay_alu instid0(VALU_DEP_2) | instskip(NEXT) | instid1(VALU_DEP_2)
	v_add_f16_e32 v15, v75, v15
	v_cvt_f16_f32_e32 v33, v6
	v_bfe_u32 v6, v64, 8, 8
	s_delay_alu instid0(VALU_DEP_3) | instskip(NEXT) | instid1(VALU_DEP_3)
	v_pack_b32_f16 v15, v14, v15
	v_fma_mix_f32 v14, v33, v0, 0 op_sel_hi:[1,1,0]
	s_delay_alu instid0(VALU_DEP_3) | instskip(NEXT) | instid1(VALU_DEP_1)
	v_sub_nc_u32_e32 v6, v6, v31
	v_cvt_f32_i32_e32 v6, v6
	s_delay_alu instid0(VALU_DEP_1) | instskip(SKIP_1) | instid1(VALU_DEP_2)
	v_cvt_f16_f32_e32 v34, v6
	v_bfe_u32 v6, v64, 16, 8
	v_fma_mix_f32 v14, v34, v0, v14 op_sel:[0,1,0] op_sel_hi:[1,1,0]
	s_delay_alu instid0(VALU_DEP_2) | instskip(NEXT) | instid1(VALU_DEP_1)
	v_sub_nc_u32_e32 v6, v6, v31
	v_cvt_f32_i32_e32 v6, v6
	s_delay_alu instid0(VALU_DEP_1) | instskip(SKIP_1) | instid1(VALU_DEP_2)
	v_cvt_f16_f32_e32 v35, v6
	v_lshrrev_b32_e32 v6, 24, v64
	v_fma_mix_f32 v14, v35, v1, v14 op_sel_hi:[1,1,0]
	s_delay_alu instid0(VALU_DEP_2) | instskip(NEXT) | instid1(VALU_DEP_1)
	v_sub_nc_u32_e32 v6, v6, v31
	v_cvt_f32_i32_e32 v6, v6
	s_delay_alu instid0(VALU_DEP_1) | instskip(SKIP_1) | instid1(VALU_DEP_2)
	v_cvt_f16_f32_e32 v37, v6
	v_and_b32_e32 v6, 0xff, v68
	v_fma_mix_f32 v14, v37, v1, v14 op_sel:[0,1,0] op_sel_hi:[1,1,0]
	s_delay_alu instid0(VALU_DEP_2) | instskip(NEXT) | instid1(VALU_DEP_1)
	v_sub_nc_u32_e32 v6, v6, v31
	v_cvt_f32_i32_e32 v6, v6
	s_delay_alu instid0(VALU_DEP_1) | instskip(SKIP_1) | instid1(VALU_DEP_2)
	v_cvt_f16_f32_e32 v39, v6
	v_bfe_u32 v6, v68, 8, 8
	v_fma_mix_f32 v14, v39, v2, v14 op_sel_hi:[1,1,0]
	s_delay_alu instid0(VALU_DEP_2) | instskip(NEXT) | instid1(VALU_DEP_1)
	v_sub_nc_u32_e32 v6, v6, v31
	v_cvt_f32_i32_e32 v6, v6
	s_delay_alu instid0(VALU_DEP_1) | instskip(SKIP_1) | instid1(VALU_DEP_2)
	v_cvt_f16_f32_e32 v42, v6
	v_bfe_u32 v6, v68, 16, 8
	v_fma_mix_f32 v14, v42, v2, v14 op_sel:[0,1,0] op_sel_hi:[1,1,0]
	s_delay_alu instid0(VALU_DEP_2) | instskip(NEXT) | instid1(VALU_DEP_1)
	v_sub_nc_u32_e32 v6, v6, v31
	v_cvt_f32_i32_e32 v6, v6
	s_delay_alu instid0(VALU_DEP_1) | instskip(SKIP_1) | instid1(VALU_DEP_2)
	v_cvt_f16_f32_e32 v45, v6
	v_lshrrev_b32_e32 v6, 24, v68
	v_fma_mix_f32 v14, v45, v3, v14 op_sel_hi:[1,1,0]
	s_delay_alu instid0(VALU_DEP_2) | instskip(NEXT) | instid1(VALU_DEP_1)
	v_sub_nc_u32_e32 v6, v6, v31
	v_cvt_f32_i32_e32 v6, v6
	s_delay_alu instid0(VALU_DEP_1) | instskip(SKIP_1) | instid1(VALU_DEP_2)
	v_cvt_f16_f32_e32 v48, v6
	v_and_b32_e32 v6, 0xff, v65
	v_fma_mix_f32 v14, v48, v3, v14 op_sel:[0,1,0] op_sel_hi:[1,1,0]
	s_delay_alu instid0(VALU_DEP_2) | instskip(NEXT) | instid1(VALU_DEP_2)
	v_sub_nc_u32_e32 v6, v6, v30
	v_fma_mixlo_f16 v14, v14, v19, 0 op_sel_hi:[0,1,0]
	s_delay_alu instid0(VALU_DEP_2) | instskip(NEXT) | instid1(VALU_DEP_2)
	v_cvt_f32_i32_e32 v6, v6
	v_add_f16_e32 v14, v76, v14
	s_delay_alu instid0(VALU_DEP_2) | instskip(SKIP_1) | instid1(VALU_DEP_2)
	v_cvt_f16_f32_e32 v32, v6
	v_bfe_u32 v6, v65, 8, 8
	v_fma_mix_f32 v22, v32, v0, 0 op_sel_hi:[1,1,0]
	s_delay_alu instid0(VALU_DEP_2) | instskip(NEXT) | instid1(VALU_DEP_1)
	v_sub_nc_u32_e32 v6, v6, v30
	v_cvt_f32_i32_e32 v6, v6
	s_delay_alu instid0(VALU_DEP_1) | instskip(SKIP_1) | instid1(VALU_DEP_2)
	v_cvt_f16_f32_e32 v31, v6
	v_bfe_u32 v6, v65, 16, 8
	v_fma_mix_f32 v0, v31, v0, v22 op_sel:[0,1,0] op_sel_hi:[1,1,0]
	s_delay_alu instid0(VALU_DEP_2) | instskip(NEXT) | instid1(VALU_DEP_1)
	v_sub_nc_u32_e32 v6, v6, v30
	v_cvt_f32_i32_e32 v6, v6
	s_delay_alu instid0(VALU_DEP_1) | instskip(SKIP_1) | instid1(VALU_DEP_2)
	v_cvt_f16_f32_e32 v13, v6
	v_lshrrev_b32_e32 v6, 24, v65
	v_fma_mix_f32 v0, v13, v1, v0 op_sel_hi:[1,1,0]
	s_delay_alu instid0(VALU_DEP_2) | instskip(NEXT) | instid1(VALU_DEP_1)
	v_sub_nc_u32_e32 v6, v6, v30
	v_cvt_f32_i32_e32 v6, v6
	s_delay_alu instid0(VALU_DEP_1) | instskip(SKIP_1) | instid1(VALU_DEP_2)
	v_cvt_f16_f32_e32 v11, v6
	v_and_b32_e32 v6, 0xff, v69
	v_fma_mix_f32 v0, v11, v1, v0 op_sel:[0,1,0] op_sel_hi:[1,1,0]
	s_delay_alu instid0(VALU_DEP_2) | instskip(NEXT) | instid1(VALU_DEP_1)
	v_sub_nc_u32_e32 v6, v6, v30
	v_cvt_f32_i32_e32 v6, v6
	s_delay_alu instid0(VALU_DEP_1) | instskip(SKIP_1) | instid1(VALU_DEP_2)
	v_cvt_f16_f32_e32 v10, v6
	v_bfe_u32 v6, v69, 8, 8
	v_fma_mix_f32 v0, v10, v2, v0 op_sel_hi:[1,1,0]
	s_delay_alu instid0(VALU_DEP_2) | instskip(NEXT) | instid1(VALU_DEP_1)
	v_sub_nc_u32_e32 v6, v6, v30
	v_cvt_f32_i32_e32 v6, v6
	s_delay_alu instid0(VALU_DEP_1) | instskip(SKIP_1) | instid1(VALU_DEP_2)
	v_cvt_f16_f32_e32 v9, v6
	v_bfe_u32 v6, v69, 16, 8
	v_fma_mix_f32 v0, v9, v2, v0 op_sel:[0,1,0] op_sel_hi:[1,1,0]
	s_delay_alu instid0(VALU_DEP_2) | instskip(NEXT) | instid1(VALU_DEP_1)
	v_sub_nc_u32_e32 v6, v6, v30
	v_cvt_f32_i32_e32 v6, v6
	s_delay_alu instid0(VALU_DEP_1) | instskip(SKIP_1) | instid1(VALU_DEP_2)
	v_cvt_f16_f32_e32 v7, v6
	v_lshrrev_b32_e32 v6, 24, v69
	v_fma_mix_f32 v0, v7, v3, v0 op_sel_hi:[1,1,0]
	s_delay_alu instid0(VALU_DEP_2) | instskip(NEXT) | instid1(VALU_DEP_1)
	v_sub_nc_u32_e32 v6, v6, v30
	v_cvt_f32_i32_e32 v6, v6
	s_delay_alu instid0(VALU_DEP_1) | instskip(NEXT) | instid1(VALU_DEP_1)
	v_cvt_f16_f32_e32 v6, v6
	v_fma_mix_f32 v0, v6, v3, v0 op_sel:[0,1,0] op_sel_hi:[1,1,0]
	s_delay_alu instid0(VALU_DEP_1) | instskip(NEXT) | instid1(VALU_DEP_1)
	v_fma_mixlo_f16 v0, v0, v19, 0 op_sel:[0,1,0] op_sel_hi:[0,1,0]
	v_add_f16_e32 v0, v77, v0
	s_delay_alu instid0(VALU_DEP_1)
	v_pack_b32_f16 v14, v14, v0
	ds_load_b128 v[0:3], v29 offset:304
	s_wait_dscnt 0x0
	v_fma_mix_f32 v22, v40, v0, 0 op_sel_hi:[1,1,0]
	v_fma_mix_f32 v23, v36, v0, 0 op_sel_hi:[1,1,0]
	;; [unrolled: 1-line block ×3, first 2 shown]
	s_delay_alu instid0(VALU_DEP_3) | instskip(NEXT) | instid1(VALU_DEP_3)
	v_fma_mix_f32 v22, v43, v0, v22 op_sel:[0,1,0] op_sel_hi:[1,1,0]
	v_fma_mix_f32 v23, v38, v0, v23 op_sel:[0,1,0] op_sel_hi:[1,1,0]
	s_delay_alu instid0(VALU_DEP_2) | instskip(NEXT) | instid1(VALU_DEP_2)
	v_fma_mix_f32 v22, v46, v1, v22 op_sel_hi:[1,1,0]
	v_fma_mix_f32 v23, v41, v1, v23 op_sel_hi:[1,1,0]
	s_delay_alu instid0(VALU_DEP_2) | instskip(NEXT) | instid1(VALU_DEP_2)
	v_fma_mix_f32 v22, v49, v1, v22 op_sel:[0,1,0] op_sel_hi:[1,1,0]
	v_fma_mix_f32 v23, v44, v1, v23 op_sel:[0,1,0] op_sel_hi:[1,1,0]
	s_delay_alu instid0(VALU_DEP_2) | instskip(NEXT) | instid1(VALU_DEP_2)
	v_fma_mix_f32 v22, v51, v2, v22 op_sel_hi:[1,1,0]
	v_fma_mix_f32 v23, v47, v2, v23 op_sel_hi:[1,1,0]
	s_delay_alu instid0(VALU_DEP_2) | instskip(NEXT) | instid1(VALU_DEP_2)
	v_fma_mix_f32 v22, v53, v2, v22 op_sel:[0,1,0] op_sel_hi:[1,1,0]
	v_fma_mix_f32 v23, v50, v2, v23 op_sel:[0,1,0] op_sel_hi:[1,1,0]
	s_delay_alu instid0(VALU_DEP_2) | instskip(NEXT) | instid1(VALU_DEP_2)
	v_fma_mix_f32 v22, v55, v3, v22 op_sel_hi:[1,1,0]
	v_fma_mix_f32 v23, v52, v3, v23 op_sel_hi:[1,1,0]
	s_delay_alu instid0(VALU_DEP_2) | instskip(NEXT) | instid1(VALU_DEP_2)
	v_fma_mix_f32 v22, v56, v3, v22 op_sel:[0,1,0] op_sel_hi:[1,1,0]
	v_fma_mix_f32 v23, v54, v3, v23 op_sel:[0,1,0] op_sel_hi:[1,1,0]
	s_delay_alu instid0(VALU_DEP_2) | instskip(NEXT) | instid1(VALU_DEP_2)
	v_fma_mixlo_f16 v22, v22, v18, 0 op_sel_hi:[0,1,0]
	v_fma_mixlo_f16 v23, v23, v18, 0 op_sel:[0,1,0] op_sel_hi:[0,1,0]
	s_delay_alu instid0(VALU_DEP_2) | instskip(NEXT) | instid1(VALU_DEP_2)
	v_add_f16_e32 v22, v59, v22
	v_add_f16_e32 v23, v60, v23
	s_delay_alu instid0(VALU_DEP_1) | instskip(SKIP_1) | instid1(VALU_DEP_1)
	v_pack_b32_f16 v23, v22, v23
	v_fma_mix_f32 v22, v33, v0, 0 op_sel_hi:[1,1,0]
	v_fma_mix_f32 v22, v34, v0, v22 op_sel:[0,1,0] op_sel_hi:[1,1,0]
	v_fma_mix_f32 v0, v31, v0, v30 op_sel:[0,1,0] op_sel_hi:[1,1,0]
	s_delay_alu instid0(VALU_DEP_2) | instskip(NEXT) | instid1(VALU_DEP_2)
	v_fma_mix_f32 v22, v35, v1, v22 op_sel_hi:[1,1,0]
	v_fma_mix_f32 v0, v13, v1, v0 op_sel_hi:[1,1,0]
	s_delay_alu instid0(VALU_DEP_2) | instskip(NEXT) | instid1(VALU_DEP_2)
	v_fma_mix_f32 v22, v37, v1, v22 op_sel:[0,1,0] op_sel_hi:[1,1,0]
	v_fma_mix_f32 v0, v11, v1, v0 op_sel:[0,1,0] op_sel_hi:[1,1,0]
	s_delay_alu instid0(VALU_DEP_2) | instskip(NEXT) | instid1(VALU_DEP_2)
	v_fma_mix_f32 v22, v39, v2, v22 op_sel_hi:[1,1,0]
	v_fma_mix_f32 v0, v10, v2, v0 op_sel_hi:[1,1,0]
	s_delay_alu instid0(VALU_DEP_2) | instskip(NEXT) | instid1(VALU_DEP_2)
	;; [unrolled: 6-line block ×3, first 2 shown]
	v_fma_mix_f32 v22, v48, v3, v22 op_sel:[0,1,0] op_sel_hi:[1,1,0]
	v_fma_mix_f32 v0, v6, v3, v0 op_sel:[0,1,0] op_sel_hi:[1,1,0]
	s_delay_alu instid0(VALU_DEP_2) | instskip(NEXT) | instid1(VALU_DEP_2)
	v_fma_mixlo_f16 v22, v22, v19, 0 op_sel_hi:[0,1,0]
	v_fma_mixlo_f16 v0, v0, v19, 0 op_sel:[0,1,0] op_sel_hi:[0,1,0]
	s_delay_alu instid0(VALU_DEP_2) | instskip(NEXT) | instid1(VALU_DEP_2)
	v_add_f16_e32 v22, v57, v22
	v_add_f16_e32 v0, v58, v0
	s_delay_alu instid0(VALU_DEP_1) | instskip(SKIP_3) | instid1(VALU_DEP_1)
	v_pack_b32_f16 v22, v22, v0
	ds_load_b128 v[0:3], v29 offset:560
	s_wait_dscnt 0x0
	v_fma_mix_f32 v29, v40, v0, 0 op_sel_hi:[1,1,0]
	v_fma_mix_f32 v29, v43, v0, v29 op_sel:[0,1,0] op_sel_hi:[1,1,0]
	s_delay_alu instid0(VALU_DEP_1) | instskip(NEXT) | instid1(VALU_DEP_1)
	v_fma_mix_f32 v29, v46, v1, v29 op_sel_hi:[1,1,0]
	v_fma_mix_f32 v29, v49, v1, v29 op_sel:[0,1,0] op_sel_hi:[1,1,0]
	s_delay_alu instid0(VALU_DEP_1) | instskip(NEXT) | instid1(VALU_DEP_1)
	;; [unrolled: 3-line block ×4, first 2 shown]
	v_fma_mixlo_f16 v29, v29, v18, 0 op_sel_hi:[0,1,0]
	v_add_f16_e32 v12, v12, v29
	v_fma_mix_f32 v29, v36, v0, 0 op_sel_hi:[1,1,0]
	s_delay_alu instid0(VALU_DEP_1) | instskip(NEXT) | instid1(VALU_DEP_1)
	v_fma_mix_f32 v29, v38, v0, v29 op_sel:[0,1,0] op_sel_hi:[1,1,0]
	v_fma_mix_f32 v29, v41, v1, v29 op_sel_hi:[1,1,0]
	s_delay_alu instid0(VALU_DEP_1) | instskip(NEXT) | instid1(VALU_DEP_1)
	v_fma_mix_f32 v29, v44, v1, v29 op_sel:[0,1,0] op_sel_hi:[1,1,0]
	;; [unrolled: 3-line block ×4, first 2 shown]
	v_fma_mixlo_f16 v29, v29, v18, 0 op_sel:[0,1,0] op_sel_hi:[0,1,0]
	s_delay_alu instid0(VALU_DEP_1) | instskip(NEXT) | instid1(VALU_DEP_1)
	v_add_f16_e32 v8, v8, v29
	v_pack_b32_f16 v36, v12, v8
	v_fma_mix_f32 v8, v33, v0, 0 op_sel_hi:[1,1,0]
	s_delay_alu instid0(VALU_DEP_1) | instskip(NEXT) | instid1(VALU_DEP_1)
	v_fma_mix_f32 v8, v34, v0, v8 op_sel:[0,1,0] op_sel_hi:[1,1,0]
	v_fma_mix_f32 v8, v35, v1, v8 op_sel_hi:[1,1,0]
	s_delay_alu instid0(VALU_DEP_1) | instskip(NEXT) | instid1(VALU_DEP_1)
	v_fma_mix_f32 v8, v37, v1, v8 op_sel:[0,1,0] op_sel_hi:[1,1,0]
	;; [unrolled: 3-line block ×4, first 2 shown]
	v_fma_mixlo_f16 v8, v8, v19, 0 op_sel_hi:[0,1,0]
	s_delay_alu instid0(VALU_DEP_1) | instskip(SKIP_1) | instid1(VALU_DEP_1)
	v_add_f16_e32 v5, v5, v8
	v_fma_mix_f32 v8, v32, v0, 0 op_sel_hi:[1,1,0]
	v_fma_mix_f32 v0, v31, v0, v8 op_sel:[0,1,0] op_sel_hi:[1,1,0]
	s_delay_alu instid0(VALU_DEP_1) | instskip(NEXT) | instid1(VALU_DEP_1)
	v_fma_mix_f32 v0, v13, v1, v0 op_sel_hi:[1,1,0]
	v_fma_mix_f32 v0, v11, v1, v0 op_sel:[0,1,0] op_sel_hi:[1,1,0]
	s_delay_alu instid0(VALU_DEP_1) | instskip(NEXT) | instid1(VALU_DEP_1)
	;; [unrolled: 3-line block ×4, first 2 shown]
	v_fma_mixlo_f16 v0, v0, v19, 0 op_sel:[0,1,0] op_sel_hi:[0,1,0]
	v_add_f16_e32 v0, v4, v0
	s_delay_alu instid0(VALU_DEP_1)
	v_pack_b32_f16 v34, v5, v0
	s_cbranch_scc1 .LBB26_14
.LBB26_12:                              ; =>This Inner Loop Header: Depth=1
	s_cmp_lg_u32 s15, s18
	s_cbranch_scc1 .LBB26_11
; %bb.13:                               ;   in Loop: Header=BB26_12 Depth=1
	s_add_co_i32 s17, s17, 1
	s_add_co_i32 s18, s18, s0
	s_mul_i32 s5, s17, s4
	s_delay_alu instid0(SALU_CYCLE_1) | instskip(SKIP_3) | instid1(SALU_CYCLE_1)
	s_ashr_i32 s19, s5, 31
	s_wait_xcnt 0x0
	v_add_nc_u32_e32 v0, s5, v16
	s_lshr_b32 s19, s19, 30
	s_add_co_i32 s19, s5, s19
	s_delay_alu instid0(SALU_CYCLE_1) | instskip(NEXT) | instid1(SALU_CYCLE_1)
	s_ashr_i32 s5, s19, 2
	v_add_nc_u32_e32 v2, s5, v24
	global_load_b32 v2, v2, s[2:3] scale_offset
	s_wait_loadcnt 0x0
	v_dual_lshrrev_b32 v28, 24, v2 :: v_dual_ashrrev_i32 v1, 31, v0
	v_and_b32_e32 v17, 0xff, v2
	v_bfe_u32 v26, v2, 8, 8
	v_bfe_u32 v27, v2, 16, 8
	s_delay_alu instid0(VALU_DEP_4)
	v_lshl_add_u64 v[0:1], v[0:1], 1, s[8:9]
	global_load_b64 v[18:19], v[0:1], off
	s_branch .LBB26_11
.LBB26_14:
	v_mad_u32 v0, s14, s4, v16
	s_mov_b32 s0, 0
	s_delay_alu instid0(VALU_DEP_1) | instskip(SKIP_1) | instid1(VALU_DEP_1)
	v_ashrrev_i32_e32 v1, 31, v0
	s_wait_kmcnt 0x0
	v_lshl_add_u64 v[2:3], v[0:1], 1, s[10:11]
	global_load_b32 v5, v[2:3], off
.LBB26_15:                              ; =>This Inner Loop Header: Depth=1
	s_wait_loadcnt 0x0
	v_pk_add_f16 v4, v15, v5
	global_atomic_cmpswap_b32 v1, v[2:3], v[4:5], off th:TH_ATOMIC_RETURN scope:SCOPE_DEV
	s_wait_loadcnt 0x0
	v_cmp_eq_u32_e32 vcc_lo, v5, v1
	v_mov_b32_e32 v5, v1
	s_or_b32 s0, vcc_lo, s0
	s_delay_alu instid0(SALU_CYCLE_1)
	s_and_not1_b32 exec_lo, exec_lo, s0
	s_cbranch_execnz .LBB26_15
; %bb.16:
	s_or_b32 exec_lo, exec_lo, s0
	global_load_b32 v5, v[2:3], off offset:4
	s_mov_b32 s0, 0
.LBB26_17:                              ; =>This Inner Loop Header: Depth=1
	s_wait_loadcnt 0x0
	v_pk_add_f16 v4, v14, v5
	global_atomic_cmpswap_b32 v1, v[2:3], v[4:5], off offset:4 th:TH_ATOMIC_RETURN scope:SCOPE_DEV
	s_wait_loadcnt 0x0
	v_cmp_eq_u32_e32 vcc_lo, v5, v1
	v_mov_b32_e32 v5, v1
	s_or_b32 s0, vcc_lo, s0
	s_delay_alu instid0(SALU_CYCLE_1)
	s_and_not1_b32 exec_lo, exec_lo, s0
	s_cbranch_execnz .LBB26_17
; %bb.18:
	s_or_b32 exec_lo, exec_lo, s0
	v_add_nc_u32_e32 v0, s4, v0
	s_mov_b32 s0, 0
	s_delay_alu instid0(VALU_DEP_1) | instskip(NEXT) | instid1(VALU_DEP_1)
	v_ashrrev_i32_e32 v1, 31, v0
	v_lshl_add_u64 v[2:3], v[0:1], 1, s[10:11]
	global_load_b32 v5, v[2:3], off
.LBB26_19:                              ; =>This Inner Loop Header: Depth=1
	s_wait_loadcnt 0x0
	v_pk_add_f16 v4, v23, v5
	global_atomic_cmpswap_b32 v1, v[2:3], v[4:5], off th:TH_ATOMIC_RETURN scope:SCOPE_DEV
	s_wait_loadcnt 0x0
	v_cmp_eq_u32_e32 vcc_lo, v5, v1
	v_mov_b32_e32 v5, v1
	s_or_b32 s0, vcc_lo, s0
	s_delay_alu instid0(SALU_CYCLE_1)
	s_and_not1_b32 exec_lo, exec_lo, s0
	s_cbranch_execnz .LBB26_19
; %bb.20:
	s_or_b32 exec_lo, exec_lo, s0
	global_load_b32 v5, v[2:3], off offset:4
	s_mov_b32 s0, 0
.LBB26_21:                              ; =>This Inner Loop Header: Depth=1
	s_wait_loadcnt 0x0
	v_pk_add_f16 v4, v22, v5
	global_atomic_cmpswap_b32 v1, v[2:3], v[4:5], off offset:4 th:TH_ATOMIC_RETURN scope:SCOPE_DEV
	s_wait_loadcnt 0x0
	v_cmp_eq_u32_e32 vcc_lo, v5, v1
	v_mov_b32_e32 v5, v1
	s_or_b32 s0, vcc_lo, s0
	s_delay_alu instid0(SALU_CYCLE_1)
	s_and_not1_b32 exec_lo, exec_lo, s0
	s_cbranch_execnz .LBB26_21
; %bb.22:
	s_or_b32 exec_lo, exec_lo, s0
	v_add_nc_u32_e32 v0, s4, v0
	s_mov_b32 s0, 0
	s_delay_alu instid0(VALU_DEP_1) | instskip(NEXT) | instid1(VALU_DEP_1)
	v_ashrrev_i32_e32 v1, 31, v0
	v_lshl_add_u64 v[0:1], v[0:1], 1, s[10:11]
	global_load_b32 v3, v[0:1], off
.LBB26_23:                              ; =>This Inner Loop Header: Depth=1
	s_wait_loadcnt 0x0
	v_pk_add_f16 v2, v36, v3
	global_atomic_cmpswap_b32 v2, v[0:1], v[2:3], off th:TH_ATOMIC_RETURN scope:SCOPE_DEV
	s_wait_loadcnt 0x0
	v_cmp_eq_u32_e32 vcc_lo, v3, v2
	v_mov_b32_e32 v3, v2
	s_or_b32 s0, vcc_lo, s0
	s_delay_alu instid0(SALU_CYCLE_1)
	s_and_not1_b32 exec_lo, exec_lo, s0
	s_cbranch_execnz .LBB26_23
; %bb.24:
	s_or_b32 exec_lo, exec_lo, s0
	global_load_b32 v3, v[0:1], off offset:4
	s_mov_b32 s0, 0
.LBB26_25:                              ; =>This Inner Loop Header: Depth=1
	s_wait_loadcnt 0x0
	v_pk_add_f16 v2, v34, v3
	global_atomic_cmpswap_b32 v2, v[0:1], v[2:3], off offset:4 th:TH_ATOMIC_RETURN scope:SCOPE_DEV
	s_wait_loadcnt 0x0
	v_cmp_eq_u32_e32 vcc_lo, v3, v2
	v_mov_b32_e32 v3, v2
	s_or_b32 s0, vcc_lo, s0
	s_delay_alu instid0(SALU_CYCLE_1)
	s_and_not1_b32 exec_lo, exec_lo, s0
	s_cbranch_execnz .LBB26_25
.LBB26_26:
	s_endpgm
	.section	.rodata,"a",@progbits
	.p2align	6, 0x0
	.amdhsa_kernel _ZN4vllm4gptq33gemm_half_q_half_gptq_8bit_kernelILb1ELi3EEEvPK6__halfPKjS6_S4_PS2_iiiibPKi
		.amdhsa_group_segment_fixed_size 768
		.amdhsa_private_segment_fixed_size 0
		.amdhsa_kernarg_size 72
		.amdhsa_user_sgpr_count 2
		.amdhsa_user_sgpr_dispatch_ptr 0
		.amdhsa_user_sgpr_queue_ptr 0
		.amdhsa_user_sgpr_kernarg_segment_ptr 1
		.amdhsa_user_sgpr_dispatch_id 0
		.amdhsa_user_sgpr_kernarg_preload_length 0
		.amdhsa_user_sgpr_kernarg_preload_offset 0
		.amdhsa_user_sgpr_private_segment_size 0
		.amdhsa_wavefront_size32 1
		.amdhsa_uses_dynamic_stack 0
		.amdhsa_enable_private_segment 0
		.amdhsa_system_sgpr_workgroup_id_x 1
		.amdhsa_system_sgpr_workgroup_id_y 1
		.amdhsa_system_sgpr_workgroup_id_z 1
		.amdhsa_system_sgpr_workgroup_info 0
		.amdhsa_system_vgpr_workitem_id 0
		.amdhsa_next_free_vgpr 82
		.amdhsa_next_free_sgpr 21
		.amdhsa_named_barrier_count 0
		.amdhsa_reserve_vcc 1
		.amdhsa_float_round_mode_32 0
		.amdhsa_float_round_mode_16_64 0
		.amdhsa_float_denorm_mode_32 3
		.amdhsa_float_denorm_mode_16_64 3
		.amdhsa_fp16_overflow 0
		.amdhsa_memory_ordered 1
		.amdhsa_forward_progress 1
		.amdhsa_inst_pref_size 77
		.amdhsa_round_robin_scheduling 0
		.amdhsa_exception_fp_ieee_invalid_op 0
		.amdhsa_exception_fp_denorm_src 0
		.amdhsa_exception_fp_ieee_div_zero 0
		.amdhsa_exception_fp_ieee_overflow 0
		.amdhsa_exception_fp_ieee_underflow 0
		.amdhsa_exception_fp_ieee_inexact 0
		.amdhsa_exception_int_div_zero 0
	.end_amdhsa_kernel
	.section	.text._ZN4vllm4gptq33gemm_half_q_half_gptq_8bit_kernelILb1ELi3EEEvPK6__halfPKjS6_S4_PS2_iiiibPKi,"axG",@progbits,_ZN4vllm4gptq33gemm_half_q_half_gptq_8bit_kernelILb1ELi3EEEvPK6__halfPKjS6_S4_PS2_iiiibPKi,comdat
.Lfunc_end26:
	.size	_ZN4vllm4gptq33gemm_half_q_half_gptq_8bit_kernelILb1ELi3EEEvPK6__halfPKjS6_S4_PS2_iiiibPKi, .Lfunc_end26-_ZN4vllm4gptq33gemm_half_q_half_gptq_8bit_kernelILb1ELi3EEEvPK6__halfPKjS6_S4_PS2_iiiibPKi
                                        ; -- End function
	.set _ZN4vllm4gptq33gemm_half_q_half_gptq_8bit_kernelILb1ELi3EEEvPK6__halfPKjS6_S4_PS2_iiiibPKi.num_vgpr, 82
	.set _ZN4vllm4gptq33gemm_half_q_half_gptq_8bit_kernelILb1ELi3EEEvPK6__halfPKjS6_S4_PS2_iiiibPKi.num_agpr, 0
	.set _ZN4vllm4gptq33gemm_half_q_half_gptq_8bit_kernelILb1ELi3EEEvPK6__halfPKjS6_S4_PS2_iiiibPKi.numbered_sgpr, 21
	.set _ZN4vllm4gptq33gemm_half_q_half_gptq_8bit_kernelILb1ELi3EEEvPK6__halfPKjS6_S4_PS2_iiiibPKi.num_named_barrier, 0
	.set _ZN4vllm4gptq33gemm_half_q_half_gptq_8bit_kernelILb1ELi3EEEvPK6__halfPKjS6_S4_PS2_iiiibPKi.private_seg_size, 0
	.set _ZN4vllm4gptq33gemm_half_q_half_gptq_8bit_kernelILb1ELi3EEEvPK6__halfPKjS6_S4_PS2_iiiibPKi.uses_vcc, 1
	.set _ZN4vllm4gptq33gemm_half_q_half_gptq_8bit_kernelILb1ELi3EEEvPK6__halfPKjS6_S4_PS2_iiiibPKi.uses_flat_scratch, 0
	.set _ZN4vllm4gptq33gemm_half_q_half_gptq_8bit_kernelILb1ELi3EEEvPK6__halfPKjS6_S4_PS2_iiiibPKi.has_dyn_sized_stack, 0
	.set _ZN4vllm4gptq33gemm_half_q_half_gptq_8bit_kernelILb1ELi3EEEvPK6__halfPKjS6_S4_PS2_iiiibPKi.has_recursion, 0
	.set _ZN4vllm4gptq33gemm_half_q_half_gptq_8bit_kernelILb1ELi3EEEvPK6__halfPKjS6_S4_PS2_iiiibPKi.has_indirect_call, 0
	.section	.AMDGPU.csdata,"",@progbits
; Kernel info:
; codeLenInByte = 9832
; TotalNumSgprs: 23
; NumVgprs: 82
; ScratchSize: 0
; MemoryBound: 0
; FloatMode: 240
; IeeeMode: 1
; LDSByteSize: 768 bytes/workgroup (compile time only)
; SGPRBlocks: 0
; VGPRBlocks: 5
; NumSGPRsForWavesPerEU: 23
; NumVGPRsForWavesPerEU: 82
; NamedBarCnt: 0
; Occupancy: 10
; WaveLimiterHint : 0
; COMPUTE_PGM_RSRC2:SCRATCH_EN: 0
; COMPUTE_PGM_RSRC2:USER_SGPR: 2
; COMPUTE_PGM_RSRC2:TRAP_HANDLER: 0
; COMPUTE_PGM_RSRC2:TGID_X_EN: 1
; COMPUTE_PGM_RSRC2:TGID_Y_EN: 1
; COMPUTE_PGM_RSRC2:TGID_Z_EN: 1
; COMPUTE_PGM_RSRC2:TIDIG_COMP_CNT: 0
	.section	.text._ZN4vllm4gptq33gemm_half_q_half_gptq_2bit_kernelILb1ELi4EEEvPK6__halfPKjS6_S4_PS2_iiiibPKi,"axG",@progbits,_ZN4vllm4gptq33gemm_half_q_half_gptq_2bit_kernelILb1ELi4EEEvPK6__halfPKjS6_S4_PS2_iiiibPKi,comdat
	.protected	_ZN4vllm4gptq33gemm_half_q_half_gptq_2bit_kernelILb1ELi4EEEvPK6__halfPKjS6_S4_PS2_iiiibPKi ; -- Begin function _ZN4vllm4gptq33gemm_half_q_half_gptq_2bit_kernelILb1ELi4EEEvPK6__halfPKjS6_S4_PS2_iiiibPKi
	.globl	_ZN4vllm4gptq33gemm_half_q_half_gptq_2bit_kernelILb1ELi4EEEvPK6__halfPKjS6_S4_PS2_iiiibPKi
	.p2align	8
	.type	_ZN4vllm4gptq33gemm_half_q_half_gptq_2bit_kernelILb1ELi4EEEvPK6__halfPKjS6_S4_PS2_iiiibPKi,@function
_ZN4vllm4gptq33gemm_half_q_half_gptq_2bit_kernelILb1ELi4EEEvPK6__halfPKjS6_S4_PS2_iiiibPKi: ; @_ZN4vllm4gptq33gemm_half_q_half_gptq_2bit_kernelILb1ELi4EEEvPK6__halfPKjS6_S4_PS2_iiiibPKi
; %bb.0:
	s_load_b128 s[4:7], s[0:1], 0x2c
	s_bfe_u32 s2, ttmp6, 0x40010
	s_and_b32 s3, ttmp7, 0xffff
	s_add_co_i32 s2, s2, 1
	s_bfe_u32 s9, ttmp6, 0x40014
	s_mul_i32 s2, s3, s2
	s_bfe_u32 s8, ttmp6, 0x40004
	s_lshr_b32 s10, ttmp7, 16
	s_add_co_i32 s9, s9, 1
	s_add_co_i32 s8, s8, s2
	s_mul_i32 s2, s10, s9
	s_bfe_u32 s9, ttmp6, 0x40008
	s_getreg_b32 s17, hwreg(HW_REG_IB_STS2, 6, 4)
	s_add_co_i32 s9, s9, s2
	s_cmp_eq_u32 s17, 0
	s_mov_b32 s12, exec_lo
	s_cselect_b32 s2, s10, s9
	s_cselect_b32 s8, s3, s8
	s_lshl_b32 s15, s2, 7
	s_lshl_b32 s14, s8, 2
	s_add_co_i32 s2, s15, 0x80
	s_delay_alu instid0(SALU_CYCLE_1) | instskip(SKIP_3) | instid1(VALU_DEP_1)
	v_cvt_f64_u32_e32 v[2:3], s2
	s_load_b64 s[2:3], s[0:1], 0x10
	s_wait_kmcnt 0x0
	v_cvt_f64_i32_e32 v[4:5], s5
	v_min_num_f64_e32 v[2:3], v[2:3], v[4:5]
	s_delay_alu instid0(VALU_DEP_1) | instskip(SKIP_1) | instid1(VALU_DEP_2)
	v_cvt_i32_f64_e32 v1, v[2:3]
	v_add_nc_u32_e32 v2, s15, v0
	v_readfirstlane_b32 s16, v1
	s_delay_alu instid0(VALU_DEP_2)
	v_cmpx_lt_u32_e64 v2, v1
	s_cbranch_execz .LBB27_10
; %bb.1:
	s_clause 0x1
	s_load_b64 s[10:11], s[0:1], 0x40
	s_load_b64 s[8:9], s[0:1], 0x0
	v_mov_b32_e32 v3, 0
	s_delay_alu instid0(VALU_DEP_1)
	v_mov_b64_e32 v[6:7], v[2:3]
	s_wait_kmcnt 0x0
	v_lshl_add_u64 v[4:5], v[2:3], 2, s[10:11]
	s_cmp_lg_u64 s[10:11], 0
	s_cselect_b32 s13, -1, 0
	s_cmp_eq_u64 s[10:11], 0
	s_cbranch_scc1 .LBB27_3
; %bb.2:
	global_load_b32 v6, v[4:5], off
	s_wait_loadcnt 0x0
	v_ashrrev_i32_e32 v7, 31, v6
.LBB27_3:
	s_mul_i32 s10, s14, s5
	v_cndmask_b32_e64 v8, 0, 1, s13
	s_ashr_i32 s11, s10, 31
	v_lshlrev_b32_e32 v1, 1, v0
	s_lshl_b64 s[18:19], s[10:11], 1
	s_and_not1_b32 vcc_lo, exec_lo, s13
	s_add_nc_u64 s[18:19], s[8:9], s[18:19]
	s_delay_alu instid0(SALU_CYCLE_1)
	v_lshl_add_u64 v[6:7], v[6:7], 1, s[18:19]
	global_load_u16 v9, v[6:7], off
	s_wait_xcnt 0x0
	v_mov_b64_e32 v[6:7], v[2:3]
	s_wait_loadcnt 0x0
	ds_store_b16 v1, v9
	s_cbranch_vccnz .LBB27_5
; %bb.4:
	global_load_b32 v6, v[4:5], off
	s_wait_loadcnt 0x0
	v_ashrrev_i32_e32 v7, 31, v6
.LBB27_5:
	s_add_co_i32 s10, s10, s5
	v_cmp_ne_u32_e32 vcc_lo, 1, v8
	s_ashr_i32 s11, s10, 31
	s_delay_alu instid0(SALU_CYCLE_1) | instskip(SKIP_2) | instid1(SALU_CYCLE_1)
	s_lshl_b64 s[18:19], s[10:11], 1
	s_and_b32 vcc_lo, exec_lo, vcc_lo
	s_add_nc_u64 s[18:19], s[8:9], s[18:19]
	v_lshl_add_u64 v[6:7], v[6:7], 1, s[18:19]
	global_load_u16 v9, v[6:7], off
	s_wait_xcnt 0x0
	v_mov_b64_e32 v[6:7], v[2:3]
	s_wait_loadcnt 0x0
	ds_store_b16 v1, v9 offset:256
	s_cbranch_vccnz .LBB27_7
; %bb.6:
	global_load_b32 v6, v[4:5], off
	s_wait_loadcnt 0x0
	v_ashrrev_i32_e32 v7, 31, v6
.LBB27_7:
	s_add_co_i32 s10, s10, s5
	v_cmp_ne_u32_e32 vcc_lo, 1, v8
	s_ashr_i32 s11, s10, 31
	s_delay_alu instid0(SALU_CYCLE_1) | instskip(SKIP_2) | instid1(SALU_CYCLE_1)
	s_lshl_b64 s[18:19], s[10:11], 1
	s_and_b32 vcc_lo, exec_lo, vcc_lo
	s_add_nc_u64 s[18:19], s[8:9], s[18:19]
	v_lshl_add_u64 v[6:7], v[6:7], 1, s[18:19]
	global_load_u16 v6, v[6:7], off
	s_wait_loadcnt 0x0
	ds_store_b16 v1, v6 offset:512
	s_cbranch_vccnz .LBB27_9
; %bb.8:
	global_load_b32 v2, v[4:5], off
	s_wait_loadcnt 0x0
	v_ashrrev_i32_e32 v3, 31, v2
.LBB27_9:
	s_add_co_i32 s10, s10, s5
	s_delay_alu instid0(SALU_CYCLE_1) | instskip(NEXT) | instid1(SALU_CYCLE_1)
	s_ashr_i32 s11, s10, 31
	s_lshl_b64 s[10:11], s[10:11], 1
	s_delay_alu instid0(SALU_CYCLE_1) | instskip(NEXT) | instid1(SALU_CYCLE_1)
	s_add_nc_u64 s[8:9], s[8:9], s[10:11]
	v_lshl_add_u64 v[2:3], v[2:3], 1, s[8:9]
	global_load_u16 v2, v[2:3], off
	s_wait_loadcnt 0x0
	ds_store_b16 v1, v2 offset:768
.LBB27_10:
	s_or_b32 exec_lo, exec_lo, s12
	s_clause 0x1
	s_load_b64 s[12:13], s[0:1], 0x8
	s_load_b128 s[8:11], s[0:1], 0x18
	s_wait_xcnt 0x0
	s_bfe_u32 s0, ttmp6, 0x4000c
	s_and_b32 s1, ttmp6, 15
	s_add_co_i32 s0, s0, 1
	v_lshlrev_b32_e32 v1, 2, v0
	s_mul_i32 s0, ttmp9, s0
	s_delay_alu instid0(SALU_CYCLE_1)
	s_add_co_i32 s1, s1, s0
	s_cmp_eq_u32 s17, 0
	s_cselect_b32 s0, ttmp9, s1
	s_mov_b32 s1, 0
	v_lshl_add_u32 v4, s0, 9, v1
	s_mov_b32 s0, exec_lo
	s_delay_alu instid0(VALU_DEP_1)
	v_cmpx_gt_i32_e64 s4, v4
	s_cbranch_execz .LBB27_32
; %bb.11:
	s_abs_i32 s17, s6
	v_dual_mov_b32 v23, 0 :: v_dual_mov_b32 v22, 0
	s_cvt_f32_u32 s0, s17
	v_dual_mov_b32 v21, 0 :: v_dual_mov_b32 v20, 0
	v_dual_mov_b32 v19, 0 :: v_dual_mov_b32 v18, 0
	s_delay_alu instid0(SALU_CYCLE_1)
	v_rcp_iflag_f32_e32 v1, s0
	v_dual_mov_b32 v17, 0 :: v_dual_mov_b32 v16, 0
	s_cmp_ge_i32 s15, s16
	s_wait_dscnt 0x0
	s_barrier_signal -1
	s_barrier_wait -1
	s_delay_alu instid0(TRANS32_DEP_1)
	v_readfirstlane_b32 s0, v1
	s_cbranch_scc1 .LBB27_16
; %bb.12:
	s_mul_f32 s0, s0, 0x4f7ffffe
	s_ashr_i32 s6, s6, 31
	v_dual_mov_b32 v18, 0 :: v_dual_ashrrev_i32 v5, 31, v4
	v_mov_b32_e32 v19, 0
	s_cvt_u32_f32 s18, s0
	s_sub_co_i32 s0, 0, s17
	v_dual_mov_b32 v20, 0 :: v_dual_mov_b32 v21, 0
	s_delay_alu instid0(SALU_CYCLE_1)
	s_mul_i32 s19, s0, s18
	s_abs_i32 s0, s5
	s_mul_hi_u32 s20, s18, s19
	s_mov_b32 s19, s1
	s_add_co_i32 s18, s18, s20
	s_ashr_i32 s5, s5, 31
	s_mul_u64 s[18:19], s[0:1], s[18:19]
	s_xor_b32 s5, s5, s6
	s_mul_i32 s18, s19, s17
	s_add_co_i32 s6, s19, 1
	s_sub_co_i32 s0, s0, s18
	v_mov_b32_e32 v16, 0
	s_sub_co_i32 s18, s0, s17
	s_cmp_ge_u32 s0, s17
	v_mov_b32_e32 v17, 0
	s_cselect_b32 s6, s6, s19
	s_cselect_b32 s0, s18, s0
	s_add_co_i32 s18, s6, 1
	s_cmp_ge_u32 s0, s17
	s_mov_b32 s19, 0x30003
	s_cselect_b32 s0, s18, s6
	s_mov_b32 s18, 0x10001
	s_xor_b32 s0, s0, s5
	v_mov_b32_e32 v23, 0
	s_sub_co_i32 s0, s0, s5
	s_bitcmp1_b32 s7, 0
	s_cvt_f32_u32 s5, s0
	s_cselect_b32 s6, -1, 0
	s_sub_co_i32 s7, 0, s0
	s_xor_b32 s20, s6, -1
	v_rcp_iflag_f32_e32 v1, s5
	v_cndmask_b32_e64 v26, 0, 1, s20
	s_mov_b32 s20, 0xc000c0
	s_delay_alu instid0(TRANS32_DEP_1) | instskip(SKIP_1) | instid1(SALU_CYCLE_3)
	v_readfirstlane_b32 s5, v1
	s_mul_f32 s5, s5, 0x4f7ffffe
	s_cvt_u32_f32 s5, s5
	s_delay_alu instid0(SALU_CYCLE_3) | instskip(NEXT) | instid1(SALU_CYCLE_1)
	s_mul_i32 s7, s7, s5
	s_mul_hi_u32 s7, s5, s7
	s_delay_alu instid0(SALU_CYCLE_1) | instskip(NEXT) | instid1(SALU_CYCLE_1)
	s_add_co_i32 s5, s5, s7
	s_mul_hi_u32 s5, s15, s5
	s_delay_alu instid0(SALU_CYCLE_1) | instskip(NEXT) | instid1(SALU_CYCLE_1)
	s_mul_i32 s7, s5, s0
	s_sub_co_i32 s6, s15, s7
	s_add_co_i32 s7, s5, 1
	s_sub_co_i32 s17, s6, s0
	s_cmp_ge_u32 s6, s0
	s_cselect_b32 s5, s7, s5
	s_cselect_b32 s6, s17, s6
	s_add_co_i32 s7, s5, 1
	s_cmp_ge_u32 s6, s0
	s_cselect_b32 s17, s7, s5
	s_delay_alu instid0(SALU_CYCLE_1) | instskip(NEXT) | instid1(SALU_CYCLE_1)
	s_mul_i32 s5, s17, s4
	v_dual_lshrrev_b32 v1, 28, v5 :: v_dual_add_nc_u32 v2, s5, v4
	s_ashr_i32 s6, s5, 31
	s_delay_alu instid0(SALU_CYCLE_1) | instskip(NEXT) | instid1(VALU_DEP_1)
	s_lshr_b32 s6, s6, 28
	v_add_nc_u32_e32 v1, v4, v1
	s_add_co_i32 s6, s5, s6
	v_ashrrev_i32_e32 v3, 31, v2
	s_ashr_i32 s6, s6, 4
	s_lshr_b32 s5, s15, 4
	v_ashrrev_i32_e32 v24, 4, v1
	s_wait_kmcnt 0x0
	v_lshl_add_u64 v[2:3], v[2:3], 1, s[8:9]
	s_delay_alu instid0(VALU_DEP_2)
	v_add_nc_u32_e32 v1, s6, v24
	s_mul_i32 s6, s4, s5
	global_load_b64 v[6:7], v[2:3], off
	s_ashr_i32 s7, s6, 31
	s_wait_xcnt 0x0
	v_lshlrev_b32_e32 v2, 3, v0
	global_load_b32 v10, v1, s[2:3] scale_offset
	s_lshl_b64 s[6:7], s[6:7], 2
	v_mov_b32_e32 v22, 0
	s_add_nc_u64 s[6:7], s[12:13], s[6:7]
	v_and_b32_e32 v25, 24, v2
	s_wait_xcnt 0x0
	v_lshl_add_u64 v[0:1], v[4:5], 2, s[6:7]
	s_ashr_i32 s5, s4, 31
	s_add_co_i32 s12, s0, s15
	s_lshl_b64 s[6:7], s[4:5], 2
	s_mov_b32 s5, 0xc000c
	v_add_nc_u64_e32 v[8:9], 8, v[0:1]
	s_mov_b32 s13, 0x300030
	s_wait_loadcnt 0x0
	v_lshrrev_b32_e32 v2, v2, v10
	v_bfe_u32 v5, v10, v25, 2
	s_delay_alu instid0(VALU_DEP_2)
	v_bfe_u32 v27, v2, 2, 2
	v_bfe_u32 v28, v2, 4, 2
	;; [unrolled: 1-line block ×3, first 2 shown]
	s_branch .LBB27_14
.LBB27_13:                              ;   in Loop: Header=BB27_14 Depth=1
	global_load_b128 v[0:3], v[8:9], off offset:-8
	v_dual_add_nc_u32 v10, v5, v26 :: v_dual_add_nc_u32 v11, v27, v26
	v_dual_add_nc_u32 v12, v28, v26 :: v_dual_add_nc_u32 v13, v29, v26
	v_mov_b32_e32 v14, s1
	s_delay_alu instid0(VALU_DEP_3) | instskip(NEXT) | instid1(VALU_DEP_4)
	v_cvt_f32_i32_e32 v15, v10
	v_cvt_f32_i32_e32 v30, v11
	s_delay_alu instid0(VALU_DEP_4)
	v_cvt_f32_i32_e32 v32, v12
	v_and_b32_e32 v33, 0x1bff, v12
	v_cvt_f32_i32_e32 v12, v13
	v_and_b32_e32 v34, 0x1bff, v13
	v_cvt_f16_f32_e32 v51, v30
	v_and_b32_e32 v10, 0x1bff, v10
	v_and_b32_e32 v31, 0x1bff, v11
	v_cvt_f16_f32_e32 v50, v15
	v_cvt_f16_f32_e32 v52, v32
	;; [unrolled: 1-line block ×3, first 2 shown]
	v_sub_f16_e32 v30, 0xdc00, v51
	v_mad_u32_u24 v11, v10, s18, 0xe400e400
	v_mad_u32_u24 v10, v31, s18, 0xe400e400
	v_sub_f16_e32 v15, 0xdc00, v50
	v_sub_f16_e32 v31, 0xdc00, v41
	s_wait_xcnt 0x0
	v_add_nc_u64_e32 v[8:9], s[6:7], v[8:9]
	s_add_co_i32 s15, s15, 16
	s_add_co_i32 s1, s1, 32
	v_and_b32_e32 v15, 0xffff, v15
	s_cmp_ge_i32 s15, s16
	s_wait_loadcnt 0x0
	v_lshrrev_b32_e32 v13, 8, v0
	ds_load_2addr_b32 v[38:39], v14 offset1:1
	ds_load_2addr_b32 v[62:63], v14 offset0:64 offset1:65
	v_and_or_b32 v32, v0, s19, 0x64006400
	v_and_or_b32 v35, v0, s5, 0x64006400
	;; [unrolled: 1-line block ×8, first 2 shown]
	v_dual_lshrrev_b32 v12, 8, v1 :: v_dual_lshrrev_b32 v1, 8, v2
	v_and_or_b32 v40, v2, s19, 0x64006400
	v_and_or_b32 v58, v2, s5, 0x64006400
	;; [unrolled: 1-line block ×8, first 2 shown]
	v_lshrrev_b32_e32 v0, 8, v3
	v_sub_f16_e32 v2, 0xdc00, v52
	v_mad_u32_u24 v3, v33, s18, 0xe400e400
	v_and_b32_e32 v33, 0xffff, v30
	v_pk_add_f16 v55, v10, v36
	v_mul_u32_u24_e32 v30, 0x10001, v15
	v_and_b32_e32 v53, 0xffff, v2
	v_mad_u32_u24 v2, v34, s18, 0xe400e400
	v_and_b32_e32 v34, 0xffff, v31
	v_mul_u32_u24_e32 v31, 0x10001, v33
	v_pk_add_f16 v57, v3, v40
	v_mul_u32_u24_e32 v33, 0x10001, v53
	v_pk_add_f16 v53, v11, v32
	v_mul_u32_u24_e32 v15, 0x10001, v34
	v_pk_fma_f16 v56, 0x3400, v37, v31 op_sel_hi:[0,1,1]
	s_wait_dscnt 0x1
	v_pk_fma_f16 v34, v55, v38, 0
	v_pk_fma_f16 v54, 0x3400, v35, v30 op_sel_hi:[0,1,1]
	v_pk_fma_f16 v58, 0x3400, v58, v33 op_sel_hi:[0,1,1]
	v_pk_add_f16 v59, v2, v59
	v_pk_fma_f16 v32, v53, v38, 0
	v_pk_fma_f16 v35, v56, v39, v34
	;; [unrolled: 1-line block ×3, first 2 shown]
	v_pk_fma_f16 v60, 0x3400, v60, v15 op_sel_hi:[0,1,1]
	s_wait_dscnt 0x0
	v_pk_fma_f16 v36, v55, v62, 0
	v_pk_fma_f16 v32, v54, v39, v32
	;; [unrolled: 1-line block ×8, first 2 shown]
	s_delay_alu instid0(VALU_DEP_4) | instskip(SKIP_2) | instid1(VALU_DEP_2)
	v_pk_fma_f16 v39, v60, v39, v34
	v_pk_fma_f16 v34, v53, v62, 0
	;; [unrolled: 1-line block ×4, first 2 shown]
	ds_load_2addr_b32 v[62:63], v14 offset0:128 offset1:129
	s_wait_dscnt 0x0
	v_pk_fma_f16 v61, v53, v62, 0
	v_pk_fma_f16 v64, v55, v62, 0
	v_pk_fma_f16 v65, v57, v62, 0
	v_pk_fma_f16 v62, v59, v62, 0
	s_delay_alu instid0(VALU_DEP_4) | instskip(NEXT) | instid1(VALU_DEP_4)
	v_pk_fma_f16 v61, v54, v63, v61
	v_pk_fma_f16 v64, v56, v63, v64
	s_delay_alu instid0(VALU_DEP_4) | instskip(NEXT) | instid1(VALU_DEP_4)
	v_pk_fma_f16 v65, v58, v63, v65
	v_pk_fma_f16 v66, v60, v63, v62
	ds_load_2addr_b32 v[62:63], v14 offset0:192 offset1:193
	s_wait_dscnt 0x0
	v_pk_fma_f16 v53, v53, v62, 0
	s_delay_alu instid0(VALU_DEP_1) | instskip(SKIP_4) | instid1(VALU_DEP_4)
	v_pk_fma_f16 v53, v54, v63, v53
	v_pk_fma_f16 v54, v55, v62, 0
	;; [unrolled: 1-line block ×3, first 2 shown]
	v_sub_f16_e32 v57, 0xd400, v50
	v_sub_f16_e32 v50, 0xcc00, v50
	v_pk_fma_f16 v54, v56, v63, v54
	v_pk_fma_f16 v56, v59, v62, 0
	s_delay_alu instid0(VALU_DEP_4) | instskip(NEXT) | instid1(VALU_DEP_4)
	v_and_b32_e32 v57, 0xffff, v57
	v_and_b32_e32 v50, 0xffff, v50
	v_pk_fma_f16 v55, v58, v63, v55
	v_sub_f16_e32 v58, 0xd400, v51
	v_pk_fma_f16 v56, v60, v63, v56
	v_mul_u32_u24_e32 v57, 0x10001, v57
	v_mul_u32_u24_e32 v50, 0x10001, v50
	v_sub_f16_e32 v59, 0xd400, v52
	v_sub_f16_e32 v60, 0xd400, v41
	;; [unrolled: 1-line block ×3, first 2 shown]
	v_pk_fma_f16 v62, 0x2c00, v42, v57 op_sel_hi:[0,1,1]
	v_pk_fma_f16 v63, 0x2400, v43, v50 op_sel_hi:[0,1,1]
	ds_load_2addr_b32 v[42:43], v14 offset0:2 offset1:3
	v_sub_f16_e32 v52, 0xcc00, v52
	v_sub_f16_e32 v41, 0xcc00, v41
	v_and_b32_e32 v58, 0xffff, v58
	v_and_b32_e32 v59, 0xffff, v59
	;; [unrolled: 1-line block ×6, first 2 shown]
	v_mul_u32_u24_e32 v58, 0x10001, v58
	v_mul_u32_u24_e32 v59, 0x10001, v59
	;; [unrolled: 1-line block ×6, first 2 shown]
	v_pk_fma_f16 v44, 0x2c00, v44, v58 op_sel_hi:[0,1,1]
	v_pk_fma_f16 v46, 0x2c00, v46, v59 op_sel_hi:[0,1,1]
	;; [unrolled: 1-line block ×6, first 2 shown]
	s_wait_dscnt 0x0
	v_pk_fma_f16 v32, v62, v42, v32
	v_pk_fma_f16 v35, v44, v42, v35
	;; [unrolled: 1-line block ×4, first 2 shown]
	s_delay_alu instid0(VALU_DEP_4) | instskip(NEXT) | instid1(VALU_DEP_4)
	v_pk_fma_f16 v67, v63, v43, v32
	v_pk_fma_f16 v68, v45, v43, v35
	s_delay_alu instid0(VALU_DEP_4) | instskip(NEXT) | instid1(VALU_DEP_4)
	v_pk_fma_f16 v69, v47, v43, v37
	v_pk_fma_f16 v39, v49, v43, v39
	ds_load_2addr_b32 v[42:43], v14 offset0:66 offset1:67
	s_wait_dscnt 0x0
	v_pk_fma_f16 v32, v62, v42, v34
	v_pk_fma_f16 v34, v44, v42, v36
	;; [unrolled: 1-line block ×4, first 2 shown]
	s_delay_alu instid0(VALU_DEP_4) | instskip(NEXT) | instid1(VALU_DEP_4)
	v_pk_fma_f16 v70, v63, v43, v32
	v_pk_fma_f16 v71, v45, v43, v34
	s_delay_alu instid0(VALU_DEP_4)
	v_pk_fma_f16 v72, v47, v43, v35
	ds_load_2addr_b32 v[34:35], v14 offset0:130 offset1:131
	v_pk_fma_f16 v73, v49, v43, v36
	s_wait_dscnt 0x0
	v_pk_fma_f16 v32, v62, v34, v61
	v_pk_fma_f16 v36, v44, v34, v64
	;; [unrolled: 1-line block ×4, first 2 shown]
	s_delay_alu instid0(VALU_DEP_4) | instskip(NEXT) | instid1(VALU_DEP_4)
	v_pk_fma_f16 v61, v63, v35, v32
	v_pk_fma_f16 v64, v45, v35, v36
	s_delay_alu instid0(VALU_DEP_4) | instskip(NEXT) | instid1(VALU_DEP_4)
	v_pk_fma_f16 v65, v47, v35, v37
	v_pk_fma_f16 v66, v49, v35, v34
	ds_load_2addr_b32 v[34:35], v14 offset0:194 offset1:195
	s_wait_dscnt 0x0
	v_pk_fma_f16 v32, v62, v34, v53
	v_pk_fma_f16 v37, v46, v34, v55
	;; [unrolled: 1-line block ×4, first 2 shown]
	s_delay_alu instid0(VALU_DEP_4) | instskip(SKIP_2) | instid1(VALU_DEP_4)
	v_pk_fma_f16 v46, v63, v35, v32
	v_and_or_b32 v32, v13, s19, 0x64006400
	v_pk_fma_f16 v47, v47, v35, v37
	v_pk_fma_f16 v53, v49, v35, v34
	;; [unrolled: 1-line block ×3, first 2 shown]
	s_delay_alu instid0(VALU_DEP_4) | instskip(SKIP_1) | instid1(VALU_DEP_1)
	v_pk_add_f16 v48, v11, v32
	v_and_or_b32 v11, v13, s5, 0x64006400
	v_pk_fma_f16 v55, 0x3400, v11, v30 op_sel_hi:[0,1,1]
	v_and_or_b32 v11, v13, s13, 0x64006400
	s_delay_alu instid0(VALU_DEP_1) | instskip(SKIP_1) | instid1(VALU_DEP_1)
	v_pk_fma_f16 v32, 0x2c00, v11, v57 op_sel_hi:[0,1,1]
	v_and_or_b32 v11, v13, s20, 0x64006400
	v_pk_fma_f16 v30, 0x2400, v11, v50 op_sel_hi:[0,1,1]
	v_and_or_b32 v11, v12, s19, 0x64006400
	s_delay_alu instid0(VALU_DEP_1) | instskip(SKIP_1) | instid1(VALU_DEP_1)
	v_pk_add_f16 v13, v10, v11
	v_and_or_b32 v10, v12, s5, 0x64006400
	v_pk_fma_f16 v54, 0x3400, v10, v31 op_sel_hi:[0,1,1]
	v_and_or_b32 v10, v12, s13, 0x64006400
	s_delay_alu instid0(VALU_DEP_1) | instskip(SKIP_1) | instid1(VALU_DEP_1)
	v_pk_fma_f16 v34, 0x2c00, v10, v58 op_sel_hi:[0,1,1]
	v_and_or_b32 v10, v12, s20, 0x64006400
	v_pk_fma_f16 v31, 0x2400, v10, v51 op_sel_hi:[0,1,1]
	v_and_or_b32 v10, v1, s19, 0x64006400
	s_delay_alu instid0(VALU_DEP_1) | instskip(SKIP_1) | instid1(VALU_DEP_1)
	v_pk_add_f16 v12, v3, v10
	v_and_or_b32 v3, v1, s5, 0x64006400
	v_pk_fma_f16 v37, 0x3400, v3, v33 op_sel_hi:[0,1,1]
	v_and_or_b32 v3, v1, s13, 0x64006400
	v_and_or_b32 v1, v1, s20, 0x64006400
	s_delay_alu instid0(VALU_DEP_2) | instskip(SKIP_1) | instid1(VALU_DEP_3)
	v_pk_fma_f16 v35, 0x2c00, v3, v59 op_sel_hi:[0,1,1]
	v_and_or_b32 v3, v0, s19, 0x64006400
	v_pk_fma_f16 v33, 0x2400, v1, v52 op_sel_hi:[0,1,1]
	v_and_or_b32 v1, v0, s5, 0x64006400
	s_delay_alu instid0(VALU_DEP_3) | instskip(SKIP_1) | instid1(VALU_DEP_3)
	v_pk_add_f16 v56, v2, v3
	v_and_or_b32 v2, v0, s13, 0x64006400
	v_pk_fma_f16 v38, 0x3400, v1, v15 op_sel_hi:[0,1,1]
	v_and_or_b32 v0, v0, s20, 0x64006400
	s_delay_alu instid0(VALU_DEP_3)
	v_pk_fma_f16 v36, 0x2c00, v2, v60 op_sel_hi:[0,1,1]
	ds_load_2addr_b32 v[2:3], v14 offset0:4 offset1:5
	s_wait_dscnt 0x0
	v_pk_fma_f16 v1, v48, v2, v67
	v_pk_fma_f16 v10, v13, v2, v68
	;; [unrolled: 1-line block ×4, first 2 shown]
	v_pk_fma_f16 v39, 0x2400, v0, v41 op_sel_hi:[0,1,1]
	v_pk_fma_f16 v40, v55, v3, v1
	v_pk_fma_f16 v42, v54, v3, v10
	;; [unrolled: 1-line block ×4, first 2 shown]
	ds_load_2addr_b32 v[2:3], v14 offset0:68 offset1:69
	ds_load_2addr_b32 v[10:11], v14 offset0:132 offset1:133
	;; [unrolled: 1-line block ×3, first 2 shown]
	s_wait_dscnt 0x2
	v_pk_fma_f16 v15, v48, v2, v70
	s_wait_dscnt 0x1
	v_pk_fma_f16 v49, v48, v10, v61
	;; [unrolled: 2-line block ×3, first 2 shown]
	v_pk_fma_f16 v46, v13, v2, v71
	v_pk_fma_f16 v50, v13, v10, v64
	;; [unrolled: 1-line block ×12, first 2 shown]
	ds_load_2addr_b32 v[2:3], v14 offset0:6 offset1:7
	ds_load_2addr_b32 v[12:13], v14 offset0:134 offset1:135
	v_pk_fma_f16 v49, v55, v11, v49
	v_pk_fma_f16 v50, v54, v11, v50
	;; [unrolled: 1-line block ×4, first 2 shown]
	ds_load_2addr_b32 v[10:11], v14 offset0:70 offset1:71
	ds_load_2addr_b32 v[14:15], v14 offset0:198 offset1:199
	v_pk_fma_f16 v53, v56, v0, v53
	v_pk_fma_f16 v0, v55, v1, v57
	;; [unrolled: 1-line block ×4, first 2 shown]
	s_delay_alu instid0(VALU_DEP_4)
	v_pk_fma_f16 v1, v38, v1, v53
	s_wait_dscnt 0x3
	v_pk_fma_f16 v38, v32, v2, v40
	v_pk_fma_f16 v40, v34, v2, v42
	;; [unrolled: 1-line block ×4, first 2 shown]
	s_wait_dscnt 0x1
	v_pk_fma_f16 v41, v32, v10, v41
	v_pk_fma_f16 v43, v34, v10, v45
	;; [unrolled: 1-line block ×8, first 2 shown]
	s_wait_dscnt 0x0
	v_pk_fma_f16 v0, v32, v14, v0
	v_pk_fma_f16 v32, v34, v14, v54
	;; [unrolled: 1-line block ×20, first 2 shown]
	v_pack_b32_f16 v15, v14, v35
	v_perm_b32 v14, v35, v14, 0x7060302
	v_pack_b32_f16 v31, v3, v37
	v_perm_b32 v3, v37, v3, 0x7060302
	;; [unrolled: 2-line block ×8, first 2 shown]
	v_pk_add_f16 v14, v15, v14
	v_pk_add_f16 v3, v31, v3
	;; [unrolled: 1-line block ×8, first 2 shown]
	v_pk_fma_f16 v23, v14, v6, v23
	v_pk_fma_f16 v21, v3, v6, v21
	;; [unrolled: 1-line block ×8, first 2 shown]
	s_cbranch_scc1 .LBB27_16
.LBB27_14:                              ; =>This Inner Loop Header: Depth=1
	s_cmp_lg_u32 s15, s12
	s_cbranch_scc1 .LBB27_13
; %bb.15:                               ;   in Loop: Header=BB27_14 Depth=1
	s_add_co_i32 s17, s17, 1
	s_add_co_i32 s12, s12, s0
	s_mul_i32 s21, s17, s4
	s_delay_alu instid0(SALU_CYCLE_1) | instskip(SKIP_2) | instid1(SALU_CYCLE_1)
	s_ashr_i32 s22, s21, 31
	v_add_nc_u32_e32 v0, s21, v4
	s_lshr_b32 s22, s22, 28
	s_add_co_i32 s22, s21, s22
	s_delay_alu instid0(SALU_CYCLE_1) | instskip(NEXT) | instid1(SALU_CYCLE_1)
	s_ashr_i32 s22, s22, 4
	v_add_nc_u32_e32 v1, s22, v24
	global_load_b32 v2, v1, s[2:3] scale_offset
	s_wait_xcnt 0x0
	v_ashrrev_i32_e32 v1, 31, v0
	s_delay_alu instid0(VALU_DEP_1)
	v_lshl_add_u64 v[0:1], v[0:1], 1, s[8:9]
	global_load_b64 v[6:7], v[0:1], off
	s_wait_loadcnt 0x1
	s_wait_xcnt 0x0
	v_lshrrev_b32_e32 v0, v25, v2
	v_bfe_u32 v5, v2, v25, 2
	s_delay_alu instid0(VALU_DEP_2)
	v_bfe_u32 v27, v0, 2, 2
	v_bfe_u32 v28, v0, 4, 2
	;; [unrolled: 1-line block ×3, first 2 shown]
	s_branch .LBB27_13
.LBB27_16:
	v_mad_u32 v0, s14, s4, v4
	s_mov_b32 s0, 0
	s_delay_alu instid0(VALU_DEP_1) | instskip(SKIP_1) | instid1(VALU_DEP_1)
	v_ashrrev_i32_e32 v1, 31, v0
	s_wait_kmcnt 0x0
	v_lshl_add_u64 v[2:3], v[0:1], 1, s[10:11]
	global_load_b32 v5, v[2:3], off
.LBB27_17:                              ; =>This Inner Loop Header: Depth=1
	s_wait_loadcnt 0x0
	v_pk_add_f16 v4, v23, v5
	global_atomic_cmpswap_b32 v1, v[2:3], v[4:5], off th:TH_ATOMIC_RETURN scope:SCOPE_DEV
	s_wait_loadcnt 0x0
	v_cmp_eq_u32_e32 vcc_lo, v5, v1
	v_mov_b32_e32 v5, v1
	s_or_b32 s0, vcc_lo, s0
	s_delay_alu instid0(SALU_CYCLE_1)
	s_and_not1_b32 exec_lo, exec_lo, s0
	s_cbranch_execnz .LBB27_17
; %bb.18:
	s_or_b32 exec_lo, exec_lo, s0
	global_load_b32 v5, v[2:3], off offset:4
	s_mov_b32 s0, 0
.LBB27_19:                              ; =>This Inner Loop Header: Depth=1
	s_wait_loadcnt 0x0
	v_pk_add_f16 v4, v22, v5
	global_atomic_cmpswap_b32 v1, v[2:3], v[4:5], off offset:4 th:TH_ATOMIC_RETURN scope:SCOPE_DEV
	s_wait_loadcnt 0x0
	v_cmp_eq_u32_e32 vcc_lo, v5, v1
	v_mov_b32_e32 v5, v1
	s_or_b32 s0, vcc_lo, s0
	s_delay_alu instid0(SALU_CYCLE_1)
	s_and_not1_b32 exec_lo, exec_lo, s0
	s_cbranch_execnz .LBB27_19
; %bb.20:
	s_or_b32 exec_lo, exec_lo, s0
	v_add_nc_u32_e32 v0, s4, v0
	s_mov_b32 s0, 0
	s_delay_alu instid0(VALU_DEP_1) | instskip(NEXT) | instid1(VALU_DEP_1)
	v_ashrrev_i32_e32 v1, 31, v0
	v_lshl_add_u64 v[2:3], v[0:1], 1, s[10:11]
	global_load_b32 v5, v[2:3], off
.LBB27_21:                              ; =>This Inner Loop Header: Depth=1
	s_wait_loadcnt 0x0
	v_pk_add_f16 v4, v21, v5
	global_atomic_cmpswap_b32 v1, v[2:3], v[4:5], off th:TH_ATOMIC_RETURN scope:SCOPE_DEV
	s_wait_loadcnt 0x0
	v_cmp_eq_u32_e32 vcc_lo, v5, v1
	v_mov_b32_e32 v5, v1
	s_or_b32 s0, vcc_lo, s0
	s_delay_alu instid0(SALU_CYCLE_1)
	s_and_not1_b32 exec_lo, exec_lo, s0
	s_cbranch_execnz .LBB27_21
; %bb.22:
	s_or_b32 exec_lo, exec_lo, s0
	global_load_b32 v5, v[2:3], off offset:4
	s_mov_b32 s0, 0
.LBB27_23:                              ; =>This Inner Loop Header: Depth=1
	s_wait_loadcnt 0x0
	v_pk_add_f16 v4, v20, v5
	global_atomic_cmpswap_b32 v1, v[2:3], v[4:5], off offset:4 th:TH_ATOMIC_RETURN scope:SCOPE_DEV
	s_wait_loadcnt 0x0
	v_cmp_eq_u32_e32 vcc_lo, v5, v1
	v_mov_b32_e32 v5, v1
	s_or_b32 s0, vcc_lo, s0
	s_delay_alu instid0(SALU_CYCLE_1)
	s_and_not1_b32 exec_lo, exec_lo, s0
	s_cbranch_execnz .LBB27_23
; %bb.24:
	s_or_b32 exec_lo, exec_lo, s0
	v_add_nc_u32_e32 v0, s4, v0
	s_mov_b32 s0, 0
	s_delay_alu instid0(VALU_DEP_1) | instskip(NEXT) | instid1(VALU_DEP_1)
	v_ashrrev_i32_e32 v1, 31, v0
	;; [unrolled: 34-line block ×3, first 2 shown]
	v_lshl_add_u64 v[0:1], v[0:1], 1, s[10:11]
	global_load_b32 v3, v[0:1], off
.LBB27_29:                              ; =>This Inner Loop Header: Depth=1
	s_wait_loadcnt 0x0
	v_pk_add_f16 v2, v17, v3
	global_atomic_cmpswap_b32 v2, v[0:1], v[2:3], off th:TH_ATOMIC_RETURN scope:SCOPE_DEV
	s_wait_loadcnt 0x0
	v_cmp_eq_u32_e32 vcc_lo, v3, v2
	v_mov_b32_e32 v3, v2
	s_or_b32 s0, vcc_lo, s0
	s_delay_alu instid0(SALU_CYCLE_1)
	s_and_not1_b32 exec_lo, exec_lo, s0
	s_cbranch_execnz .LBB27_29
; %bb.30:
	s_or_b32 exec_lo, exec_lo, s0
	global_load_b32 v3, v[0:1], off offset:4
	s_mov_b32 s0, 0
.LBB27_31:                              ; =>This Inner Loop Header: Depth=1
	s_wait_loadcnt 0x0
	v_pk_add_f16 v2, v16, v3
	global_atomic_cmpswap_b32 v2, v[0:1], v[2:3], off offset:4 th:TH_ATOMIC_RETURN scope:SCOPE_DEV
	s_wait_loadcnt 0x0
	v_cmp_eq_u32_e32 vcc_lo, v3, v2
	v_mov_b32_e32 v3, v2
	s_or_b32 s0, vcc_lo, s0
	s_delay_alu instid0(SALU_CYCLE_1)
	s_and_not1_b32 exec_lo, exec_lo, s0
	s_cbranch_execnz .LBB27_31
.LBB27_32:
	s_endpgm
	.section	.rodata,"a",@progbits
	.p2align	6, 0x0
	.amdhsa_kernel _ZN4vllm4gptq33gemm_half_q_half_gptq_2bit_kernelILb1ELi4EEEvPK6__halfPKjS6_S4_PS2_iiiibPKi
		.amdhsa_group_segment_fixed_size 1024
		.amdhsa_private_segment_fixed_size 0
		.amdhsa_kernarg_size 72
		.amdhsa_user_sgpr_count 2
		.amdhsa_user_sgpr_dispatch_ptr 0
		.amdhsa_user_sgpr_queue_ptr 0
		.amdhsa_user_sgpr_kernarg_segment_ptr 1
		.amdhsa_user_sgpr_dispatch_id 0
		.amdhsa_user_sgpr_kernarg_preload_length 0
		.amdhsa_user_sgpr_kernarg_preload_offset 0
		.amdhsa_user_sgpr_private_segment_size 0
		.amdhsa_wavefront_size32 1
		.amdhsa_uses_dynamic_stack 0
		.amdhsa_enable_private_segment 0
		.amdhsa_system_sgpr_workgroup_id_x 1
		.amdhsa_system_sgpr_workgroup_id_y 1
		.amdhsa_system_sgpr_workgroup_id_z 1
		.amdhsa_system_sgpr_workgroup_info 0
		.amdhsa_system_vgpr_workitem_id 0
		.amdhsa_next_free_vgpr 74
		.amdhsa_next_free_sgpr 23
		.amdhsa_named_barrier_count 0
		.amdhsa_reserve_vcc 1
		.amdhsa_float_round_mode_32 0
		.amdhsa_float_round_mode_16_64 0
		.amdhsa_float_denorm_mode_32 3
		.amdhsa_float_denorm_mode_16_64 3
		.amdhsa_fp16_overflow 0
		.amdhsa_memory_ordered 1
		.amdhsa_forward_progress 1
		.amdhsa_inst_pref_size 39
		.amdhsa_round_robin_scheduling 0
		.amdhsa_exception_fp_ieee_invalid_op 0
		.amdhsa_exception_fp_denorm_src 0
		.amdhsa_exception_fp_ieee_div_zero 0
		.amdhsa_exception_fp_ieee_overflow 0
		.amdhsa_exception_fp_ieee_underflow 0
		.amdhsa_exception_fp_ieee_inexact 0
		.amdhsa_exception_int_div_zero 0
	.end_amdhsa_kernel
	.section	.text._ZN4vllm4gptq33gemm_half_q_half_gptq_2bit_kernelILb1ELi4EEEvPK6__halfPKjS6_S4_PS2_iiiibPKi,"axG",@progbits,_ZN4vllm4gptq33gemm_half_q_half_gptq_2bit_kernelILb1ELi4EEEvPK6__halfPKjS6_S4_PS2_iiiibPKi,comdat
.Lfunc_end27:
	.size	_ZN4vllm4gptq33gemm_half_q_half_gptq_2bit_kernelILb1ELi4EEEvPK6__halfPKjS6_S4_PS2_iiiibPKi, .Lfunc_end27-_ZN4vllm4gptq33gemm_half_q_half_gptq_2bit_kernelILb1ELi4EEEvPK6__halfPKjS6_S4_PS2_iiiibPKi
                                        ; -- End function
	.set _ZN4vllm4gptq33gemm_half_q_half_gptq_2bit_kernelILb1ELi4EEEvPK6__halfPKjS6_S4_PS2_iiiibPKi.num_vgpr, 74
	.set _ZN4vllm4gptq33gemm_half_q_half_gptq_2bit_kernelILb1ELi4EEEvPK6__halfPKjS6_S4_PS2_iiiibPKi.num_agpr, 0
	.set _ZN4vllm4gptq33gemm_half_q_half_gptq_2bit_kernelILb1ELi4EEEvPK6__halfPKjS6_S4_PS2_iiiibPKi.numbered_sgpr, 23
	.set _ZN4vllm4gptq33gemm_half_q_half_gptq_2bit_kernelILb1ELi4EEEvPK6__halfPKjS6_S4_PS2_iiiibPKi.num_named_barrier, 0
	.set _ZN4vllm4gptq33gemm_half_q_half_gptq_2bit_kernelILb1ELi4EEEvPK6__halfPKjS6_S4_PS2_iiiibPKi.private_seg_size, 0
	.set _ZN4vllm4gptq33gemm_half_q_half_gptq_2bit_kernelILb1ELi4EEEvPK6__halfPKjS6_S4_PS2_iiiibPKi.uses_vcc, 1
	.set _ZN4vllm4gptq33gemm_half_q_half_gptq_2bit_kernelILb1ELi4EEEvPK6__halfPKjS6_S4_PS2_iiiibPKi.uses_flat_scratch, 0
	.set _ZN4vllm4gptq33gemm_half_q_half_gptq_2bit_kernelILb1ELi4EEEvPK6__halfPKjS6_S4_PS2_iiiibPKi.has_dyn_sized_stack, 0
	.set _ZN4vllm4gptq33gemm_half_q_half_gptq_2bit_kernelILb1ELi4EEEvPK6__halfPKjS6_S4_PS2_iiiibPKi.has_recursion, 0
	.set _ZN4vllm4gptq33gemm_half_q_half_gptq_2bit_kernelILb1ELi4EEEvPK6__halfPKjS6_S4_PS2_iiiibPKi.has_indirect_call, 0
	.section	.AMDGPU.csdata,"",@progbits
; Kernel info:
; codeLenInByte = 4892
; TotalNumSgprs: 25
; NumVgprs: 74
; ScratchSize: 0
; MemoryBound: 0
; FloatMode: 240
; IeeeMode: 1
; LDSByteSize: 1024 bytes/workgroup (compile time only)
; SGPRBlocks: 0
; VGPRBlocks: 4
; NumSGPRsForWavesPerEU: 25
; NumVGPRsForWavesPerEU: 74
; NamedBarCnt: 0
; Occupancy: 12
; WaveLimiterHint : 0
; COMPUTE_PGM_RSRC2:SCRATCH_EN: 0
; COMPUTE_PGM_RSRC2:USER_SGPR: 2
; COMPUTE_PGM_RSRC2:TRAP_HANDLER: 0
; COMPUTE_PGM_RSRC2:TGID_X_EN: 1
; COMPUTE_PGM_RSRC2:TGID_Y_EN: 1
; COMPUTE_PGM_RSRC2:TGID_Z_EN: 1
; COMPUTE_PGM_RSRC2:TIDIG_COMP_CNT: 0
	.section	.text._ZN4vllm4gptq33gemm_half_q_half_gptq_3bit_kernelILb1ELi4EEEvPK6__halfPKjS6_S4_PS2_iiiibPKi,"axG",@progbits,_ZN4vllm4gptq33gemm_half_q_half_gptq_3bit_kernelILb1ELi4EEEvPK6__halfPKjS6_S4_PS2_iiiibPKi,comdat
	.protected	_ZN4vllm4gptq33gemm_half_q_half_gptq_3bit_kernelILb1ELi4EEEvPK6__halfPKjS6_S4_PS2_iiiibPKi ; -- Begin function _ZN4vllm4gptq33gemm_half_q_half_gptq_3bit_kernelILb1ELi4EEEvPK6__halfPKjS6_S4_PS2_iiiibPKi
	.globl	_ZN4vllm4gptq33gemm_half_q_half_gptq_3bit_kernelILb1ELi4EEEvPK6__halfPKjS6_S4_PS2_iiiibPKi
	.p2align	8
	.type	_ZN4vllm4gptq33gemm_half_q_half_gptq_3bit_kernelILb1ELi4EEEvPK6__halfPKjS6_S4_PS2_iiiibPKi,@function
_ZN4vllm4gptq33gemm_half_q_half_gptq_3bit_kernelILb1ELi4EEEvPK6__halfPKjS6_S4_PS2_iiiibPKi: ; @_ZN4vllm4gptq33gemm_half_q_half_gptq_3bit_kernelILb1ELi4EEEvPK6__halfPKjS6_S4_PS2_iiiibPKi
; %bb.0:
	s_clause 0x1
	s_load_b128 s[4:7], s[0:1], 0x2c
	s_load_b64 s[12:13], s[0:1], 0x10
	s_bfe_u32 s2, ttmp6, 0x40010
	s_and_b32 s3, ttmp7, 0xffff
	s_add_co_i32 s2, s2, 1
	s_bfe_u32 s9, ttmp6, 0x40014
	s_mul_i32 s2, s3, s2
	s_bfe_u32 s8, ttmp6, 0x40004
	s_lshr_b32 s10, ttmp7, 16
	s_add_co_i32 s9, s9, 1
	s_add_co_i32 s8, s8, s2
	s_mul_i32 s2, s10, s9
	s_bfe_u32 s9, ttmp6, 0x40008
	s_getreg_b32 s19, hwreg(HW_REG_IB_STS2, 6, 4)
	s_add_co_i32 s9, s9, s2
	s_cmp_eq_u32 s19, 0
	s_cselect_b32 s2, s10, s9
	s_cselect_b32 s3, s3, s8
	s_lshl_b32 s17, s2, 7
	s_wait_kmcnt 0x0
	v_cvt_f64_i32_e32 v[4:5], s5
	s_add_co_i32 s2, s17, 0x80
	s_lshl_b32 s16, s3, 2
	v_cvt_f64_u32_e32 v[2:3], s2
	s_mov_b32 s10, exec_lo
	s_delay_alu instid0(VALU_DEP_1) | instskip(NEXT) | instid1(VALU_DEP_1)
	v_min_num_f64_e32 v[2:3], v[2:3], v[4:5]
	v_cvt_i32_f64_e32 v1, v[2:3]
	v_add_nc_u32_e32 v2, s17, v0
	s_delay_alu instid0(VALU_DEP_2) | instskip(NEXT) | instid1(VALU_DEP_2)
	v_readfirstlane_b32 s18, v1
	v_cmpx_lt_u32_e64 v2, v1
	s_cbranch_execz .LBB28_10
; %bb.1:
	s_clause 0x1
	s_load_b64 s[8:9], s[0:1], 0x40
	s_load_b64 s[2:3], s[0:1], 0x0
	v_mov_b32_e32 v3, 0
	s_delay_alu instid0(VALU_DEP_1)
	v_mov_b64_e32 v[6:7], v[2:3]
	s_wait_kmcnt 0x0
	v_lshl_add_u64 v[4:5], v[2:3], 2, s[8:9]
	s_cmp_lg_u64 s[8:9], 0
	s_cselect_b32 s11, -1, 0
	s_cmp_eq_u64 s[8:9], 0
	s_cbranch_scc1 .LBB28_3
; %bb.2:
	global_load_b32 v6, v[4:5], off
	s_wait_loadcnt 0x0
	v_ashrrev_i32_e32 v7, 31, v6
.LBB28_3:
	s_mul_i32 s8, s16, s5
	v_cndmask_b32_e64 v8, 0, 1, s11
	s_ashr_i32 s9, s8, 31
	v_lshlrev_b32_e32 v1, 1, v0
	s_lshl_b64 s[14:15], s[8:9], 1
	s_and_not1_b32 vcc_lo, exec_lo, s11
	s_add_nc_u64 s[14:15], s[2:3], s[14:15]
	s_delay_alu instid0(SALU_CYCLE_1)
	v_lshl_add_u64 v[6:7], v[6:7], 1, s[14:15]
	global_load_u16 v9, v[6:7], off
	s_wait_xcnt 0x0
	v_mov_b64_e32 v[6:7], v[2:3]
	s_wait_loadcnt 0x0
	ds_store_b16 v1, v9
	s_cbranch_vccnz .LBB28_5
; %bb.4:
	global_load_b32 v6, v[4:5], off
	s_wait_loadcnt 0x0
	v_ashrrev_i32_e32 v7, 31, v6
.LBB28_5:
	s_add_co_i32 s8, s8, s5
	v_cmp_ne_u32_e32 vcc_lo, 1, v8
	s_ashr_i32 s9, s8, 31
	s_delay_alu instid0(SALU_CYCLE_1) | instskip(SKIP_2) | instid1(SALU_CYCLE_1)
	s_lshl_b64 s[14:15], s[8:9], 1
	s_and_b32 vcc_lo, exec_lo, vcc_lo
	s_add_nc_u64 s[14:15], s[2:3], s[14:15]
	v_lshl_add_u64 v[6:7], v[6:7], 1, s[14:15]
	global_load_u16 v9, v[6:7], off
	s_wait_xcnt 0x0
	v_mov_b64_e32 v[6:7], v[2:3]
	s_wait_loadcnt 0x0
	ds_store_b16 v1, v9 offset:256
	s_cbranch_vccnz .LBB28_7
; %bb.6:
	global_load_b32 v6, v[4:5], off
	s_wait_loadcnt 0x0
	v_ashrrev_i32_e32 v7, 31, v6
.LBB28_7:
	s_add_co_i32 s8, s8, s5
	v_cmp_ne_u32_e32 vcc_lo, 1, v8
	s_ashr_i32 s9, s8, 31
	s_delay_alu instid0(SALU_CYCLE_1) | instskip(SKIP_2) | instid1(SALU_CYCLE_1)
	s_lshl_b64 s[14:15], s[8:9], 1
	s_and_b32 vcc_lo, exec_lo, vcc_lo
	s_add_nc_u64 s[14:15], s[2:3], s[14:15]
	v_lshl_add_u64 v[6:7], v[6:7], 1, s[14:15]
	global_load_u16 v6, v[6:7], off
	s_wait_loadcnt 0x0
	ds_store_b16 v1, v6 offset:512
	s_cbranch_vccnz .LBB28_9
; %bb.8:
	global_load_b32 v2, v[4:5], off
	s_wait_loadcnt 0x0
	v_ashrrev_i32_e32 v3, 31, v2
.LBB28_9:
	s_add_co_i32 s8, s8, s5
	s_delay_alu instid0(SALU_CYCLE_1) | instskip(NEXT) | instid1(SALU_CYCLE_1)
	s_ashr_i32 s9, s8, 31
	s_lshl_b64 s[8:9], s[8:9], 1
	s_delay_alu instid0(SALU_CYCLE_1) | instskip(NEXT) | instid1(SALU_CYCLE_1)
	s_add_nc_u64 s[2:3], s[2:3], s[8:9]
	v_lshl_add_u64 v[2:3], v[2:3], 1, s[2:3]
	global_load_u16 v2, v[2:3], off
	s_wait_loadcnt 0x0
	ds_store_b16 v1, v2 offset:768
.LBB28_10:
	s_or_b32 exec_lo, exec_lo, s10
	s_clause 0x1
	s_load_b64 s[14:15], s[0:1], 0x8
	s_load_b128 s[8:11], s[0:1], 0x18
	s_wait_xcnt 0x0
	s_bfe_u32 s0, ttmp6, 0x4000c
	s_and_b32 s1, ttmp6, 15
	s_add_co_i32 s0, s0, 1
	v_lshlrev_b32_e32 v0, 2, v0
	s_mul_i32 s0, ttmp9, s0
	s_delay_alu instid0(SALU_CYCLE_1) | instskip(SKIP_2) | instid1(SALU_CYCLE_1)
	s_add_co_i32 s1, s1, s0
	s_cmp_eq_u32 s19, 0
	s_cselect_b32 s0, ttmp9, s1
	v_lshl_add_u32 v12, s0, 9, v0
	s_mov_b32 s0, exec_lo
	s_delay_alu instid0(VALU_DEP_1)
	v_cmpx_gt_i32_e64 s4, v12
	s_cbranch_execz .LBB28_64
; %bb.11:
	s_abs_i32 s0, s6
	s_abs_i32 s3, s5
	s_cvt_f32_u32 s1, s0
	s_sub_co_i32 s2, 0, s0
	v_and_b32_e32 v2, 28, v0
	s_wait_dscnt 0x0
	v_rcp_iflag_f32_e32 v1, s1
	s_barrier_signal -1
	s_barrier_wait -1
	v_cmp_lt_u32_e32 vcc_lo, 4, v2
                                        ; implicit-def: $vgpr0
	s_delay_alu instid0(TRANS32_DEP_1) | instskip(SKIP_1) | instid1(SALU_CYCLE_3)
	v_readfirstlane_b32 s1, v1
	s_mul_f32 s1, s1, 0x4f7ffffe
	s_cvt_u32_f32 s1, s1
	s_delay_alu instid0(SALU_CYCLE_3) | instskip(NEXT) | instid1(SALU_CYCLE_1)
	s_mul_i32 s2, s2, s1
	s_mul_hi_u32 s2, s1, s2
	s_delay_alu instid0(SALU_CYCLE_1) | instskip(SKIP_4) | instid1(SALU_CYCLE_1)
	s_add_co_i32 s1, s1, s2
	s_xor_b32 s2, s5, s6
	s_mul_hi_u32 s1, s3, s1
	s_ashr_i32 s2, s2, 31
	s_mul_i32 s5, s1, s0
	s_sub_co_i32 s3, s3, s5
	s_add_co_i32 s5, s1, 1
	s_sub_co_i32 s6, s3, s0
	s_cmp_ge_u32 s3, s0
	s_cselect_b32 s1, s5, s1
	s_cselect_b32 s3, s6, s3
	s_add_co_i32 s5, s1, 1
	s_cmp_ge_u32 s3, s0
	s_cselect_b32 s0, s5, s1
	s_delay_alu instid0(SALU_CYCLE_1) | instskip(NEXT) | instid1(SALU_CYCLE_1)
	s_xor_b32 s0, s0, s2
	s_sub_co_i32 s3, s0, s2
	s_delay_alu instid0(SALU_CYCLE_1) | instskip(SKIP_1) | instid1(SALU_CYCLE_2)
	s_cvt_f32_u32 s0, s3
	s_sub_co_i32 s1, 0, s3
	v_rcp_iflag_f32_e32 v1, s0
	v_nop
	s_delay_alu instid0(TRANS32_DEP_1) | instskip(SKIP_1) | instid1(SALU_CYCLE_3)
	v_readfirstlane_b32 s0, v1
                                        ; implicit-def: $vgpr1
	s_mul_f32 s0, s0, 0x4f7ffffe
	s_cvt_u32_f32 s0, s0
	s_delay_alu instid0(SALU_CYCLE_3) | instskip(NEXT) | instid1(SALU_CYCLE_1)
	s_mul_i32 s1, s1, s0
	s_mul_hi_u32 s1, s0, s1
	s_delay_alu instid0(SALU_CYCLE_1) | instskip(NEXT) | instid1(SALU_CYCLE_1)
	s_add_co_i32 s0, s0, s1
	s_mul_hi_u32 s0, s17, s0
	s_delay_alu instid0(SALU_CYCLE_1) | instskip(SKIP_2) | instid1(SALU_CYCLE_1)
	s_mul_i32 s1, s0, s3
	s_add_co_i32 s2, s0, 1
	s_sub_co_i32 s1, s17, s1
	s_sub_co_i32 s5, s1, s3
	s_cmp_ge_u32 s1, s3
	s_cselect_b32 s0, s2, s0
	s_cselect_b32 s1, s5, s1
	s_add_co_i32 s2, s0, 1
	s_cmp_ge_u32 s1, s3
	s_cselect_b32 s19, s2, s0
	s_and_saveexec_b32 s0, vcc_lo
	s_delay_alu instid0(SALU_CYCLE_1)
	s_xor_b32 s1, exec_lo, s0
	s_cbranch_execz .LBB28_25
; %bb.12:
	s_mov_b32 s2, exec_lo
                                        ; implicit-def: $vgpr1
                                        ; implicit-def: $vgpr0
	v_cmpx_ne_u32_e32 8, v2
	s_xor_b32 s2, exec_lo, s2
	s_cbranch_execz .LBB28_22
; %bb.13:
	s_mov_b32 s5, exec_lo
                                        ; implicit-def: $vgpr1
                                        ; implicit-def: $vgpr0
	v_cmpx_lt_u32_e32 16, v2
	s_xor_b32 s5, exec_lo, s5
	s_cbranch_execz .LBB28_19
; %bb.14:
	v_lshl_add_u32 v0, v12, 1, v12
	s_mul_i32 s6, s19, s4
	s_delay_alu instid0(SALU_CYCLE_1) | instskip(NEXT) | instid1(SALU_CYCLE_1)
	s_ashr_i32 s0, s6, 31
	s_lshr_b32 s0, s0, 27
	s_delay_alu instid0(VALU_DEP_1) | instskip(SKIP_1) | instid1(SALU_CYCLE_1)
	v_ashrrev_i32_e32 v1, 31, v0
	s_add_co_i32 s0, s6, s0
	s_ashr_i32 s0, s0, 5
	s_delay_alu instid0(VALU_DEP_1) | instskip(NEXT) | instid1(VALU_DEP_1)
	v_lshrrev_b32_e32 v1, 27, v1
	v_add_nc_u32_e32 v0, v0, v1
                                        ; implicit-def: $vgpr1
	s_delay_alu instid0(VALU_DEP_1) | instskip(NEXT) | instid1(VALU_DEP_1)
	v_ashrrev_i32_e32 v0, 5, v0
	v_mad_u32 v0, s0, 3, v0
	v_cmp_ne_u32_e64 s0, 20, v2
	global_load_b32 v3, v0, s[12:13] scale_offset
	s_wait_xcnt 0x0
	s_and_saveexec_b32 s20, s0
	s_delay_alu instid0(SALU_CYCLE_1)
	s_xor_b32 s0, exec_lo, s20
	s_cbranch_execz .LBB28_16
; %bb.15:
	v_mad_u32_u24 v0, v2, 3, 0xffffffc0
	s_wait_loadcnt 0x0
	s_delay_alu instid0(VALU_DEP_1)
	v_lshrrev_b32_e32 v1, v0, v3
                                        ; implicit-def: $vgpr0
                                        ; implicit-def: $vgpr3
.LBB28_16:
	s_and_not1_saveexec_b32 s0, s0
	s_cbranch_execz .LBB28_18
; %bb.17:
	v_ashrrev_i32_e32 v1, 31, v0
	s_delay_alu instid0(VALU_DEP_1) | instskip(SKIP_3) | instid1(VALU_DEP_1)
	v_lshl_add_u64 v[0:1], v[0:1], 2, s[12:13]
	global_load_b32 v0, v[0:1], off offset:4
	s_wait_loadcnt 0x0
	v_alignbit_b32 v0, v0, v3, 28
	v_and_b32_e32 v1, 0xfff, v0
.LBB28_18:
	s_or_b32 exec_lo, exec_lo, s0
	v_mov_b32_e32 v0, s6
.LBB28_19:
	s_and_not1_saveexec_b32 s0, s5
	s_cbranch_execz .LBB28_21
; %bb.20:
	v_lshl_add_u32 v0, v12, 1, v12
	s_mul_i32 s5, s19, s4
	s_delay_alu instid0(SALU_CYCLE_1) | instskip(NEXT) | instid1(SALU_CYCLE_1)
	s_ashr_i32 s6, s5, 31
	s_lshr_b32 s6, s6, 27
	s_delay_alu instid0(VALU_DEP_1) | instskip(SKIP_1) | instid1(SALU_CYCLE_1)
	v_ashrrev_i32_e32 v1, 31, v0
	s_add_co_i32 s6, s5, s6
	s_ashr_i32 s6, s6, 5
	s_delay_alu instid0(VALU_DEP_1) | instskip(NEXT) | instid1(VALU_DEP_1)
	v_lshrrev_b32_e32 v1, 27, v1
	v_add_nc_u32_e32 v0, v0, v1
	v_mad_u32_u24 v1, v2, 3, 0xffffffe0
	s_delay_alu instid0(VALU_DEP_2) | instskip(NEXT) | instid1(VALU_DEP_1)
	v_ashrrev_i32_e32 v0, 5, v0
	v_mad_u32 v0, s6, 3, v0
	global_load_b32 v0, v0, s[12:13] scale_offset
	s_wait_loadcnt 0x0
	v_dual_mov_b32 v0, s5 :: v_dual_lshrrev_b32 v1, v1, v0
.LBB28_21:
	s_or_b32 exec_lo, exec_lo, s0
.LBB28_22:
	s_and_not1_saveexec_b32 s0, s2
	s_cbranch_execz .LBB28_24
; %bb.23:
	v_lshl_add_u32 v0, v12, 1, v12
	s_mul_i32 s2, s19, s4
	s_delay_alu instid0(SALU_CYCLE_1) | instskip(NEXT) | instid1(SALU_CYCLE_1)
	s_ashr_i32 s5, s2, 31
	s_lshr_b32 s5, s5, 27
	s_delay_alu instid0(VALU_DEP_1) | instskip(SKIP_1) | instid1(SALU_CYCLE_1)
	v_ashrrev_i32_e32 v1, 31, v0
	s_add_co_i32 s5, s2, s5
	s_ashr_i32 s5, s5, 5
	s_delay_alu instid0(VALU_DEP_1) | instskip(NEXT) | instid1(VALU_DEP_1)
	v_lshrrev_b32_e32 v1, 27, v1
	v_add_nc_u32_e32 v0, v0, v1
	s_delay_alu instid0(VALU_DEP_1) | instskip(NEXT) | instid1(VALU_DEP_1)
	v_ashrrev_i32_e32 v0, 5, v0
	v_mad_u32 v0, s5, 3, v0
	s_delay_alu instid0(VALU_DEP_1) | instskip(NEXT) | instid1(VALU_DEP_1)
	v_ashrrev_i32_e32 v1, 31, v0
	v_lshl_add_u64 v[0:1], v[0:1], 2, s[12:13]
	global_load_b64 v[0:1], v[0:1], off
	s_wait_loadcnt 0x0
	v_perm_b32 v0, v0, v1, 0x2010007
	s_delay_alu instid0(VALU_DEP_1)
	v_and_b32_e32 v1, 0xfff, v0
	v_mov_b32_e32 v0, s2
.LBB28_24:
	s_or_b32 exec_lo, exec_lo, s0
.LBB28_25:
	s_or_saveexec_b32 s0, s1
	s_wait_loadcnt 0x0
	v_lshl_add_u32 v3, v12, 1, v12
	v_mul_u32_u24_e32 v40, 3, v2
	s_delay_alu instid0(VALU_DEP_2)
	v_ashrrev_i32_e32 v4, 31, v3
	s_xor_b32 exec_lo, exec_lo, s0
	s_cbranch_execz .LBB28_27
; %bb.26:
	s_delay_alu instid0(VALU_DEP_1) | instskip(SKIP_1) | instid1(SALU_CYCLE_1)
	v_lshrrev_b32_e32 v0, 27, v4
	s_mul_i32 s1, s19, s4
	s_ashr_i32 s2, s1, 31
	s_delay_alu instid0(SALU_CYCLE_1) | instskip(NEXT) | instid1(VALU_DEP_1)
	s_lshr_b32 s2, s2, 27
	v_add_nc_u32_e32 v0, v3, v0
	s_add_co_i32 s2, s1, s2
	s_delay_alu instid0(SALU_CYCLE_1) | instskip(NEXT) | instid1(VALU_DEP_1)
	s_ashr_i32 s2, s2, 5
	v_ashrrev_i32_e32 v0, 5, v0
	s_delay_alu instid0(VALU_DEP_1)
	v_mad_u32 v0, s2, 3, v0
	global_load_b32 v0, v0, s[12:13] scale_offset
	s_wait_loadcnt 0x0
	v_dual_mov_b32 v0, s1 :: v_dual_lshrrev_b32 v1, v40, v0
.LBB28_27:
	s_or_b32 exec_lo, exec_lo, s0
	v_dual_mov_b32 v43, 0 :: v_dual_mov_b32 v42, 0
	v_dual_mov_b32 v41, 0 :: v_dual_mov_b32 v39, 0
	v_dual_mov_b32 v38, 0 :: v_dual_mov_b32 v37, 0
	v_dual_mov_b32 v36, 0 :: v_dual_mov_b32 v13, 0
	s_cmp_ge_i32 s17, s18
	s_mov_b32 s20, 0
	s_cbranch_scc1 .LBB28_48
; %bb.28:
	v_dual_add_nc_u32 v6, v0, v12 :: v_dual_ashrrev_i32 v13, 31, v12
	s_lshr_b32 s0, s17, 5
	s_add_co_i32 s21, s3, s17
	s_mul_i32 s0, s0, s4
	s_delay_alu instid0(VALU_DEP_1)
	v_dual_ashrrev_i32 v7, 31, v6 :: v_dual_lshrrev_b32 v0, 27, v4
	s_mul_i32 s22, s0, 3
	v_bfe_u32 v48, v1, 9, 3
	s_ashr_i32 s23, s22, 31
	s_wait_kmcnt 0x0
	v_lshl_add_u64 v[6:7], v[6:7], 1, s[8:9]
	s_bitcmp1_b32 s7, 0
	v_dual_add_nc_u32 v0, v3, v0 :: v_dual_bitop2_b32 v51, 7, v1 bitop3:0x40
	s_cselect_b32 s0, -1, 0
	global_load_b64 v[16:17], v[6:7], off
	s_lshl_b64 s[6:7], s[22:23], 2
	s_xor_b32 s0, s0, -1
	s_add_nc_u64 s[6:7], s[14:15], s[6:7]
	v_cndmask_b32_e64 v44, 0, 1, s0
	v_bfe_u32 v49, v1, 6, 3
	v_bfe_u32 v50, v1, 3, 3
	v_cmp_ne_u32_e64 s0, 8, v2
	v_cmp_lt_u32_e64 s1, 16, v2
	v_cmp_ne_u32_e64 s2, 20, v2
	v_ashrrev_i32_e32 v45, 5, v0
	v_mad_u32_u24 v46, v2, 3, 0xffffffc0
	v_mad_u32_u24 v47, v2, 3, 0xffffffe0
	v_lshl_add_u64 v[14:15], v[12:13], 2, s[6:7]
	v_dual_mov_b32 v13, 0 :: v_dual_mov_b32 v36, 0
	v_dual_mov_b32 v37, 0 :: v_dual_mov_b32 v38, 0
	;; [unrolled: 1-line block ×4, first 2 shown]
	s_ashr_i32 s5, s4, 31
	s_mov_b32 s22, 0x70007
	s_mul_u64 s[6:7], s[4:5], 12
	s_lshl_b64 s[14:15], s[4:5], 2
	s_mov_b32 s5, 0x10001
	s_mov_b32 s23, 0x380038
	;; [unrolled: 1-line block ×3, first 2 shown]
	s_branch .LBB28_31
.LBB28_29:                              ;   in Loop: Header=BB28_31 Depth=1
	s_or_b32 exec_lo, exec_lo, s26
	s_delay_alu instid0(VALU_DEP_1) | instskip(SKIP_3) | instid1(VALU_DEP_4)
	v_dual_add_nc_u32 v0, s25, v12 :: v_dual_bitop2_b32 v51, 7, v2 bitop3:0x40
	v_bfe_u32 v50, v2, 3, 3
	v_bfe_u32 v49, v2, 6, 3
	v_bfe_u32 v48, v2, 9, 3
	v_ashrrev_i32_e32 v1, 31, v0
	s_add_co_i32 s21, s21, s3
	s_delay_alu instid0(VALU_DEP_1)
	v_lshl_add_u64 v[0:1], v[0:1], 1, s[8:9]
	s_wait_loadcnt 0x1
	global_load_b64 v[16:17], v[0:1], off
.LBB28_30:                              ;   in Loop: Header=BB28_31 Depth=1
	global_load_b128 v[8:11], v[14:15], off
	s_wait_xcnt 0x1
	v_add_nc_u64_e32 v[0:1], s[14:15], v[14:15]
	v_dual_add_nc_u32 v18, v51, v44 :: v_dual_add_nc_u32 v19, v50, v44
	v_dual_add_nc_u32 v20, v49, v44 :: v_dual_add_nc_u32 v21, v48, v44
	s_add_co_i32 s17, s17, 32
	s_delay_alu instid0(VALU_DEP_2)
	v_cvt_f32_u32_e32 v26, v18
	global_load_b128 v[4:7], v[0:1], off
	s_wait_xcnt 0x0
	v_add_nc_u64_e32 v[0:1], s[14:15], v[0:1]
	v_cvt_f32_u32_e32 v27, v19
	v_cvt_f32_u32_e32 v29, v20
	v_mad_u32_u24 v32, v20, s5, 0xe400e400
	v_cvt_f32_u32_e32 v20, v21
	v_cvt_f16_f32_e32 v26, v26
	v_cvt_f16_f32_e32 v92, v27
	s_wait_loadcnt 0x3
	global_load_b128 v[0:3], v[0:1], off
	v_mov_b32_e32 v52, s20
	v_cvt_f16_f32_e32 v93, v29
	v_cvt_f16_f32_e32 v94, v20
	v_sub_f16_e32 v27, 0xd800, v26
	v_sub_f16_e32 v29, 0xd800, v92
	v_mad_u32_u24 v28, v18, s5, 0xe400e400
	v_mad_u32_u24 v31, v19, s5, 0xe400e400
	;; [unrolled: 1-line block ×3, first 2 shown]
	v_sub_f16_e32 v33, 0xd800, v93
	v_sub_f16_e32 v34, 0xd800, v94
	v_and_b32_e32 v27, 0xffff, v27
	v_and_b32_e32 v29, 0xffff, v29
	v_add_nc_u64_e32 v[14:15], s[6:7], v[14:15]
	v_and_b32_e32 v33, 0xffff, v33
	v_and_b32_e32 v34, 0xffff, v34
	v_mul_u32_u24_e32 v65, 0x10001, v27
	v_mul_u32_u24_e32 v64, 0x10001, v29
	s_add_co_i32 s20, s20, 64
	v_mul_u32_u24_e32 v62, 0x10001, v33
	v_mul_u32_u24_e32 v61, 0x10001, v34
	s_cmp_ge_i32 s17, s18
	s_wait_loadcnt 0x2
	v_lshrrev_b32_e32 v95, 6, v8
	ds_load_2addr_b32 v[24:25], v52 offset1:1
	ds_load_2addr_b32 v[18:19], v52 offset0:2 offset1:3
	ds_load_2addr_b32 v[22:23], v52 offset0:64 offset1:65
	;; [unrolled: 1-line block ×5, first 2 shown]
	v_and_or_b32 v27, v8, s22, 0x64006400
	v_and_or_b32 v29, v8, s23, 0x64006400
	v_dual_lshrrev_b32 v72, 15, v8 :: v_dual_lshrrev_b32 v89, 6, v9
	v_and_or_b32 v8, v9, s22, 0x64006400
	v_and_or_b32 v33, v9, s23, 0x64006400
	v_dual_lshrrev_b32 v71, 15, v9 :: v_dual_lshrrev_b32 v90, 6, v10
	v_and_or_b32 v9, v10, s22, 0x64006400
	v_and_or_b32 v34, v10, s23, 0x64006400
	v_dual_lshrrev_b32 v70, 15, v10 :: v_dual_lshrrev_b32 v91, 6, v11
	v_and_or_b32 v10, v11, s22, 0x64006400
	v_pk_add_f16 v27, v28, v27
	v_pk_add_f16 v8, v31, v8
	v_and_or_b32 v35, v11, s23, 0x64006400
	s_wait_loadcnt 0x1
	v_dual_lshrrev_b32 v68, 15, v11 :: v_dual_lshrrev_b32 v60, 6, v4
	v_pk_fma_f16 v100, 0x3000, v29, v65 op_sel_hi:[0,1,1]
	v_pk_fma_f16 v101, 0x3000, v33, v64 op_sel_hi:[0,1,1]
	v_pk_add_f16 v9, v32, v9
	v_pk_add_f16 v103, v30, v10
	v_and_or_b32 v85, v4, s22, 0x64006400
	v_and_or_b32 v81, v4, s23, 0x64006400
	v_dual_lshrrev_b32 v79, 14, v4 :: v_dual_lshrrev_b32 v57, 6, v5
	v_and_or_b32 v86, v5, s22, 0x64006400
	v_and_or_b32 v82, v5, s23, 0x64006400
	v_dual_lshrrev_b32 v80, 14, v5 :: v_dual_lshrrev_b32 v58, 6, v6
	s_wait_dscnt 0x5
	v_pk_fma_f16 v4, v27, v24, 0
	v_pk_fma_f16 v5, v8, v24, 0
	v_pk_fma_f16 v102, 0x3000, v34, v62 op_sel_hi:[0,1,1]
	v_pk_fma_f16 v104, 0x3000, v35, v61 op_sel_hi:[0,1,1]
	s_wait_dscnt 0x3
	v_pk_fma_f16 v11, v8, v22, 0
	s_wait_loadcnt 0x0
	v_dual_lshrrev_b32 v67, 13, v1 :: v_dual_lshrrev_b32 v56, 6, v2
	v_and_or_b32 v35, v2, s22, 0x64006400
	v_and_or_b32 v75, v2, s23, 0x64006400
	v_dual_lshrrev_b32 v66, 13, v2 :: v_dual_lshrrev_b32 v55, 6, v3
	v_and_or_b32 v33, v3, s22, 0x64006400
	v_and_or_b32 v73, v3, s23, 0x64006400
	v_lshrrev_b32_e32 v63, 13, v3
	v_pk_fma_f16 v105, v100, v25, v4
	v_pk_fma_f16 v106, v101, v25, v5
	ds_load_2addr_b32 v[4:5], v52 offset0:130 offset1:131
	s_wait_dscnt 0x2
	v_pk_fma_f16 v2, v9, v96, 0
	v_pk_fma_f16 v3, v103, v96, 0
	v_and_or_b32 v87, v6, s22, 0x64006400
	v_and_or_b32 v83, v6, s23, 0x64006400
	v_dual_lshrrev_b32 v78, 14, v6 :: v_dual_lshrrev_b32 v53, 6, v7
	v_and_or_b32 v88, v7, s22, 0x64006400
	v_and_or_b32 v84, v7, s23, 0x64006400
	v_dual_lshrrev_b32 v77, 14, v7 :: v_dual_lshrrev_b32 v59, 6, v0
	v_pk_fma_f16 v6, v9, v24, 0
	v_pk_fma_f16 v7, v103, v24, 0
	;; [unrolled: 1-line block ×5, first 2 shown]
	v_and_or_b32 v29, v0, s22, 0x64006400
	v_and_or_b32 v76, v0, s23, 0x64006400
	v_dual_lshrrev_b32 v69, 13, v0 :: v_dual_lshrrev_b32 v54, 6, v1
	v_pk_fma_f16 v0, v27, v96, 0
	v_pk_fma_f16 v109, v101, v23, v11
	;; [unrolled: 1-line block ×4, first 2 shown]
	ds_load_2addr_b32 v[2:3], v52 offset0:194 offset1:195
	v_and_or_b32 v34, v1, s22, 0x64006400
	v_and_or_b32 v74, v1, s23, 0x64006400
	v_pk_fma_f16 v1, v8, v96, 0
	v_pk_fma_f16 v107, v102, v25, v6
	v_pk_fma_f16 v6, v100, v23, v10
	v_pk_fma_f16 v10, v104, v23, v22
	v_pk_fma_f16 v22, v100, v97, v0
	s_wait_dscnt 0x2
	v_pk_fma_f16 v0, v27, v98, 0
	v_pk_fma_f16 v108, v104, v25, v7
	;; [unrolled: 1-line block ×3, first 2 shown]
	v_and_or_b32 v1, v95, s22, 0x64006400
	v_pk_fma_f16 v7, v8, v98, 0
	v_pk_fma_f16 v8, v9, v98, 0
	;; [unrolled: 1-line block ×6, first 2 shown]
	v_and_or_b32 v96, v89, s22, 0x64006400
	v_pk_fma_f16 v8, v102, v99, v8
	v_and_or_b32 v98, v89, s23, 0x64006400
	v_pk_add_f16 v1, v28, v1
	v_pk_fma_f16 v7, v104, v99, v0
	v_and_or_b32 v99, v90, s22, 0x64006400
	v_and_or_b32 v102, v91, s22, 0x64006400
	;; [unrolled: 1-line block ×4, first 2 shown]
	v_pk_fma_f16 v0, v1, v18, v105
	v_pk_fma_f16 v100, v1, v20, v6
	s_wait_dscnt 0x1
	v_pk_fma_f16 v27, v1, v4, v22
	s_wait_dscnt 0x0
	v_pk_fma_f16 v24, v1, v2, v9
	v_and_or_b32 v1, v91, s23, 0x64006400
	v_pk_add_f16 v9, v31, v96
	v_pk_fma_f16 v22, 0x3000, v98, v64 op_sel_hi:[0,1,1]
	v_pk_add_f16 v98, v32, v99
	v_pk_add_f16 v96, v30, v102
	v_pk_fma_f16 v25, 0x3000, v23, v65 op_sel_hi:[0,1,1]
	v_pk_fma_f16 v23, 0x3000, v101, v62 op_sel_hi:[0,1,1]
	;; [unrolled: 1-line block ×3, first 2 shown]
	v_pk_fma_f16 v1, v9, v18, v106
	v_pk_fma_f16 v103, v98, v18, v107
	;; [unrolled: 1-line block ×11, first 2 shown]
	ds_load_2addr_b32 v[8:9], v52 offset0:4 offset1:5
	v_pk_fma_f16 v105, v25, v19, v0
	v_pk_fma_f16 v106, v22, v19, v1
	;; [unrolled: 1-line block ×4, first 2 shown]
	ds_load_2addr_b32 v[0:1], v52 offset0:6 offset1:7
	v_pk_fma_f16 v20, v25, v21, v100
	v_pk_fma_f16 v101, v22, v21, v101
	;; [unrolled: 1-line block ×4, first 2 shown]
	ds_load_2addr_b32 v[10:11], v52 offset0:68 offset1:69
	v_pk_fma_f16 v21, v25, v5, v27
	v_pk_fma_f16 v110, v22, v5, v18
	v_pk_fma_f16 v111, v6, v5, v4
	ds_load_2addr_b32 v[18:19], v52 offset0:132 offset1:133
	v_sub_f16_e32 v4, 0xcc00, v26
	ds_load_2addr_b32 v[26:27], v52 offset0:196 offset1:197
	v_pk_fma_f16 v2, v96, v2, v7
	v_pk_fma_f16 v24, v25, v3, v24
	v_sub_f16_e32 v7, 0xcc00, v92
	v_sub_f16_e32 v25, 0xcc00, v93
	;; [unrolled: 1-line block ×3, first 2 shown]
	v_and_b32_e32 v93, 0xffff, v4
	v_pk_fma_f16 v99, v23, v5, v99
	v_and_b32_e32 v94, 0xffff, v7
	v_and_b32_e32 v25, 0xffff, v25
	;; [unrolled: 1-line block ×3, first 2 shown]
	v_mul_u32_u24_e32 v92, 0x10001, v93
	v_and_or_b32 v93, v95, s24, 0x64006400
	v_pk_fma_f16 v22, v22, v3, v97
	v_pk_fma_f16 v23, v23, v3, v98
	;; [unrolled: 1-line block ×3, first 2 shown]
	v_mul_u32_u24_e32 v104, 0x10001, v94
	v_mul_u32_u24_e32 v103, 0x10001, v25
	v_pk_fma_f16 v3, 0x2400, v93, v92 op_sel_hi:[0,1,1]
	v_mul_u32_u24_e32 v100, 0x10001, v96
	v_and_or_b32 v25, v89, s24, 0x64006400
	v_and_or_b32 v89, v90, s24, 0x64006400
	v_and_or_b32 v90, v91, s24, 0x64006400
	ds_load_2addr_b32 v[4:5], v52 offset0:70 offset1:71
	ds_load_2addr_b32 v[6:7], v52 offset0:134 offset1:135
	s_wait_dscnt 0x6
	v_pk_fma_f16 v91, v3, v8, v105
	s_wait_dscnt 0x4
	v_pk_fma_f16 v93, v3, v10, v20
	;; [unrolled: 2-line block ×4, first 2 shown]
	v_pk_fma_f16 v24, 0x2400, v25, v104 op_sel_hi:[0,1,1]
	v_pk_fma_f16 v25, 0x2400, v89, v103 op_sel_hi:[0,1,1]
	;; [unrolled: 1-line block ×3, first 2 shown]
	v_pk_add_f16 v97, v28, v85
	v_pk_add_f16 v105, v31, v86
	;; [unrolled: 1-line block ×4, first 2 shown]
	v_pk_fma_f16 v85, v24, v8, v106
	v_pk_fma_f16 v86, v25, v8, v107
	;; [unrolled: 1-line block ×21, first 2 shown]
	v_and_or_b32 v26, v60, s23, 0x64006400
	v_and_b32_e32 v80, 0x20002, v80
	v_pk_fma_f16 v99, v97, v19, v94
	v_pk_fma_f16 v94, v112, v19, v106
	v_pk_fma_f16 v102, 0x3000, v81, v65 op_sel_hi:[0,1,1]
	v_pk_fma_f16 v81, 0x3000, v84, v61 op_sel_hi:[0,1,1]
	v_and_b32_e32 v79, 0x20002, v79
	v_and_or_b32 v84, v57, s23, 0x64006400
	v_and_b32_e32 v106, 0x20002, v78
	v_and_or_b32 v80, 0x10001, v71, v80
	v_and_b32_e32 v71, 0x20002, v77
	v_pk_fma_f16 v78, 0x3000, v26, v65 op_sel_hi:[0,1,1]
	v_and_or_b32 v26, v59, s23, 0x64006400
	v_and_or_b32 v79, 0x10001, v72, v79
	v_and_or_b32 v72, v58, s23, 0x64006400
	v_pk_fma_f16 v77, 0x3000, v84, v64 op_sel_hi:[0,1,1]
	v_and_or_b32 v84, 0x10001, v70, v106
	v_and_or_b32 v106, 0x10001, v68, v71
	v_pk_fma_f16 v68, 0x3000, v26, v65 op_sel_hi:[0,1,1]
	v_and_or_b32 v26, v56, s23, 0x64006400
	v_pk_fma_f16 v83, 0x3000, v83, v62 op_sel_hi:[0,1,1]
	;; [unrolled: 2-line block ×3, first 2 shown]
	v_pk_fma_f16 v72, 0x3000, v76, v65 op_sel_hi:[0,1,1]
	v_and_or_b32 v71, v54, s23, 0x64006400
	v_pk_fma_f16 v65, 0x3000, v75, v62 op_sel_hi:[0,1,1]
	v_and_or_b32 v76, v55, s23, 0x64006400
	v_pk_fma_f16 v62, 0x3000, v26, v62 op_sel_hi:[0,1,1]
	v_and_b32_e32 v26, 0x40004, v69
	v_pk_fma_f16 v91, v112, v11, v101
	v_pk_fma_f16 v101, v97, v27, v3
	;; [unrolled: 1-line block ×3, first 2 shown]
	v_pk_fma_f16 v82, 0x3000, v82, v64 op_sel_hi:[0,1,1]
	v_and_or_b32 v27, v60, s24, 0x64006400
	v_pk_fma_f16 v74, 0x3000, v74, v64 op_sel_hi:[0,1,1]
	v_pk_fma_f16 v71, 0x3000, v71, v64 op_sel_hi:[0,1,1]
	v_and_or_b32 v108, v57, s24, 0x64006400
	v_pk_fma_f16 v75, 0x3000, v107, v61 op_sel_hi:[0,1,1]
	v_pk_fma_f16 v64, 0x3000, v73, v61 op_sel_hi:[0,1,1]
	;; [unrolled: 1-line block ×3, first 2 shown]
	v_and_or_b32 v73, v59, s24, 0x64006400
	v_and_b32_e32 v76, 0x40004, v67
	v_or3_b32 v107, v79, v26, 0x64006400
	v_and_or_b32 v79, v54, s24, 0x64006400
	v_and_b32_e32 v66, 0x40004, v66
	ds_load_2addr_b32 v[20:21], v52 offset0:198 offset1:199
	v_pk_fma_f16 v69, 0x2400, v27, v92 op_sel_hi:[0,1,1]
	v_pk_fma_f16 v67, 0x2400, v73, v92 op_sel_hi:[0,1,1]
	v_or3_b32 v92, v80, v76, 0x64006400
	v_and_or_b32 v76, v60, s22, 0x64006400
	v_pk_fma_f16 v73, 0x2400, v108, v104 op_sel_hi:[0,1,1]
	v_pk_fma_f16 v60, 0x2400, v79, v104 op_sel_hi:[0,1,1]
	v_and_or_b32 v79, v58, s24, 0x64006400
	v_or3_b32 v104, v84, v66, 0x64006400
	v_and_or_b32 v66, v56, s24, 0x64006400
	v_and_or_b32 v84, v58, s22, 0x64006400
	v_and_b32_e32 v58, 0x40004, v63
	ds_load_2addr_b32 v[24:25], v52 offset0:8 offset1:9
	ds_load_2addr_b32 v[22:23], v52 offset0:10 offset1:11
	v_and_or_b32 v80, v57, s22, 0x64006400
	v_pk_fma_f16 v57, 0x2400, v66, v103 op_sel_hi:[0,1,1]
	v_and_or_b32 v66, v53, s24, 0x64006400
	v_or3_b32 v106, v106, v58, 0x64006400
	v_and_or_b32 v58, v55, s24, 0x64006400
	v_pk_fma_f16 v63, 0x2400, v79, v103 op_sel_hi:[0,1,1]
	v_and_or_b32 v103, v59, s22, 0x64006400
	v_pk_fma_f16 v59, 0x2400, v66, v100 op_sel_hi:[0,1,1]
	v_pk_fma_f16 v86, v113, v11, v8
	v_pk_fma_f16 v58, 0x2400, v58, v100 op_sel_hi:[0,1,1]
	v_and_or_b32 v100, v53, s22, 0x64006400
	v_and_or_b32 v53, v54, s22, 0x64006400
	v_pk_fma_f16 v87, v113, v19, v9
	v_pk_add_f16 v108, v28, v76
	v_pk_add_f16 v66, v28, v107
	v_pk_add_f16 v107, v31, v80
	v_pk_add_f16 v109, v32, v84
	v_pk_add_f16 v80, v31, v53
	v_pk_add_f16 v53, v32, v104
	v_pk_add_f16 v104, v30, v100
	v_pk_fma_f16 v95, v102, v0, v95
	v_pk_fma_f16 v88, v82, v0, v88
	;; [unrolled: 1-line block ×4, first 2 shown]
	ds_load_2addr_b32 v[18:19], v52 offset0:72 offset1:73
	ds_load_2addr_b32 v[2:3], v52 offset0:74 offset1:75
	;; [unrolled: 1-line block ×3, first 2 shown]
	s_wait_dscnt 0x7
	v_pk_fma_f16 v98, v102, v4, v98
	s_wait_dscnt 0x6
	v_pk_fma_f16 v99, v102, v6, v99
	;; [unrolled: 2-line block ×3, first 2 shown]
	v_pk_fma_f16 v90, v82, v4, v90
	v_pk_fma_f16 v91, v83, v4, v91
	;; [unrolled: 1-line block ×13, first 2 shown]
	ds_load_2addr_b32 v[10:11], v52 offset0:12 offset1:13
	ds_load_2addr_b32 v[8:9], v52 offset0:14 offset1:15
	v_pk_fma_f16 v1, v108, v5, v98
	v_pk_fma_f16 v89, v107, v5, v90
	;; [unrolled: 1-line block ×12, first 2 shown]
	s_wait_dscnt 0x6
	v_pk_fma_f16 v6, v78, v24, v86
	v_pk_fma_f16 v7, v77, v24, v87
	;; [unrolled: 1-line block ×4, first 2 shown]
	v_pk_add_f16 v79, v28, v29
	v_pk_add_f16 v76, v28, v103
	v_and_or_b32 v54, v56, s22, 0x64006400
	v_pk_add_f16 v84, v31, v34
	v_pk_add_f16 v56, v32, v35
	v_pk_add_f16 v103, v30, v33
	v_pk_fma_f16 v6, v69, v25, v6
	v_pk_fma_f16 v7, v73, v25, v7
	;; [unrolled: 1-line block ×4, first 2 shown]
	v_and_or_b32 v110, v55, s22, 0x64006400
	s_wait_dscnt 0x5
	v_pk_fma_f16 v6, v79, v22, v6
	v_pk_fma_f16 v7, v84, v22, v7
	;; [unrolled: 1-line block ×4, first 2 shown]
	ds_load_2addr_b32 v[28:29], v52 offset0:78 offset1:79
	v_pk_add_f16 v54, v32, v54
	ds_load_2addr_b32 v[34:35], v52 offset0:136 offset1:137
	ds_load_2addr_b32 v[32:33], v52 offset0:140 offset1:141
	v_pk_add_f16 v100, v30, v110
	s_wait_dscnt 0x7
	v_pk_fma_f16 v1, v78, v18, v1
	v_pk_fma_f16 v6, v72, v23, v6
	;; [unrolled: 1-line block ×6, first 2 shown]
	s_wait_dscnt 0x4
	v_pk_fma_f16 v1, v76, v10, v6
	v_pk_fma_f16 v6, v80, v10, v7
	;; [unrolled: 1-line block ×4, first 2 shown]
	v_pk_add_f16 v55, v31, v92
	v_pk_add_f16 v92, v30, v106
	ds_load_2addr_b32 v[30:31], v52 offset0:138 offset1:139
	v_pk_fma_f16 v1, v68, v11, v1
	v_pk_fma_f16 v6, v71, v11, v6
	;; [unrolled: 1-line block ×7, first 2 shown]
	s_wait_dscnt 0x4
	v_pk_fma_f16 v1, v67, v8, v1
	v_pk_fma_f16 v6, v60, v8, v6
	;; [unrolled: 1-line block ×11, first 2 shown]
	ds_load_2addr_b32 v[0:1], v52 offset0:142 offset1:143
	s_wait_dscnt 0x3
	v_pk_fma_f16 v19, v70, v34, v94
	v_pk_fma_f16 v22, v78, v34, v95
	;; [unrolled: 1-line block ×13, first 2 shown]
	s_wait_dscnt 0x1
	v_pk_fma_f16 v19, v56, v30, v19
	v_pk_fma_f16 v23, v64, v3, v2
	ds_load_2addr_b32 v[2:3], v52 offset0:200 offset1:201
	v_pk_fma_f16 v9, v77, v34, v93
	v_pk_fma_f16 v22, v79, v30, v22
	;; [unrolled: 1-line block ×13, first 2 shown]
	ds_load_2addr_b32 v[18:19], v52 offset0:202 offset1:203
	v_pk_fma_f16 v9, v84, v30, v9
	v_pk_fma_f16 v22, v76, v32, v22
	v_pk_fma_f16 v21, v100, v32, v21
	v_pk_fma_f16 v11, v62, v27, v11
	v_pk_fma_f16 v27, v61, v27, v23
	v_pk_fma_f16 v9, v74, v31, v9
	v_pk_fma_f16 v30, v68, v33, v22
	v_pk_fma_f16 v31, v61, v33, v21
	v_pk_fma_f16 v21, v67, v28, v24
	ds_load_2addr_b32 v[22:23], v52 offset0:204 offset1:205
	s_wait_dscnt 0x2
	v_pk_fma_f16 v24, v78, v2, v81
	v_pk_fma_f16 v20, v77, v2, v20
	;; [unrolled: 1-line block ×11, first 2 shown]
	ds_load_2addr_b32 v[20:21], v52 offset0:206 offset1:207
	s_wait_dscnt 0x2
	v_pk_fma_f16 v24, v79, v18, v24
	v_pk_fma_f16 v11, v53, v29, v11
	;; [unrolled: 1-line block ×12, first 2 shown]
	s_wait_dscnt 0x1
	v_pk_fma_f16 v24, v76, v22, v24
	v_pk_fma_f16 v29, v80, v22, v29
	;; [unrolled: 1-line block ×16, first 2 shown]
	s_wait_dscnt 0x0
	v_pk_fma_f16 v1, v67, v20, v24
	v_pk_fma_f16 v3, v60, v20, v5
	v_pack_b32_f16 v5, v8, v10
	v_perm_b32 v8, v10, v8, 0x7060302
	v_pk_fma_f16 v4, v54, v22, v4
	v_pk_fma_f16 v2, v100, v22, v2
	;; [unrolled: 1-line block ×4, first 2 shown]
	v_pk_add_f16 v5, v5, v8
	v_pack_b32_f16 v8, v28, v26
	v_perm_b32 v10, v26, v28, 0x7060302
	v_pack_b32_f16 v18, v30, v9
	v_perm_b32 v9, v9, v30, 0x7060302
	v_pk_fma_f16 v4, v62, v23, v4
	v_pk_fma_f16 v2, v61, v23, v2
	v_pk_fma_f16 v43, v5, v16, v43
	v_pk_add_f16 v5, v8, v10
	v_pk_add_f16 v8, v18, v9
	v_pack_b32_f16 v9, v1, v3
	v_perm_b32 v1, v3, v1, 0x7060302
	v_pk_fma_f16 v3, v57, v20, v4
	v_pk_fma_f16 v2, v58, v20, v2
	;; [unrolled: 1-line block ×4, first 2 shown]
	v_pk_add_f16 v1, v9, v1
	v_pk_fma_f16 v3, v53, v21, v3
	v_pk_fma_f16 v2, v92, v21, v2
	v_pack_b32_f16 v4, v6, v7
	v_perm_b32 v5, v7, v6, 0x7060302
	v_pack_b32_f16 v6, v11, v27
	v_perm_b32 v7, v27, v11, 0x7060302
	;; [unrolled: 2-line block ×4, first 2 shown]
	v_pk_add_f16 v3, v4, v5
	v_pk_add_f16 v4, v6, v7
	;; [unrolled: 1-line block ×3, first 2 shown]
	v_pk_fma_f16 v36, v1, v16, v36
	v_pk_add_f16 v1, v9, v2
	v_pk_fma_f16 v42, v3, v17, v42
	v_pk_fma_f16 v39, v4, v17, v39
	;; [unrolled: 1-line block ×3, first 2 shown]
	s_delay_alu instid0(VALU_DEP_4)
	v_pk_fma_f16 v13, v1, v17, v13
	s_cbranch_scc1 .LBB28_48
.LBB28_31:                              ; =>This Inner Loop Header: Depth=1
	s_cmp_lg_u32 s17, s21
	s_cbranch_scc1 .LBB28_30
; %bb.32:                               ;   in Loop: Header=BB28_31 Depth=1
	s_add_co_i32 s19, s19, 1
                                        ; implicit-def: $vgpr2
	s_delay_alu instid0(SALU_CYCLE_1) | instskip(NEXT) | instid1(SALU_CYCLE_1)
	s_mul_i32 s25, s19, s4
	s_ashr_i32 s26, s25, 31
	s_delay_alu instid0(SALU_CYCLE_1) | instskip(NEXT) | instid1(SALU_CYCLE_1)
	s_lshr_b32 s26, s26, 27
	s_add_co_i32 s26, s25, s26
	s_delay_alu instid0(SALU_CYCLE_1) | instskip(NEXT) | instid1(SALU_CYCLE_1)
	s_ashr_i32 s26, s26, 5
	v_mad_u32 v0, s26, 3, v45
	global_load_b32 v3, v0, s[12:13] scale_offset
	s_wait_xcnt 0x0
	s_and_saveexec_b32 s26, vcc_lo
	s_delay_alu instid0(SALU_CYCLE_1)
	s_xor_b32 s26, exec_lo, s26
	s_cbranch_execz .LBB28_46
; %bb.33:                               ;   in Loop: Header=BB28_31 Depth=1
	v_ashrrev_i32_e32 v1, 31, v0
                                        ; implicit-def: $vgpr2
	s_delay_alu instid0(VALU_DEP_1) | instskip(SKIP_1) | instid1(SALU_CYCLE_1)
	v_lshl_add_u64 v[0:1], v[0:1], 2, s[12:13]
	s_and_saveexec_b32 s27, s0
	s_xor_b32 s27, exec_lo, s27
	s_cbranch_execz .LBB28_43
; %bb.34:                               ;   in Loop: Header=BB28_31 Depth=1
                                        ; implicit-def: $vgpr2
	s_and_saveexec_b32 s28, s1
	s_delay_alu instid0(SALU_CYCLE_1)
	s_xor_b32 s28, exec_lo, s28
	s_cbranch_execz .LBB28_40
; %bb.35:                               ;   in Loop: Header=BB28_31 Depth=1
                                        ; implicit-def: $vgpr2
	s_and_saveexec_b32 s29, s2
	s_delay_alu instid0(SALU_CYCLE_1)
	s_xor_b32 s29, exec_lo, s29
	s_cbranch_execz .LBB28_37
; %bb.36:                               ;   in Loop: Header=BB28_31 Depth=1
	s_wait_loadcnt 0x0
	v_lshrrev_b32_e32 v2, v46, v3
                                        ; implicit-def: $vgpr0_vgpr1
                                        ; implicit-def: $vgpr3
.LBB28_37:                              ;   in Loop: Header=BB28_31 Depth=1
	s_and_not1_saveexec_b32 s29, s29
	s_cbranch_execz .LBB28_39
; %bb.38:                               ;   in Loop: Header=BB28_31 Depth=1
	global_load_b32 v0, v[0:1], off offset:4
	s_wait_loadcnt 0x0
	v_alignbit_b32 v0, v0, v3, 28
	s_delay_alu instid0(VALU_DEP_1)
	v_and_b32_e32 v2, 0xfff, v0
.LBB28_39:                              ;   in Loop: Header=BB28_31 Depth=1
	s_or_b32 exec_lo, exec_lo, s29
                                        ; implicit-def: $vgpr3
.LBB28_40:                              ;   in Loop: Header=BB28_31 Depth=1
	s_and_not1_saveexec_b32 s28, s28
	s_cbranch_execz .LBB28_42
; %bb.41:                               ;   in Loop: Header=BB28_31 Depth=1
	s_wait_loadcnt 0x0
	v_lshrrev_b32_e32 v2, v47, v3
.LBB28_42:                              ;   in Loop: Header=BB28_31 Depth=1
	s_or_b32 exec_lo, exec_lo, s28
                                        ; implicit-def: $vgpr0_vgpr1
                                        ; implicit-def: $vgpr3
.LBB28_43:                              ;   in Loop: Header=BB28_31 Depth=1
	s_and_not1_saveexec_b32 s27, s27
	s_cbranch_execz .LBB28_45
; %bb.44:                               ;   in Loop: Header=BB28_31 Depth=1
	global_load_b32 v0, v[0:1], off offset:4
	s_wait_loadcnt 0x0
	v_perm_b32 v0, v3, v0, 0x2010007
	s_delay_alu instid0(VALU_DEP_1)
	v_and_b32_e32 v2, 0xfff, v0
.LBB28_45:                              ;   in Loop: Header=BB28_31 Depth=1
	s_or_b32 exec_lo, exec_lo, s27
                                        ; implicit-def: $vgpr3
.LBB28_46:                              ;   in Loop: Header=BB28_31 Depth=1
	s_and_not1_saveexec_b32 s26, s26
	s_cbranch_execz .LBB28_29
; %bb.47:                               ;   in Loop: Header=BB28_31 Depth=1
	s_wait_loadcnt 0x0
	v_lshrrev_b32_e32 v2, v40, v3
	s_branch .LBB28_29
.LBB28_48:
	v_mad_u32 v0, s16, s4, v12
	s_mov_b32 s0, 0
	s_delay_alu instid0(VALU_DEP_1) | instskip(SKIP_1) | instid1(VALU_DEP_1)
	v_ashrrev_i32_e32 v1, 31, v0
	s_wait_kmcnt 0x0
	v_lshl_add_u64 v[2:3], v[0:1], 1, s[10:11]
	global_load_b32 v5, v[2:3], off
.LBB28_49:                              ; =>This Inner Loop Header: Depth=1
	s_wait_loadcnt 0x0
	v_pk_add_f16 v4, v43, v5
	global_atomic_cmpswap_b32 v1, v[2:3], v[4:5], off th:TH_ATOMIC_RETURN scope:SCOPE_DEV
	s_wait_loadcnt 0x0
	v_cmp_eq_u32_e32 vcc_lo, v5, v1
	v_mov_b32_e32 v5, v1
	s_or_b32 s0, vcc_lo, s0
	s_delay_alu instid0(SALU_CYCLE_1)
	s_and_not1_b32 exec_lo, exec_lo, s0
	s_cbranch_execnz .LBB28_49
; %bb.50:
	s_or_b32 exec_lo, exec_lo, s0
	global_load_b32 v5, v[2:3], off offset:4
	s_mov_b32 s0, 0
.LBB28_51:                              ; =>This Inner Loop Header: Depth=1
	s_wait_loadcnt 0x0
	v_pk_add_f16 v4, v42, v5
	global_atomic_cmpswap_b32 v1, v[2:3], v[4:5], off offset:4 th:TH_ATOMIC_RETURN scope:SCOPE_DEV
	s_wait_loadcnt 0x0
	v_cmp_eq_u32_e32 vcc_lo, v5, v1
	v_mov_b32_e32 v5, v1
	s_or_b32 s0, vcc_lo, s0
	s_delay_alu instid0(SALU_CYCLE_1)
	s_and_not1_b32 exec_lo, exec_lo, s0
	s_cbranch_execnz .LBB28_51
; %bb.52:
	s_or_b32 exec_lo, exec_lo, s0
	v_add_nc_u32_e32 v0, s4, v0
	s_mov_b32 s0, 0
	s_delay_alu instid0(VALU_DEP_1) | instskip(NEXT) | instid1(VALU_DEP_1)
	v_ashrrev_i32_e32 v1, 31, v0
	v_lshl_add_u64 v[2:3], v[0:1], 1, s[10:11]
	global_load_b32 v5, v[2:3], off
.LBB28_53:                              ; =>This Inner Loop Header: Depth=1
	s_wait_loadcnt 0x0
	v_pk_add_f16 v4, v41, v5
	global_atomic_cmpswap_b32 v1, v[2:3], v[4:5], off th:TH_ATOMIC_RETURN scope:SCOPE_DEV
	s_wait_loadcnt 0x0
	v_cmp_eq_u32_e32 vcc_lo, v5, v1
	v_mov_b32_e32 v5, v1
	s_or_b32 s0, vcc_lo, s0
	s_delay_alu instid0(SALU_CYCLE_1)
	s_and_not1_b32 exec_lo, exec_lo, s0
	s_cbranch_execnz .LBB28_53
; %bb.54:
	s_or_b32 exec_lo, exec_lo, s0
	global_load_b32 v5, v[2:3], off offset:4
	s_mov_b32 s0, 0
.LBB28_55:                              ; =>This Inner Loop Header: Depth=1
	s_wait_loadcnt 0x0
	v_pk_add_f16 v4, v39, v5
	global_atomic_cmpswap_b32 v1, v[2:3], v[4:5], off offset:4 th:TH_ATOMIC_RETURN scope:SCOPE_DEV
	s_wait_loadcnt 0x0
	v_cmp_eq_u32_e32 vcc_lo, v5, v1
	v_mov_b32_e32 v5, v1
	s_or_b32 s0, vcc_lo, s0
	s_delay_alu instid0(SALU_CYCLE_1)
	s_and_not1_b32 exec_lo, exec_lo, s0
	s_cbranch_execnz .LBB28_55
; %bb.56:
	s_or_b32 exec_lo, exec_lo, s0
	v_add_nc_u32_e32 v0, s4, v0
	s_mov_b32 s0, 0
	s_delay_alu instid0(VALU_DEP_1) | instskip(NEXT) | instid1(VALU_DEP_1)
	v_ashrrev_i32_e32 v1, 31, v0
	v_lshl_add_u64 v[2:3], v[0:1], 1, s[10:11]
	global_load_b32 v5, v[2:3], off
.LBB28_57:                              ; =>This Inner Loop Header: Depth=1
	s_wait_loadcnt 0x0
	v_pk_add_f16 v4, v38, v5
	global_atomic_cmpswap_b32 v1, v[2:3], v[4:5], off th:TH_ATOMIC_RETURN scope:SCOPE_DEV
	s_wait_loadcnt 0x0
	v_cmp_eq_u32_e32 vcc_lo, v5, v1
	v_mov_b32_e32 v5, v1
	s_or_b32 s0, vcc_lo, s0
	s_delay_alu instid0(SALU_CYCLE_1)
	s_and_not1_b32 exec_lo, exec_lo, s0
	s_cbranch_execnz .LBB28_57
; %bb.58:
	s_or_b32 exec_lo, exec_lo, s0
	global_load_b32 v5, v[2:3], off offset:4
	s_mov_b32 s0, 0
.LBB28_59:                              ; =>This Inner Loop Header: Depth=1
	s_wait_loadcnt 0x0
	v_pk_add_f16 v4, v37, v5
	global_atomic_cmpswap_b32 v1, v[2:3], v[4:5], off offset:4 th:TH_ATOMIC_RETURN scope:SCOPE_DEV
	s_wait_loadcnt 0x0
	v_cmp_eq_u32_e32 vcc_lo, v5, v1
	v_mov_b32_e32 v5, v1
	s_or_b32 s0, vcc_lo, s0
	s_delay_alu instid0(SALU_CYCLE_1)
	s_and_not1_b32 exec_lo, exec_lo, s0
	s_cbranch_execnz .LBB28_59
; %bb.60:
	s_or_b32 exec_lo, exec_lo, s0
	v_add_nc_u32_e32 v0, s4, v0
	s_mov_b32 s0, 0
	s_delay_alu instid0(VALU_DEP_1) | instskip(NEXT) | instid1(VALU_DEP_1)
	v_ashrrev_i32_e32 v1, 31, v0
	v_lshl_add_u64 v[0:1], v[0:1], 1, s[10:11]
	global_load_b32 v3, v[0:1], off
.LBB28_61:                              ; =>This Inner Loop Header: Depth=1
	s_wait_loadcnt 0x0
	v_pk_add_f16 v2, v36, v3
	global_atomic_cmpswap_b32 v2, v[0:1], v[2:3], off th:TH_ATOMIC_RETURN scope:SCOPE_DEV
	s_wait_loadcnt 0x0
	v_cmp_eq_u32_e32 vcc_lo, v3, v2
	v_mov_b32_e32 v3, v2
	s_or_b32 s0, vcc_lo, s0
	s_delay_alu instid0(SALU_CYCLE_1)
	s_and_not1_b32 exec_lo, exec_lo, s0
	s_cbranch_execnz .LBB28_61
; %bb.62:
	s_or_b32 exec_lo, exec_lo, s0
	global_load_b32 v3, v[0:1], off offset:4
	s_mov_b32 s0, 0
.LBB28_63:                              ; =>This Inner Loop Header: Depth=1
	s_wait_loadcnt 0x0
	v_pk_add_f16 v2, v13, v3
	global_atomic_cmpswap_b32 v2, v[0:1], v[2:3], off offset:4 th:TH_ATOMIC_RETURN scope:SCOPE_DEV
	s_wait_loadcnt 0x0
	v_cmp_eq_u32_e32 vcc_lo, v3, v2
	v_mov_b32_e32 v3, v2
	s_or_b32 s0, vcc_lo, s0
	s_delay_alu instid0(SALU_CYCLE_1)
	s_and_not1_b32 exec_lo, exec_lo, s0
	s_cbranch_execnz .LBB28_63
.LBB28_64:
	s_endpgm
	.section	.rodata,"a",@progbits
	.p2align	6, 0x0
	.amdhsa_kernel _ZN4vllm4gptq33gemm_half_q_half_gptq_3bit_kernelILb1ELi4EEEvPK6__halfPKjS6_S4_PS2_iiiibPKi
		.amdhsa_group_segment_fixed_size 1024
		.amdhsa_private_segment_fixed_size 0
		.amdhsa_kernarg_size 72
		.amdhsa_user_sgpr_count 2
		.amdhsa_user_sgpr_dispatch_ptr 0
		.amdhsa_user_sgpr_queue_ptr 0
		.amdhsa_user_sgpr_kernarg_segment_ptr 1
		.amdhsa_user_sgpr_dispatch_id 0
		.amdhsa_user_sgpr_kernarg_preload_length 0
		.amdhsa_user_sgpr_kernarg_preload_offset 0
		.amdhsa_user_sgpr_private_segment_size 0
		.amdhsa_wavefront_size32 1
		.amdhsa_uses_dynamic_stack 0
		.amdhsa_enable_private_segment 0
		.amdhsa_system_sgpr_workgroup_id_x 1
		.amdhsa_system_sgpr_workgroup_id_y 1
		.amdhsa_system_sgpr_workgroup_id_z 1
		.amdhsa_system_sgpr_workgroup_info 0
		.amdhsa_system_vgpr_workitem_id 0
		.amdhsa_next_free_vgpr 114
		.amdhsa_next_free_sgpr 30
		.amdhsa_named_barrier_count 0
		.amdhsa_reserve_vcc 1
		.amdhsa_float_round_mode_32 0
		.amdhsa_float_round_mode_16_64 0
		.amdhsa_float_denorm_mode_32 3
		.amdhsa_float_denorm_mode_16_64 3
		.amdhsa_fp16_overflow 0
		.amdhsa_memory_ordered 1
		.amdhsa_forward_progress 1
		.amdhsa_inst_pref_size 60
		.amdhsa_round_robin_scheduling 0
		.amdhsa_exception_fp_ieee_invalid_op 0
		.amdhsa_exception_fp_denorm_src 0
		.amdhsa_exception_fp_ieee_div_zero 0
		.amdhsa_exception_fp_ieee_overflow 0
		.amdhsa_exception_fp_ieee_underflow 0
		.amdhsa_exception_fp_ieee_inexact 0
		.amdhsa_exception_int_div_zero 0
	.end_amdhsa_kernel
	.section	.text._ZN4vllm4gptq33gemm_half_q_half_gptq_3bit_kernelILb1ELi4EEEvPK6__halfPKjS6_S4_PS2_iiiibPKi,"axG",@progbits,_ZN4vllm4gptq33gemm_half_q_half_gptq_3bit_kernelILb1ELi4EEEvPK6__halfPKjS6_S4_PS2_iiiibPKi,comdat
.Lfunc_end28:
	.size	_ZN4vllm4gptq33gemm_half_q_half_gptq_3bit_kernelILb1ELi4EEEvPK6__halfPKjS6_S4_PS2_iiiibPKi, .Lfunc_end28-_ZN4vllm4gptq33gemm_half_q_half_gptq_3bit_kernelILb1ELi4EEEvPK6__halfPKjS6_S4_PS2_iiiibPKi
                                        ; -- End function
	.set _ZN4vllm4gptq33gemm_half_q_half_gptq_3bit_kernelILb1ELi4EEEvPK6__halfPKjS6_S4_PS2_iiiibPKi.num_vgpr, 114
	.set _ZN4vllm4gptq33gemm_half_q_half_gptq_3bit_kernelILb1ELi4EEEvPK6__halfPKjS6_S4_PS2_iiiibPKi.num_agpr, 0
	.set _ZN4vllm4gptq33gemm_half_q_half_gptq_3bit_kernelILb1ELi4EEEvPK6__halfPKjS6_S4_PS2_iiiibPKi.numbered_sgpr, 30
	.set _ZN4vllm4gptq33gemm_half_q_half_gptq_3bit_kernelILb1ELi4EEEvPK6__halfPKjS6_S4_PS2_iiiibPKi.num_named_barrier, 0
	.set _ZN4vllm4gptq33gemm_half_q_half_gptq_3bit_kernelILb1ELi4EEEvPK6__halfPKjS6_S4_PS2_iiiibPKi.private_seg_size, 0
	.set _ZN4vllm4gptq33gemm_half_q_half_gptq_3bit_kernelILb1ELi4EEEvPK6__halfPKjS6_S4_PS2_iiiibPKi.uses_vcc, 1
	.set _ZN4vllm4gptq33gemm_half_q_half_gptq_3bit_kernelILb1ELi4EEEvPK6__halfPKjS6_S4_PS2_iiiibPKi.uses_flat_scratch, 0
	.set _ZN4vllm4gptq33gemm_half_q_half_gptq_3bit_kernelILb1ELi4EEEvPK6__halfPKjS6_S4_PS2_iiiibPKi.has_dyn_sized_stack, 0
	.set _ZN4vllm4gptq33gemm_half_q_half_gptq_3bit_kernelILb1ELi4EEEvPK6__halfPKjS6_S4_PS2_iiiibPKi.has_recursion, 0
	.set _ZN4vllm4gptq33gemm_half_q_half_gptq_3bit_kernelILb1ELi4EEEvPK6__halfPKjS6_S4_PS2_iiiibPKi.has_indirect_call, 0
	.section	.AMDGPU.csdata,"",@progbits
; Kernel info:
; codeLenInByte = 7676
; TotalNumSgprs: 32
; NumVgprs: 114
; ScratchSize: 0
; MemoryBound: 0
; FloatMode: 240
; IeeeMode: 1
; LDSByteSize: 1024 bytes/workgroup (compile time only)
; SGPRBlocks: 0
; VGPRBlocks: 7
; NumSGPRsForWavesPerEU: 32
; NumVGPRsForWavesPerEU: 114
; NamedBarCnt: 0
; Occupancy: 8
; WaveLimiterHint : 0
; COMPUTE_PGM_RSRC2:SCRATCH_EN: 0
; COMPUTE_PGM_RSRC2:USER_SGPR: 2
; COMPUTE_PGM_RSRC2:TRAP_HANDLER: 0
; COMPUTE_PGM_RSRC2:TGID_X_EN: 1
; COMPUTE_PGM_RSRC2:TGID_Y_EN: 1
; COMPUTE_PGM_RSRC2:TGID_Z_EN: 1
; COMPUTE_PGM_RSRC2:TIDIG_COMP_CNT: 0
	.section	.text._ZN4vllm4gptq33gemm_half_q_half_gptq_4bit_kernelILb1ELi4EEEvPK6__halfPKjS6_S4_PS2_iiiibPKi,"axG",@progbits,_ZN4vllm4gptq33gemm_half_q_half_gptq_4bit_kernelILb1ELi4EEEvPK6__halfPKjS6_S4_PS2_iiiibPKi,comdat
	.protected	_ZN4vllm4gptq33gemm_half_q_half_gptq_4bit_kernelILb1ELi4EEEvPK6__halfPKjS6_S4_PS2_iiiibPKi ; -- Begin function _ZN4vllm4gptq33gemm_half_q_half_gptq_4bit_kernelILb1ELi4EEEvPK6__halfPKjS6_S4_PS2_iiiibPKi
	.globl	_ZN4vllm4gptq33gemm_half_q_half_gptq_4bit_kernelILb1ELi4EEEvPK6__halfPKjS6_S4_PS2_iiiibPKi
	.p2align	8
	.type	_ZN4vllm4gptq33gemm_half_q_half_gptq_4bit_kernelILb1ELi4EEEvPK6__halfPKjS6_S4_PS2_iiiibPKi,@function
_ZN4vllm4gptq33gemm_half_q_half_gptq_4bit_kernelILb1ELi4EEEvPK6__halfPKjS6_S4_PS2_iiiibPKi: ; @_ZN4vllm4gptq33gemm_half_q_half_gptq_4bit_kernelILb1ELi4EEEvPK6__halfPKjS6_S4_PS2_iiiibPKi
; %bb.0:
	s_load_b128 s[4:7], s[0:1], 0x2c
	s_bfe_u32 s2, ttmp6, 0x40010
	s_and_b32 s3, ttmp7, 0xffff
	s_add_co_i32 s2, s2, 1
	s_bfe_u32 s9, ttmp6, 0x40014
	s_mul_i32 s2, s3, s2
	s_bfe_u32 s8, ttmp6, 0x40004
	s_lshr_b32 s10, ttmp7, 16
	s_add_co_i32 s9, s9, 1
	s_add_co_i32 s8, s8, s2
	s_mul_i32 s2, s10, s9
	s_bfe_u32 s9, ttmp6, 0x40008
	s_getreg_b32 s17, hwreg(HW_REG_IB_STS2, 6, 4)
	s_add_co_i32 s9, s9, s2
	s_cmp_eq_u32 s17, 0
	s_mov_b32 s12, exec_lo
	s_cselect_b32 s2, s10, s9
	s_cselect_b32 s8, s3, s8
	s_lshl_b32 s15, s2, 7
	s_lshl_b32 s14, s8, 2
	s_add_co_i32 s2, s15, 0x80
	s_delay_alu instid0(SALU_CYCLE_1) | instskip(SKIP_3) | instid1(VALU_DEP_1)
	v_cvt_f64_u32_e32 v[2:3], s2
	s_load_b64 s[2:3], s[0:1], 0x10
	s_wait_kmcnt 0x0
	v_cvt_f64_i32_e32 v[4:5], s5
	v_min_num_f64_e32 v[2:3], v[2:3], v[4:5]
	s_delay_alu instid0(VALU_DEP_1) | instskip(SKIP_1) | instid1(VALU_DEP_2)
	v_cvt_i32_f64_e32 v1, v[2:3]
	v_add_nc_u32_e32 v2, s15, v0
	v_readfirstlane_b32 s16, v1
	s_delay_alu instid0(VALU_DEP_2)
	v_cmpx_lt_u32_e64 v2, v1
	s_cbranch_execz .LBB29_10
; %bb.1:
	s_clause 0x1
	s_load_b64 s[10:11], s[0:1], 0x40
	s_load_b64 s[8:9], s[0:1], 0x0
	v_mov_b32_e32 v3, 0
	s_delay_alu instid0(VALU_DEP_1)
	v_mov_b64_e32 v[6:7], v[2:3]
	s_wait_kmcnt 0x0
	v_lshl_add_u64 v[4:5], v[2:3], 2, s[10:11]
	s_cmp_lg_u64 s[10:11], 0
	s_cselect_b32 s13, -1, 0
	s_cmp_eq_u64 s[10:11], 0
	s_cbranch_scc1 .LBB29_3
; %bb.2:
	global_load_b32 v6, v[4:5], off
	s_wait_loadcnt 0x0
	v_ashrrev_i32_e32 v7, 31, v6
.LBB29_3:
	s_mul_i32 s10, s14, s5
	v_cndmask_b32_e64 v8, 0, 1, s13
	s_ashr_i32 s11, s10, 31
	v_lshlrev_b32_e32 v1, 1, v0
	s_lshl_b64 s[18:19], s[10:11], 1
	s_and_not1_b32 vcc_lo, exec_lo, s13
	s_add_nc_u64 s[18:19], s[8:9], s[18:19]
	s_delay_alu instid0(SALU_CYCLE_1)
	v_lshl_add_u64 v[6:7], v[6:7], 1, s[18:19]
	global_load_u16 v9, v[6:7], off
	s_wait_xcnt 0x0
	v_mov_b64_e32 v[6:7], v[2:3]
	s_wait_loadcnt 0x0
	ds_store_b16 v1, v9
	s_cbranch_vccnz .LBB29_5
; %bb.4:
	global_load_b32 v6, v[4:5], off
	s_wait_loadcnt 0x0
	v_ashrrev_i32_e32 v7, 31, v6
.LBB29_5:
	s_add_co_i32 s10, s10, s5
	v_cmp_ne_u32_e32 vcc_lo, 1, v8
	s_ashr_i32 s11, s10, 31
	s_delay_alu instid0(SALU_CYCLE_1) | instskip(SKIP_2) | instid1(SALU_CYCLE_1)
	s_lshl_b64 s[18:19], s[10:11], 1
	s_and_b32 vcc_lo, exec_lo, vcc_lo
	s_add_nc_u64 s[18:19], s[8:9], s[18:19]
	v_lshl_add_u64 v[6:7], v[6:7], 1, s[18:19]
	global_load_u16 v9, v[6:7], off
	s_wait_xcnt 0x0
	v_mov_b64_e32 v[6:7], v[2:3]
	s_wait_loadcnt 0x0
	ds_store_b16 v1, v9 offset:256
	s_cbranch_vccnz .LBB29_7
; %bb.6:
	global_load_b32 v6, v[4:5], off
	s_wait_loadcnt 0x0
	v_ashrrev_i32_e32 v7, 31, v6
.LBB29_7:
	s_add_co_i32 s10, s10, s5
	v_cmp_ne_u32_e32 vcc_lo, 1, v8
	s_ashr_i32 s11, s10, 31
	s_delay_alu instid0(SALU_CYCLE_1) | instskip(SKIP_2) | instid1(SALU_CYCLE_1)
	s_lshl_b64 s[18:19], s[10:11], 1
	s_and_b32 vcc_lo, exec_lo, vcc_lo
	s_add_nc_u64 s[18:19], s[8:9], s[18:19]
	v_lshl_add_u64 v[6:7], v[6:7], 1, s[18:19]
	global_load_u16 v6, v[6:7], off
	s_wait_loadcnt 0x0
	ds_store_b16 v1, v6 offset:512
	s_cbranch_vccnz .LBB29_9
; %bb.8:
	global_load_b32 v2, v[4:5], off
	s_wait_loadcnt 0x0
	v_ashrrev_i32_e32 v3, 31, v2
.LBB29_9:
	s_add_co_i32 s10, s10, s5
	s_delay_alu instid0(SALU_CYCLE_1) | instskip(NEXT) | instid1(SALU_CYCLE_1)
	s_ashr_i32 s11, s10, 31
	s_lshl_b64 s[10:11], s[10:11], 1
	s_delay_alu instid0(SALU_CYCLE_1) | instskip(NEXT) | instid1(SALU_CYCLE_1)
	s_add_nc_u64 s[8:9], s[8:9], s[10:11]
	v_lshl_add_u64 v[2:3], v[2:3], 1, s[8:9]
	global_load_u16 v2, v[2:3], off
	s_wait_loadcnt 0x0
	ds_store_b16 v1, v2 offset:768
.LBB29_10:
	s_or_b32 exec_lo, exec_lo, s12
	s_clause 0x1
	s_load_b64 s[12:13], s[0:1], 0x8
	s_load_b128 s[8:11], s[0:1], 0x18
	s_wait_xcnt 0x0
	s_bfe_u32 s0, ttmp6, 0x4000c
	s_and_b32 s1, ttmp6, 15
	s_add_co_i32 s0, s0, 1
	v_lshlrev_b32_e32 v1, 2, v0
	s_mul_i32 s0, ttmp9, s0
	s_delay_alu instid0(SALU_CYCLE_1)
	s_add_co_i32 s1, s1, s0
	s_cmp_eq_u32 s17, 0
	s_cselect_b32 s0, ttmp9, s1
	s_mov_b32 s1, 0
	v_lshl_add_u32 v4, s0, 9, v1
	s_mov_b32 s0, exec_lo
	s_delay_alu instid0(VALU_DEP_1)
	v_cmpx_gt_i32_e64 s4, v4
	s_cbranch_execz .LBB29_32
; %bb.11:
	s_abs_i32 s17, s6
	v_mov_b32_e32 v7, 0
	s_cvt_f32_u32 s0, s17
	s_cmp_ge_i32 s15, s16
	s_wait_dscnt 0x0
	s_barrier_signal -1
	v_rcp_iflag_f32_e32 v1, s0
	v_dual_mov_b32 v6, v7 :: v_dual_mov_b32 v34, v7
	v_dual_mov_b32 v15, v7 :: v_dual_mov_b32 v33, v7
	;; [unrolled: 1-line block ×4, first 2 shown]
	s_delay_alu instid0(TRANS32_DEP_1)
	v_readfirstlane_b32 s0, v1
	v_dual_mov_b32 v38, v7 :: v_dual_mov_b32 v40, v7
	v_dual_mov_b32 v39, v7 :: v_dual_mov_b32 v43, v7
	;; [unrolled: 1-line block ×3, first 2 shown]
	v_mov_b32_e32 v44, v7
	s_barrier_wait -1
	s_cbranch_scc1 .LBB29_16
; %bb.12:
	s_mul_f32 s0, s0, 0x4f7ffffe
	v_ashrrev_i32_e32 v5, 31, v4
	v_dual_lshlrev_b32 v0, 4, v0 :: v_dual_mov_b32 v6, 0
	s_delay_alu instid0(SALU_CYCLE_1) | instskip(SKIP_1) | instid1(VALU_DEP_1)
	s_cvt_u32_f32 s18, s0
	s_sub_co_i32 s0, 0, s17
	v_and_b32_e32 v46, 16, v0
	s_delay_alu instid0(SALU_CYCLE_1)
	s_mul_i32 s19, s0, s18
	s_abs_i32 s0, s5
	s_mul_hi_u32 s20, s18, s19
	s_mov_b32 s19, s1
	s_add_co_i32 s18, s18, s20
	s_ashr_i32 s5, s5, 31
	s_mul_u64 s[18:19], s[0:1], s[18:19]
	s_ashr_i32 s1, s6, 31
	s_mul_i32 s6, s19, s17
	s_xor_b32 s1, s5, s1
	s_sub_co_i32 s0, s0, s6
	s_add_co_i32 s5, s19, 1
	s_sub_co_i32 s6, s0, s17
	s_cmp_ge_u32 s0, s17
	s_mov_b32 s20, 0x10001
	s_cselect_b32 s5, s5, s19
	s_cselect_b32 s0, s6, s0
	s_add_co_i32 s6, s5, 1
	s_cmp_ge_u32 s0, s17
	v_dual_mov_b32 v7, v6 :: v_dual_mov_b32 v44, v6
	s_cselect_b32 s0, s6, s5
	v_dual_mov_b32 v45, v6 :: v_dual_mov_b32 v42, v6
	s_xor_b32 s0, s0, s1
	v_dual_mov_b32 v43, v6 :: v_dual_mov_b32 v39, v6
	s_sub_co_i32 s17, s0, s1
	s_bitcmp1_b32 s7, 0
	s_cvt_f32_u32 s0, s17
	s_cselect_b32 s1, -1, 0
	s_sub_co_i32 s5, 0, s17
	s_xor_b32 s1, s1, -1
	v_rcp_iflag_f32_e32 v1, s0
	v_cndmask_b32_e64 v47, 0, 1, s1
	v_dual_mov_b32 v40, v6 :: v_dual_mov_b32 v38, v6
	v_dual_mov_b32 v37, v6 :: v_dual_mov_b32 v35, v6
	;; [unrolled: 1-line block ×3, first 2 shown]
	s_delay_alu instid0(TRANS32_DEP_1) | instskip(SKIP_4) | instid1(SALU_CYCLE_3)
	v_readfirstlane_b32 s0, v1
	v_dual_mov_b32 v33, v6 :: v_dual_mov_b32 v15, v6
	v_mov_b32_e32 v34, v6
	s_mov_b32 s19, 0
	s_mul_f32 s0, s0, 0x4f7ffffe
	s_cvt_u32_f32 s0, s0
	s_delay_alu instid0(SALU_CYCLE_3) | instskip(NEXT) | instid1(SALU_CYCLE_1)
	s_mul_i32 s5, s5, s0
	s_mul_hi_u32 s5, s0, s5
	s_delay_alu instid0(SALU_CYCLE_1) | instskip(NEXT) | instid1(SALU_CYCLE_1)
	s_add_co_i32 s0, s0, s5
	s_mul_hi_u32 s0, s15, s0
	s_delay_alu instid0(SALU_CYCLE_1) | instskip(SKIP_2) | instid1(SALU_CYCLE_1)
	s_mul_i32 s5, s0, s17
	s_add_co_i32 s6, s0, 1
	s_sub_co_i32 s5, s15, s5
	s_sub_co_i32 s7, s5, s17
	s_cmp_ge_u32 s5, s17
	s_cselect_b32 s0, s6, s0
	s_cselect_b32 s5, s7, s5
	s_add_co_i32 s6, s0, 1
	s_cmp_ge_u32 s5, s17
	s_cselect_b32 s18, s6, s0
	s_add_co_i32 s21, s17, s15
	s_mul_i32 s0, s18, s4
	s_delay_alu instid0(SALU_CYCLE_1) | instskip(SKIP_1) | instid1(SALU_CYCLE_1)
	v_dual_lshrrev_b32 v1, 29, v5 :: v_dual_add_nc_u32 v2, s0, v4
	s_ashr_i32 s5, s0, 31
	s_lshr_b32 s5, s5, 29
	s_delay_alu instid0(VALU_DEP_1)
	v_add_nc_u32_e32 v1, v4, v1
	s_add_co_i32 s5, s0, s5
	v_ashrrev_i32_e32 v3, 31, v2
	s_ashr_i32 s5, s5, 3
	s_lshr_b32 s0, s15, 3
	v_ashrrev_i32_e32 v41, 3, v1
	s_mul_i32 s6, s4, s0
	s_wait_kmcnt 0x0
	v_lshl_add_u64 v[2:3], v[2:3], 1, s[8:9]
	s_ashr_i32 s7, s6, 31
	v_add_nc_u32_e32 v1, s5, v41
	s_lshl_b64 s[6:7], s[6:7], 2
	global_load_b64 v[2:3], v[2:3], off
	s_add_nc_u64 s[6:7], s[12:13], s[6:7]
	s_ashr_i32 s5, s4, 31
	global_load_b32 v1, v1, s[2:3] scale_offset
	s_lshl_b64 s[0:1], s[4:5], 4
	s_mov_b32 s12, 0xf000f0
	s_wait_loadcnt 0x1
	v_cvt_f32_f16_e32 v48, v2
	v_dual_lshrrev_b32 v2, 16, v2 :: v_dual_lshrrev_b32 v16, 16, v3
	s_wait_loadcnt 0x0
	v_lshrrev_b32_e32 v0, v0, v1
	s_delay_alu instid0(VALU_DEP_2) | instskip(NEXT) | instid1(VALU_DEP_2)
	v_cvt_f32_f16_e32 v49, v2
	v_lshrrev_b32_e32 v1, 12, v0
	s_delay_alu instid0(VALU_DEP_1) | instskip(SKIP_1) | instid1(VALU_DEP_2)
	v_dual_lshrrev_b32 v8, 8, v0 :: v_dual_bitop2_b32 v1, 15, v1 bitop3:0x40
	v_dual_lshrrev_b32 v9, 4, v0 :: v_dual_bitop2_b32 v0, 15, v0 bitop3:0x40
	v_dual_add_nc_u32 v1, v1, v47 :: v_dual_bitop2_b32 v10, 15, v8 bitop3:0x40
	s_delay_alu instid0(VALU_DEP_2) | instskip(SKIP_2) | instid1(VALU_DEP_3)
	v_and_b32_e32 v11, 15, v9
	v_lshl_add_u64 v[8:9], v[4:5], 2, s[6:7]
	s_lshl_b64 s[6:7], s[4:5], 2
	v_mad_u32_u24 v53, v1, s20, 0xe400e400
	v_dual_add_nc_u32 v5, v10, v47 :: v_dual_add_nc_u32 v0, v0, v47
	v_add_nc_u32_e32 v12, v11, v47
	v_cvt_f32_ubyte0_e32 v10, v1
	s_mov_b32 s5, 0xf000f
	s_delay_alu instid0(VALU_DEP_3)
	v_cvt_f32_ubyte0_e32 v11, v5
	v_cvt_f32_ubyte0_e32 v13, v0
	;; [unrolled: 1-line block ×3, first 2 shown]
	v_mad_u32_u24 v50, v0, s20, 0xe400e400
	v_mad_u32_u24 v51, v5, s20, 0xe400e400
	v_cvt_pk_f16_f32 v17, v11, v10
	v_cvt_f32_f16_e32 v10, v3
	v_cvt_pk_f16_f32 v3, v13, v14
	v_cvt_f32_f16_e32 v11, v16
	v_mad_u32_u24 v52, v12, s20, 0xe400e400
	v_pk_add_f16 v2, 0xd400, v17 op_sel_hi:[0,1] neg_lo:[0,1] neg_hi:[0,1]
	s_delay_alu instid0(VALU_DEP_4) | instskip(NEXT) | instid1(VALU_DEP_2)
	v_pk_add_f16 v0, 0xd400, v3 op_sel_hi:[0,1] neg_lo:[0,1] neg_hi:[0,1]
	v_and_b32_e32 v1, 0xffff, v2
	v_lshrrev_b32_e32 v2, 16, v2
	s_delay_alu instid0(VALU_DEP_3) | instskip(SKIP_1) | instid1(VALU_DEP_4)
	v_and_b32_e32 v3, 0xffff, v0
	v_lshrrev_b32_e32 v0, 16, v0
	v_mul_u32_u24_e32 v14, 0x10001, v1
	s_delay_alu instid0(VALU_DEP_4) | instskip(NEXT) | instid1(VALU_DEP_4)
	v_mul_u32_u24_e32 v13, 0x10001, v2
	v_mul_u32_u24_e32 v12, 0x10001, v3
	s_delay_alu instid0(VALU_DEP_4)
	v_mul_u32_u24_e32 v5, 0x10001, v0
	s_branch .LBB29_14
.LBB29_13:                              ;   in Loop: Header=BB29_14 Depth=1
	global_load_b128 v[0:3], v[8:9], off
	s_add_co_i32 s15, s15, 32
	v_mov_b32_e32 v28, s19
	s_add_co_i32 s19, s19, 64
	s_cmp_ge_i32 s15, s16
	s_wait_loadcnt 0x0
	v_and_or_b32 v16, v0, s5, 0x64006400
	v_and_or_b32 v17, v0, s12, 0x64006400
	v_lshrrev_b32_e32 v0, 8, v0
	v_and_or_b32 v20, v1, s12, 0x64006400
	s_delay_alu instid0(VALU_DEP_4) | instskip(NEXT) | instid1(VALU_DEP_4)
	v_pk_add_f16 v16, v50, v16
	v_pk_fma_f16 v17, 0x2c00, v17, v12 op_sel_hi:[0,1,1]
	s_delay_alu instid0(VALU_DEP_4) | instskip(SKIP_2) | instid1(VALU_DEP_3)
	v_and_or_b32 v18, v0, s5, 0x64006400
	v_and_or_b32 v0, v0, s12, 0x64006400
	v_pk_fma_f16 v20, 0x2c00, v20, v5 op_sel_hi:[0,1,1]
	v_pk_add_f16 v18, v50, v18
	s_delay_alu instid0(VALU_DEP_3) | instskip(SKIP_2) | instid1(VALU_DEP_2)
	v_pk_fma_f16 v19, 0x2c00, v0, v12 op_sel_hi:[0,1,1]
	v_and_or_b32 v0, v1, s5, 0x64006400
	v_lshrrev_b32_e32 v1, 8, v1
	v_pk_add_f16 v22, v52, v0
	s_delay_alu instid0(VALU_DEP_2) | instskip(SKIP_2) | instid1(VALU_DEP_3)
	v_and_or_b32 v21, v1, s5, 0x64006400
	v_and_or_b32 v1, v1, s12, 0x64006400
	;; [unrolled: 1-line block ×3, first 2 shown]
	v_pk_add_f16 v21, v52, v21
	s_delay_alu instid0(VALU_DEP_3) | instskip(SKIP_4) | instid1(VALU_DEP_4)
	v_pk_fma_f16 v23, 0x2c00, v1, v5 op_sel_hi:[0,1,1]
	v_and_or_b32 v1, v2, s12, 0x64006400
	v_lshrrev_b32_e32 v2, 8, v2
	v_pk_add_f16 v25, v51, v0
	v_and_or_b32 v0, v3, s5, 0x64006400
	v_pk_fma_f16 v26, 0x2c00, v1, v14 op_sel_hi:[0,1,1]
	v_and_or_b32 v1, v3, s12, 0x64006400
	v_and_or_b32 v24, v2, s5, 0x64006400
	s_delay_alu instid0(VALU_DEP_4) | instskip(SKIP_1) | instid1(VALU_DEP_4)
	v_pk_add_f16 v29, v53, v0
	v_and_or_b32 v2, v2, s12, 0x64006400
	v_pk_fma_f16 v30, 0x2c00, v1, v13 op_sel_hi:[0,1,1]
	ds_load_2addr_b32 v[0:1], v28 offset1:1
	v_pk_add_f16 v24, v51, v24
	v_pk_fma_f16 v27, 0x2c00, v2, v14 op_sel_hi:[0,1,1]
	v_lshrrev_b32_e32 v2, 8, v3
	s_delay_alu instid0(VALU_DEP_1) | instskip(SKIP_1) | instid1(VALU_DEP_2)
	v_and_or_b32 v3, v2, s5, 0x64006400
	v_and_or_b32 v2, v2, s12, 0x64006400
	v_pk_add_f16 v31, v53, v3
	s_delay_alu instid0(VALU_DEP_2) | instskip(SKIP_2) | instid1(VALU_DEP_1)
	v_pk_fma_f16 v54, 0x2c00, v2, v13 op_sel_hi:[0,1,1]
	s_wait_dscnt 0x0
	v_pk_fma_f16 v2, v16, v0, 0
	v_pk_fma_f16 v55, v17, v1, v2
	ds_load_2addr_b32 v[2:3], v28 offset0:2 offset1:3
	s_wait_dscnt 0x0
	v_pk_fma_f16 v55, v18, v2, v55
	s_delay_alu instid0(VALU_DEP_1) | instskip(NEXT) | instid1(VALU_DEP_1)
	v_pk_fma_f16 v55, v19, v3, v55
	v_cvt_f32_f16_e32 v56, v55
	v_lshrrev_b32_e32 v55, 16, v55
	s_delay_alu instid0(VALU_DEP_1) | instskip(NEXT) | instid1(VALU_DEP_1)
	v_cvt_f32_f16_e32 v55, v55
	v_add_f32_e32 v55, v55, v56
	s_delay_alu instid0(VALU_DEP_1) | instskip(SKIP_1) | instid1(VALU_DEP_1)
	v_fmac_f32_e32 v44, v55, v48
	v_pk_fma_f16 v55, v22, v0, 0
	v_pk_fma_f16 v55, v20, v1, v55
	s_delay_alu instid0(VALU_DEP_1) | instskip(NEXT) | instid1(VALU_DEP_1)
	v_pk_fma_f16 v55, v21, v2, v55
	v_pk_fma_f16 v55, v23, v3, v55
	s_delay_alu instid0(VALU_DEP_1) | instskip(SKIP_1) | instid1(VALU_DEP_1)
	v_cvt_f32_f16_e32 v56, v55
	v_lshrrev_b32_e32 v55, 16, v55
	v_cvt_f32_f16_e32 v55, v55
	s_delay_alu instid0(VALU_DEP_1) | instskip(NEXT) | instid1(VALU_DEP_1)
	v_add_f32_e32 v55, v55, v56
	v_fmac_f32_e32 v45, v55, v49
	v_pk_fma_f16 v55, v25, v0, 0
	v_pk_fma_f16 v0, v29, v0, 0
	s_delay_alu instid0(VALU_DEP_2) | instskip(NEXT) | instid1(VALU_DEP_2)
	v_pk_fma_f16 v55, v26, v1, v55
	v_pk_fma_f16 v0, v30, v1, v0
	s_delay_alu instid0(VALU_DEP_2) | instskip(NEXT) | instid1(VALU_DEP_2)
	;; [unrolled: 3-line block ×4, first 2 shown]
	v_cvt_f32_f16_e32 v56, v55
	v_cvt_f32_f16_e32 v1, v0
	v_dual_lshrrev_b32 v0, 16, v0 :: v_dual_lshrrev_b32 v55, 16, v55
	s_delay_alu instid0(VALU_DEP_1) | instskip(NEXT) | instid1(VALU_DEP_2)
	v_cvt_f32_f16_e32 v0, v0
	v_cvt_f32_f16_e32 v55, v55
	s_delay_alu instid0(VALU_DEP_1) | instskip(NEXT) | instid1(VALU_DEP_1)
	v_dual_add_f32 v0, v0, v1 :: v_dual_add_f32 v55, v55, v56
	v_fmac_f32_e32 v43, v0, v11
	ds_load_2addr_b32 v[0:1], v28 offset0:64 offset1:65
	v_fmac_f32_e32 v42, v55, v10
	s_wait_dscnt 0x0
	v_pk_fma_f16 v2, v16, v0, 0
	s_delay_alu instid0(VALU_DEP_1) | instskip(SKIP_3) | instid1(VALU_DEP_1)
	v_pk_fma_f16 v55, v17, v1, v2
	ds_load_2addr_b32 v[2:3], v28 offset0:66 offset1:67
	s_wait_dscnt 0x0
	v_pk_fma_f16 v55, v18, v2, v55
	v_pk_fma_f16 v55, v19, v3, v55
	s_delay_alu instid0(VALU_DEP_1) | instskip(SKIP_1) | instid1(VALU_DEP_1)
	v_cvt_f32_f16_e32 v56, v55
	v_lshrrev_b32_e32 v55, 16, v55
	v_cvt_f32_f16_e32 v55, v55
	s_delay_alu instid0(VALU_DEP_1) | instskip(NEXT) | instid1(VALU_DEP_1)
	v_add_f32_e32 v55, v55, v56
	v_fmac_f32_e32 v39, v55, v48
	v_pk_fma_f16 v55, v22, v0, 0
	s_delay_alu instid0(VALU_DEP_1) | instskip(NEXT) | instid1(VALU_DEP_1)
	v_pk_fma_f16 v55, v20, v1, v55
	v_pk_fma_f16 v55, v21, v2, v55
	s_delay_alu instid0(VALU_DEP_1) | instskip(NEXT) | instid1(VALU_DEP_1)
	v_pk_fma_f16 v55, v23, v3, v55
	v_cvt_f32_f16_e32 v56, v55
	v_lshrrev_b32_e32 v55, 16, v55
	s_delay_alu instid0(VALU_DEP_1) | instskip(NEXT) | instid1(VALU_DEP_1)
	v_cvt_f32_f16_e32 v55, v55
	v_add_f32_e32 v55, v55, v56
	s_delay_alu instid0(VALU_DEP_1) | instskip(SKIP_2) | instid1(VALU_DEP_2)
	v_fmac_f32_e32 v40, v55, v49
	v_pk_fma_f16 v55, v25, v0, 0
	v_pk_fma_f16 v0, v29, v0, 0
	;; [unrolled: 1-line block ×3, first 2 shown]
	s_delay_alu instid0(VALU_DEP_2) | instskip(NEXT) | instid1(VALU_DEP_2)
	v_pk_fma_f16 v0, v30, v1, v0
	v_pk_fma_f16 v55, v24, v2, v55
	s_delay_alu instid0(VALU_DEP_2) | instskip(NEXT) | instid1(VALU_DEP_2)
	v_pk_fma_f16 v0, v31, v2, v0
	v_pk_fma_f16 v55, v27, v3, v55
	s_delay_alu instid0(VALU_DEP_2) | instskip(NEXT) | instid1(VALU_DEP_2)
	v_pk_fma_f16 v0, v54, v3, v0
	v_cvt_f32_f16_e32 v56, v55
	v_lshrrev_b32_e32 v55, 16, v55
	s_delay_alu instid0(VALU_DEP_3) | instskip(SKIP_1) | instid1(VALU_DEP_3)
	v_cvt_f32_f16_e32 v1, v0
	v_lshrrev_b32_e32 v0, 16, v0
	v_cvt_f32_f16_e32 v55, v55
	s_delay_alu instid0(VALU_DEP_2) | instskip(NEXT) | instid1(VALU_DEP_1)
	v_cvt_f32_f16_e32 v0, v0
	v_dual_add_f32 v55, v55, v56 :: v_dual_add_f32 v0, v0, v1
	s_delay_alu instid0(VALU_DEP_1) | instskip(SKIP_3) | instid1(VALU_DEP_1)
	v_dual_fmac_f32 v38, v55, v10 :: v_dual_fmac_f32 v37, v0, v11
	ds_load_2addr_b32 v[0:1], v28 offset0:128 offset1:129
	s_wait_dscnt 0x0
	v_pk_fma_f16 v2, v16, v0, 0
	v_pk_fma_f16 v55, v17, v1, v2
	ds_load_2addr_b32 v[2:3], v28 offset0:130 offset1:131
	s_wait_dscnt 0x0
	v_pk_fma_f16 v55, v18, v2, v55
	s_delay_alu instid0(VALU_DEP_1) | instskip(NEXT) | instid1(VALU_DEP_1)
	v_pk_fma_f16 v55, v19, v3, v55
	v_cvt_f32_f16_e32 v56, v55
	v_lshrrev_b32_e32 v55, 16, v55
	s_delay_alu instid0(VALU_DEP_1) | instskip(NEXT) | instid1(VALU_DEP_1)
	v_cvt_f32_f16_e32 v55, v55
	v_add_f32_e32 v55, v55, v56
	s_delay_alu instid0(VALU_DEP_1) | instskip(SKIP_1) | instid1(VALU_DEP_1)
	v_fmac_f32_e32 v35, v55, v48
	v_pk_fma_f16 v55, v22, v0, 0
	v_pk_fma_f16 v55, v20, v1, v55
	s_delay_alu instid0(VALU_DEP_1) | instskip(NEXT) | instid1(VALU_DEP_1)
	v_pk_fma_f16 v55, v21, v2, v55
	v_pk_fma_f16 v55, v23, v3, v55
	s_delay_alu instid0(VALU_DEP_1) | instskip(SKIP_1) | instid1(VALU_DEP_1)
	v_cvt_f32_f16_e32 v56, v55
	v_lshrrev_b32_e32 v55, 16, v55
	v_cvt_f32_f16_e32 v55, v55
	s_delay_alu instid0(VALU_DEP_1) | instskip(NEXT) | instid1(VALU_DEP_1)
	v_add_f32_e32 v55, v55, v56
	v_fmac_f32_e32 v36, v55, v49
	v_pk_fma_f16 v55, v25, v0, 0
	v_pk_fma_f16 v0, v29, v0, 0
	s_delay_alu instid0(VALU_DEP_2) | instskip(NEXT) | instid1(VALU_DEP_2)
	v_pk_fma_f16 v55, v26, v1, v55
	v_pk_fma_f16 v0, v30, v1, v0
	s_delay_alu instid0(VALU_DEP_2) | instskip(NEXT) | instid1(VALU_DEP_2)
	;; [unrolled: 3-line block ×4, first 2 shown]
	v_cvt_f32_f16_e32 v56, v55
	v_cvt_f32_f16_e32 v1, v0
	v_dual_lshrrev_b32 v0, 16, v0 :: v_dual_lshrrev_b32 v55, 16, v55
	s_delay_alu instid0(VALU_DEP_1) | instskip(NEXT) | instid1(VALU_DEP_2)
	v_cvt_f32_f16_e32 v0, v0
	v_cvt_f32_f16_e32 v55, v55
	s_delay_alu instid0(VALU_DEP_2) | instskip(NEXT) | instid1(VALU_DEP_1)
	v_add_f32_e32 v0, v0, v1
	v_fmac_f32_e32 v33, v0, v11
	ds_load_2addr_b32 v[0:1], v28 offset0:192 offset1:193
	s_wait_dscnt 0x0
	v_pk_fma_f16 v2, v16, v0, 0
	s_delay_alu instid0(VALU_DEP_1) | instskip(SKIP_3) | instid1(VALU_DEP_1)
	v_pk_fma_f16 v16, v17, v1, v2
	ds_load_2addr_b32 v[2:3], v28 offset0:194 offset1:195
	s_wait_dscnt 0x0
	v_pk_fma_f16 v16, v18, v2, v16
	v_pk_fma_f16 v16, v19, v3, v16
	s_delay_alu instid0(VALU_DEP_1) | instskip(SKIP_1) | instid1(VALU_DEP_1)
	v_cvt_f32_f16_e32 v17, v16
	v_lshrrev_b32_e32 v16, 16, v16
	v_cvt_f32_f16_e32 v16, v16
	s_delay_alu instid0(VALU_DEP_1) | instskip(NEXT) | instid1(VALU_DEP_1)
	v_add_f32_e32 v16, v16, v17
	v_fmac_f32_e32 v15, v16, v48
	v_pk_fma_f16 v16, v22, v0, 0
	s_delay_alu instid0(VALU_DEP_1) | instskip(NEXT) | instid1(VALU_DEP_1)
	v_pk_fma_f16 v16, v20, v1, v16
	v_pk_fma_f16 v16, v21, v2, v16
	s_delay_alu instid0(VALU_DEP_1) | instskip(NEXT) | instid1(VALU_DEP_1)
	v_pk_fma_f16 v16, v23, v3, v16
	v_cvt_f32_f16_e32 v17, v16
	v_lshrrev_b32_e32 v16, 16, v16
	s_delay_alu instid0(VALU_DEP_1) | instskip(NEXT) | instid1(VALU_DEP_1)
	v_cvt_f32_f16_e32 v16, v16
	v_dual_add_f32 v55, v55, v56 :: v_dual_add_f32 v16, v16, v17
	s_delay_alu instid0(VALU_DEP_1) | instskip(SKIP_2) | instid1(VALU_DEP_2)
	v_dual_fmac_f32 v32, v55, v10 :: v_dual_fmac_f32 v34, v16, v49
	v_pk_fma_f16 v16, v25, v0, 0
	v_pk_fma_f16 v0, v29, v0, 0
	v_pk_fma_f16 v16, v26, v1, v16
	s_delay_alu instid0(VALU_DEP_2) | instskip(NEXT) | instid1(VALU_DEP_2)
	v_pk_fma_f16 v0, v30, v1, v0
	v_pk_fma_f16 v16, v24, v2, v16
	s_delay_alu instid0(VALU_DEP_2) | instskip(NEXT) | instid1(VALU_DEP_2)
	v_pk_fma_f16 v0, v31, v2, v0
	v_pk_fma_f16 v17, v27, v3, v16
	s_delay_alu instid0(VALU_DEP_2) | instskip(NEXT) | instid1(VALU_DEP_2)
	v_pk_fma_f16 v0, v54, v3, v0
	v_cvt_f32_f16_e32 v16, v17
	s_delay_alu instid0(VALU_DEP_2) | instskip(NEXT) | instid1(VALU_DEP_1)
	v_dual_lshrrev_b32 v17, 16, v17 :: v_dual_lshrrev_b32 v1, 16, v0
	v_cvt_f32_f16_e32 v18, v17
	s_delay_alu instid0(VALU_DEP_2)
	v_cvt_f32_f16_e32 v19, v1
	v_cvt_f32_f16_e32 v17, v0
	v_add_nc_u64_e32 v[0:1], s[6:7], v[8:9]
	v_add_nc_u64_e32 v[8:9], s[0:1], v[8:9]
	global_load_b128 v[20:23], v[0:1], off
	s_wait_xcnt 0x0
	v_add_nc_u64_e32 v[0:1], s[6:7], v[0:1]
	s_wait_loadcnt 0x0
	v_and_or_b32 v2, v20, s5, 0x64006400
	v_and_or_b32 v3, v20, s12, 0x64006400
	v_lshrrev_b32_e32 v20, 8, v20
	s_delay_alu instid0(VALU_DEP_3) | instskip(NEXT) | instid1(VALU_DEP_3)
	v_pk_add_f16 v25, v50, v2
	v_pk_fma_f16 v26, 0x2c00, v3, v12 op_sel_hi:[0,1,1]
	s_delay_alu instid0(VALU_DEP_3) | instskip(SKIP_3) | instid1(VALU_DEP_4)
	v_and_or_b32 v24, v20, s5, 0x64006400
	v_and_or_b32 v20, v20, s12, 0x64006400
	;; [unrolled: 1-line block ×4, first 2 shown]
	v_pk_add_f16 v27, v50, v24
	s_delay_alu instid0(VALU_DEP_4)
	v_pk_fma_f16 v29, 0x2c00, v20, v12 op_sel_hi:[0,1,1]
	v_lshrrev_b32_e32 v20, 8, v21
	v_pk_add_f16 v30, v52, v2
	v_pk_fma_f16 v31, 0x2c00, v3, v5 op_sel_hi:[0,1,1]
	v_and_or_b32 v2, v22, s5, 0x64006400
	v_and_or_b32 v3, v22, s12, 0x64006400
	v_and_or_b32 v21, v20, s5, 0x64006400
	v_and_or_b32 v20, v20, s12, 0x64006400
	s_delay_alu instid0(VALU_DEP_3) | instskip(NEXT) | instid1(VALU_DEP_3)
	v_pk_fma_f16 v56, 0x2c00, v3, v14 op_sel_hi:[0,1,1]
	v_pk_add_f16 v54, v52, v21
	s_delay_alu instid0(VALU_DEP_3) | instskip(SKIP_4) | instid1(VALU_DEP_4)
	v_pk_fma_f16 v55, 0x2c00, v20, v5 op_sel_hi:[0,1,1]
	v_lshrrev_b32_e32 v20, 8, v22
	v_pk_add_f16 v22, v51, v2
	v_and_or_b32 v2, v23, s5, 0x64006400
	v_and_or_b32 v3, v23, s12, 0x64006400
	;; [unrolled: 1-line block ×4, first 2 shown]
	s_delay_alu instid0(VALU_DEP_3) | instskip(NEXT) | instid1(VALU_DEP_3)
	v_pk_fma_f16 v59, 0x2c00, v3, v13 op_sel_hi:[0,1,1]
	v_pk_add_f16 v57, v51, v21
	s_delay_alu instid0(VALU_DEP_3)
	v_pk_fma_f16 v58, 0x2c00, v20, v14 op_sel_hi:[0,1,1]
	v_lshrrev_b32_e32 v20, 8, v23
	v_pk_add_f16 v23, v53, v2
	ds_load_2addr_b32 v[2:3], v28 offset0:4 offset1:5
	v_and_or_b32 v21, v20, s5, 0x64006400
	v_and_or_b32 v20, v20, s12, 0x64006400
	s_delay_alu instid0(VALU_DEP_2) | instskip(NEXT) | instid1(VALU_DEP_2)
	v_pk_add_f16 v60, v53, v21
	v_pk_fma_f16 v61, 0x2c00, v20, v13 op_sel_hi:[0,1,1]
	s_wait_dscnt 0x0
	v_pk_fma_f16 v20, v25, v2, 0
	s_delay_alu instid0(VALU_DEP_1) | instskip(SKIP_3) | instid1(VALU_DEP_1)
	v_pk_fma_f16 v24, v26, v3, v20
	ds_load_2addr_b32 v[20:21], v28 offset0:6 offset1:7
	s_wait_dscnt 0x0
	v_pk_fma_f16 v24, v27, v20, v24
	v_pk_fma_f16 v24, v29, v21, v24
	s_delay_alu instid0(VALU_DEP_1) | instskip(SKIP_1) | instid1(VALU_DEP_1)
	v_cvt_f32_f16_e32 v62, v24
	v_lshrrev_b32_e32 v24, 16, v24
	v_cvt_f32_f16_e32 v24, v24
	s_delay_alu instid0(VALU_DEP_1) | instskip(NEXT) | instid1(VALU_DEP_1)
	v_add_f32_e32 v24, v24, v62
	v_fmac_f32_e32 v44, v24, v48
	v_pk_fma_f16 v24, v30, v2, 0
	s_delay_alu instid0(VALU_DEP_1) | instskip(NEXT) | instid1(VALU_DEP_1)
	v_pk_fma_f16 v24, v31, v3, v24
	v_pk_fma_f16 v24, v54, v20, v24
	s_delay_alu instid0(VALU_DEP_1) | instskip(NEXT) | instid1(VALU_DEP_1)
	v_pk_fma_f16 v24, v55, v21, v24
	v_cvt_f32_f16_e32 v62, v24
	v_lshrrev_b32_e32 v24, 16, v24
	s_delay_alu instid0(VALU_DEP_1) | instskip(NEXT) | instid1(VALU_DEP_1)
	v_cvt_f32_f16_e32 v24, v24
	v_add_f32_e32 v24, v24, v62
	s_delay_alu instid0(VALU_DEP_1) | instskip(SKIP_2) | instid1(VALU_DEP_2)
	v_fmac_f32_e32 v45, v24, v49
	v_pk_fma_f16 v24, v22, v2, 0
	v_pk_fma_f16 v2, v23, v2, 0
	v_pk_fma_f16 v24, v56, v3, v24
	s_delay_alu instid0(VALU_DEP_2) | instskip(NEXT) | instid1(VALU_DEP_2)
	v_pk_fma_f16 v2, v59, v3, v2
	v_pk_fma_f16 v24, v57, v20, v24
	s_delay_alu instid0(VALU_DEP_2) | instskip(NEXT) | instid1(VALU_DEP_2)
	v_pk_fma_f16 v2, v60, v20, v2
	v_pk_fma_f16 v24, v58, v21, v24
	s_delay_alu instid0(VALU_DEP_2) | instskip(NEXT) | instid1(VALU_DEP_2)
	v_pk_fma_f16 v2, v61, v21, v2
	v_cvt_f32_f16_e32 v62, v24
	s_delay_alu instid0(VALU_DEP_2) | instskip(SKIP_1) | instid1(VALU_DEP_1)
	v_cvt_f32_f16_e32 v3, v2
	v_dual_lshrrev_b32 v2, 16, v2 :: v_dual_lshrrev_b32 v24, 16, v24
	v_cvt_f32_f16_e32 v2, v2
	s_delay_alu instid0(VALU_DEP_2) | instskip(NEXT) | instid1(VALU_DEP_1)
	v_cvt_f32_f16_e32 v24, v24
	v_dual_add_f32 v2, v2, v3 :: v_dual_add_f32 v24, v24, v62
	s_delay_alu instid0(VALU_DEP_1) | instskip(SKIP_4) | instid1(VALU_DEP_1)
	v_fmac_f32_e32 v43, v2, v11
	ds_load_2addr_b32 v[2:3], v28 offset0:68 offset1:69
	v_fmac_f32_e32 v42, v24, v10
	s_wait_dscnt 0x0
	v_pk_fma_f16 v20, v25, v2, 0
	v_pk_fma_f16 v24, v26, v3, v20
	ds_load_2addr_b32 v[20:21], v28 offset0:70 offset1:71
	s_wait_dscnt 0x0
	v_pk_fma_f16 v24, v27, v20, v24
	s_delay_alu instid0(VALU_DEP_1) | instskip(NEXT) | instid1(VALU_DEP_1)
	v_pk_fma_f16 v24, v29, v21, v24
	v_cvt_f32_f16_e32 v62, v24
	v_lshrrev_b32_e32 v24, 16, v24
	s_delay_alu instid0(VALU_DEP_1) | instskip(NEXT) | instid1(VALU_DEP_1)
	v_cvt_f32_f16_e32 v24, v24
	v_add_f32_e32 v24, v24, v62
	s_delay_alu instid0(VALU_DEP_1) | instskip(SKIP_1) | instid1(VALU_DEP_1)
	v_fmac_f32_e32 v39, v24, v48
	v_pk_fma_f16 v24, v30, v2, 0
	v_pk_fma_f16 v24, v31, v3, v24
	s_delay_alu instid0(VALU_DEP_1) | instskip(NEXT) | instid1(VALU_DEP_1)
	v_pk_fma_f16 v24, v54, v20, v24
	v_pk_fma_f16 v24, v55, v21, v24
	s_delay_alu instid0(VALU_DEP_1) | instskip(SKIP_1) | instid1(VALU_DEP_1)
	v_cvt_f32_f16_e32 v62, v24
	v_lshrrev_b32_e32 v24, 16, v24
	v_cvt_f32_f16_e32 v24, v24
	s_delay_alu instid0(VALU_DEP_1) | instskip(NEXT) | instid1(VALU_DEP_1)
	v_add_f32_e32 v24, v24, v62
	v_fmac_f32_e32 v40, v24, v49
	v_pk_fma_f16 v24, v22, v2, 0
	v_pk_fma_f16 v2, v23, v2, 0
	s_delay_alu instid0(VALU_DEP_2) | instskip(NEXT) | instid1(VALU_DEP_2)
	v_pk_fma_f16 v24, v56, v3, v24
	v_pk_fma_f16 v2, v59, v3, v2
	s_delay_alu instid0(VALU_DEP_2) | instskip(NEXT) | instid1(VALU_DEP_2)
	;; [unrolled: 3-line block ×4, first 2 shown]
	v_cvt_f32_f16_e32 v62, v24
	v_cvt_f32_f16_e32 v3, v2
	v_dual_lshrrev_b32 v2, 16, v2 :: v_dual_lshrrev_b32 v24, 16, v24
	s_delay_alu instid0(VALU_DEP_1) | instskip(NEXT) | instid1(VALU_DEP_2)
	v_cvt_f32_f16_e32 v2, v2
	v_cvt_f32_f16_e32 v24, v24
	s_delay_alu instid0(VALU_DEP_1) | instskip(NEXT) | instid1(VALU_DEP_1)
	v_dual_add_f32 v2, v2, v3 :: v_dual_add_f32 v24, v24, v62
	v_fmac_f32_e32 v37, v2, v11
	ds_load_2addr_b32 v[2:3], v28 offset0:132 offset1:133
	v_fmac_f32_e32 v38, v24, v10
	s_wait_dscnt 0x0
	v_pk_fma_f16 v20, v25, v2, 0
	s_delay_alu instid0(VALU_DEP_1) | instskip(SKIP_3) | instid1(VALU_DEP_1)
	v_pk_fma_f16 v24, v26, v3, v20
	ds_load_2addr_b32 v[20:21], v28 offset0:134 offset1:135
	s_wait_dscnt 0x0
	v_pk_fma_f16 v24, v27, v20, v24
	v_pk_fma_f16 v24, v29, v21, v24
	s_delay_alu instid0(VALU_DEP_1) | instskip(SKIP_1) | instid1(VALU_DEP_1)
	v_cvt_f32_f16_e32 v62, v24
	v_lshrrev_b32_e32 v24, 16, v24
	v_cvt_f32_f16_e32 v24, v24
	s_delay_alu instid0(VALU_DEP_1) | instskip(NEXT) | instid1(VALU_DEP_1)
	v_add_f32_e32 v24, v24, v62
	v_fmac_f32_e32 v35, v24, v48
	v_pk_fma_f16 v24, v30, v2, 0
	s_delay_alu instid0(VALU_DEP_1) | instskip(NEXT) | instid1(VALU_DEP_1)
	v_pk_fma_f16 v24, v31, v3, v24
	v_pk_fma_f16 v24, v54, v20, v24
	s_delay_alu instid0(VALU_DEP_1) | instskip(NEXT) | instid1(VALU_DEP_1)
	v_pk_fma_f16 v24, v55, v21, v24
	v_cvt_f32_f16_e32 v62, v24
	v_lshrrev_b32_e32 v24, 16, v24
	s_delay_alu instid0(VALU_DEP_1) | instskip(NEXT) | instid1(VALU_DEP_1)
	v_cvt_f32_f16_e32 v24, v24
	v_add_f32_e32 v24, v24, v62
	s_delay_alu instid0(VALU_DEP_1) | instskip(SKIP_2) | instid1(VALU_DEP_2)
	v_fmac_f32_e32 v36, v24, v49
	v_pk_fma_f16 v24, v22, v2, 0
	v_pk_fma_f16 v2, v23, v2, 0
	;; [unrolled: 1-line block ×3, first 2 shown]
	s_delay_alu instid0(VALU_DEP_2) | instskip(NEXT) | instid1(VALU_DEP_2)
	v_pk_fma_f16 v2, v59, v3, v2
	v_pk_fma_f16 v24, v57, v20, v24
	s_delay_alu instid0(VALU_DEP_2) | instskip(NEXT) | instid1(VALU_DEP_2)
	v_pk_fma_f16 v2, v60, v20, v2
	v_pk_fma_f16 v24, v58, v21, v24
	s_delay_alu instid0(VALU_DEP_2) | instskip(NEXT) | instid1(VALU_DEP_2)
	v_pk_fma_f16 v2, v61, v21, v2
	v_cvt_f32_f16_e32 v62, v24
	s_delay_alu instid0(VALU_DEP_2) | instskip(SKIP_1) | instid1(VALU_DEP_1)
	v_cvt_f32_f16_e32 v3, v2
	v_dual_lshrrev_b32 v2, 16, v2 :: v_dual_lshrrev_b32 v24, 16, v24
	v_cvt_f32_f16_e32 v2, v2
	s_delay_alu instid0(VALU_DEP_2) | instskip(NEXT) | instid1(VALU_DEP_1)
	v_cvt_f32_f16_e32 v24, v24
	v_dual_add_f32 v2, v2, v3 :: v_dual_add_f32 v24, v24, v62
	s_delay_alu instid0(VALU_DEP_1)
	v_fmac_f32_e32 v33, v2, v11
	ds_load_2addr_b32 v[2:3], v28 offset0:196 offset1:197
	v_fmac_f32_e32 v32, v24, v10
	s_wait_dscnt 0x0
	v_pk_fma_f16 v20, v25, v2, 0
	ds_load_2addr_b32 v[24:25], v28 offset0:198 offset1:199
	v_pk_fma_f16 v20, v26, v3, v20
	s_wait_dscnt 0x0
	s_delay_alu instid0(VALU_DEP_1) | instskip(NEXT) | instid1(VALU_DEP_1)
	v_pk_fma_f16 v20, v27, v24, v20
	v_pk_fma_f16 v20, v29, v25, v20
	s_delay_alu instid0(VALU_DEP_1) | instskip(SKIP_1) | instid1(VALU_DEP_1)
	v_cvt_f32_f16_e32 v21, v20
	v_lshrrev_b32_e32 v20, 16, v20
	v_cvt_f32_f16_e32 v20, v20
	s_delay_alu instid0(VALU_DEP_1) | instskip(NEXT) | instid1(VALU_DEP_1)
	v_add_f32_e32 v20, v20, v21
	v_fmac_f32_e32 v15, v20, v48
	v_pk_fma_f16 v20, v30, v2, 0
	s_delay_alu instid0(VALU_DEP_1) | instskip(NEXT) | instid1(VALU_DEP_1)
	v_pk_fma_f16 v20, v31, v3, v20
	v_pk_fma_f16 v20, v54, v24, v20
	s_delay_alu instid0(VALU_DEP_1) | instskip(NEXT) | instid1(VALU_DEP_1)
	v_pk_fma_f16 v20, v55, v25, v20
	v_cvt_f32_f16_e32 v21, v20
	v_lshrrev_b32_e32 v20, 16, v20
	s_delay_alu instid0(VALU_DEP_1) | instskip(NEXT) | instid1(VALU_DEP_1)
	v_cvt_f32_f16_e32 v20, v20
	v_add_f32_e32 v20, v20, v21
	s_delay_alu instid0(VALU_DEP_1) | instskip(SKIP_2) | instid1(VALU_DEP_2)
	v_fmac_f32_e32 v34, v20, v49
	v_pk_fma_f16 v20, v22, v2, 0
	v_pk_fma_f16 v2, v23, v2, 0
	;; [unrolled: 1-line block ×3, first 2 shown]
	s_delay_alu instid0(VALU_DEP_2) | instskip(NEXT) | instid1(VALU_DEP_2)
	v_pk_fma_f16 v2, v59, v3, v2
	v_pk_fma_f16 v20, v57, v24, v20
	s_delay_alu instid0(VALU_DEP_2) | instskip(NEXT) | instid1(VALU_DEP_2)
	v_pk_fma_f16 v2, v60, v24, v2
	v_pk_fma_f16 v21, v58, v25, v20
	s_delay_alu instid0(VALU_DEP_2)
	v_pk_fma_f16 v2, v61, v25, v2
	global_load_b128 v[24:27], v[0:1], off
	s_wait_xcnt 0x0
	v_add_nc_u64_e32 v[0:1], s[6:7], v[0:1]
	v_cvt_f32_f16_e32 v20, v21
	v_dual_lshrrev_b32 v21, 16, v21 :: v_dual_lshrrev_b32 v3, 16, v2
	s_delay_alu instid0(VALU_DEP_1) | instskip(NEXT) | instid1(VALU_DEP_2)
	v_cvt_f32_f16_e32 v22, v21
	v_cvt_f32_f16_e32 v23, v3
	;; [unrolled: 1-line block ×3, first 2 shown]
	s_wait_loadcnt 0x0
	v_and_or_b32 v2, v24, s5, 0x64006400
	v_and_or_b32 v3, v24, s12, 0x64006400
	v_lshrrev_b32_e32 v24, 8, v24
	s_delay_alu instid0(VALU_DEP_3) | instskip(NEXT) | instid1(VALU_DEP_3)
	v_pk_add_f16 v30, v50, v2
	v_pk_fma_f16 v31, 0x2c00, v3, v12 op_sel_hi:[0,1,1]
	s_delay_alu instid0(VALU_DEP_3) | instskip(SKIP_3) | instid1(VALU_DEP_4)
	v_and_or_b32 v29, v24, s5, 0x64006400
	v_and_or_b32 v24, v24, s12, 0x64006400
	;; [unrolled: 1-line block ×4, first 2 shown]
	v_pk_add_f16 v29, v50, v29
	s_delay_alu instid0(VALU_DEP_4)
	v_pk_fma_f16 v54, 0x2c00, v24, v12 op_sel_hi:[0,1,1]
	v_lshrrev_b32_e32 v24, 8, v25
	v_pk_add_f16 v55, v52, v2
	v_pk_fma_f16 v56, 0x2c00, v3, v5 op_sel_hi:[0,1,1]
	v_and_or_b32 v2, v26, s5, 0x64006400
	v_and_or_b32 v3, v26, s12, 0x64006400
	;; [unrolled: 1-line block ×4, first 2 shown]
	s_delay_alu instid0(VALU_DEP_3) | instskip(NEXT) | instid1(VALU_DEP_3)
	v_pk_fma_f16 v59, 0x2c00, v3, v14 op_sel_hi:[0,1,1]
	v_pk_add_f16 v57, v52, v25
	s_delay_alu instid0(VALU_DEP_3) | instskip(SKIP_4) | instid1(VALU_DEP_4)
	v_pk_fma_f16 v58, 0x2c00, v24, v5 op_sel_hi:[0,1,1]
	v_lshrrev_b32_e32 v24, 8, v26
	v_pk_add_f16 v26, v51, v2
	v_and_or_b32 v2, v27, s5, 0x64006400
	v_and_or_b32 v3, v27, s12, 0x64006400
	;; [unrolled: 1-line block ×4, first 2 shown]
	s_delay_alu instid0(VALU_DEP_3) | instskip(NEXT) | instid1(VALU_DEP_3)
	v_pk_fma_f16 v62, 0x2c00, v3, v13 op_sel_hi:[0,1,1]
	v_pk_add_f16 v60, v51, v25
	s_delay_alu instid0(VALU_DEP_3)
	v_pk_fma_f16 v61, 0x2c00, v24, v14 op_sel_hi:[0,1,1]
	v_lshrrev_b32_e32 v24, 8, v27
	v_pk_add_f16 v27, v53, v2
	ds_load_2addr_b32 v[2:3], v28 offset0:8 offset1:9
	v_and_or_b32 v25, v24, s5, 0x64006400
	v_and_or_b32 v24, v24, s12, 0x64006400
	s_delay_alu instid0(VALU_DEP_2) | instskip(NEXT) | instid1(VALU_DEP_2)
	v_pk_add_f16 v63, v53, v25
	v_pk_fma_f16 v64, 0x2c00, v24, v13 op_sel_hi:[0,1,1]
	s_wait_dscnt 0x0
	v_pk_fma_f16 v24, v30, v2, 0
	s_delay_alu instid0(VALU_DEP_1) | instskip(SKIP_3) | instid1(VALU_DEP_1)
	v_pk_fma_f16 v65, v31, v3, v24
	ds_load_2addr_b32 v[24:25], v28 offset0:10 offset1:11
	s_wait_dscnt 0x0
	v_pk_fma_f16 v65, v29, v24, v65
	v_pk_fma_f16 v65, v54, v25, v65
	s_delay_alu instid0(VALU_DEP_1) | instskip(SKIP_1) | instid1(VALU_DEP_1)
	v_cvt_f32_f16_e32 v66, v65
	v_lshrrev_b32_e32 v65, 16, v65
	v_cvt_f32_f16_e32 v65, v65
	s_delay_alu instid0(VALU_DEP_1) | instskip(NEXT) | instid1(VALU_DEP_1)
	v_add_f32_e32 v65, v65, v66
	v_fmac_f32_e32 v44, v65, v48
	v_pk_fma_f16 v65, v55, v2, 0
	s_delay_alu instid0(VALU_DEP_1) | instskip(NEXT) | instid1(VALU_DEP_1)
	v_pk_fma_f16 v65, v56, v3, v65
	v_pk_fma_f16 v65, v57, v24, v65
	s_delay_alu instid0(VALU_DEP_1) | instskip(NEXT) | instid1(VALU_DEP_1)
	v_pk_fma_f16 v65, v58, v25, v65
	v_cvt_f32_f16_e32 v66, v65
	v_lshrrev_b32_e32 v65, 16, v65
	s_delay_alu instid0(VALU_DEP_1) | instskip(NEXT) | instid1(VALU_DEP_1)
	v_cvt_f32_f16_e32 v65, v65
	v_add_f32_e32 v65, v65, v66
	s_delay_alu instid0(VALU_DEP_1) | instskip(SKIP_2) | instid1(VALU_DEP_2)
	v_fmac_f32_e32 v45, v65, v49
	v_pk_fma_f16 v65, v26, v2, 0
	v_pk_fma_f16 v2, v27, v2, 0
	;; [unrolled: 1-line block ×3, first 2 shown]
	s_delay_alu instid0(VALU_DEP_2) | instskip(NEXT) | instid1(VALU_DEP_2)
	v_pk_fma_f16 v2, v62, v3, v2
	v_pk_fma_f16 v65, v60, v24, v65
	s_delay_alu instid0(VALU_DEP_2) | instskip(NEXT) | instid1(VALU_DEP_2)
	v_pk_fma_f16 v2, v63, v24, v2
	v_pk_fma_f16 v65, v61, v25, v65
	s_delay_alu instid0(VALU_DEP_2) | instskip(NEXT) | instid1(VALU_DEP_2)
	v_pk_fma_f16 v2, v64, v25, v2
	v_cvt_f32_f16_e32 v66, v65
	s_delay_alu instid0(VALU_DEP_2) | instskip(SKIP_1) | instid1(VALU_DEP_1)
	v_cvt_f32_f16_e32 v3, v2
	v_lshrrev_b32_e32 v2, 16, v2
	v_cvt_f32_f16_e32 v2, v2
	s_delay_alu instid0(VALU_DEP_1) | instskip(NEXT) | instid1(VALU_DEP_1)
	v_dual_add_f32 v2, v2, v3 :: v_dual_lshrrev_b32 v65, 16, v65
	v_fmac_f32_e32 v43, v2, v11
	ds_load_2addr_b32 v[2:3], v28 offset0:72 offset1:73
	v_cvt_f32_f16_e32 v65, v65
	s_delay_alu instid0(VALU_DEP_1) | instskip(NEXT) | instid1(VALU_DEP_1)
	v_add_f32_e32 v65, v65, v66
	v_fmac_f32_e32 v42, v65, v10
	s_wait_dscnt 0x0
	v_pk_fma_f16 v24, v30, v2, 0
	s_delay_alu instid0(VALU_DEP_1) | instskip(SKIP_3) | instid1(VALU_DEP_1)
	v_pk_fma_f16 v65, v31, v3, v24
	ds_load_2addr_b32 v[24:25], v28 offset0:74 offset1:75
	s_wait_dscnt 0x0
	v_pk_fma_f16 v65, v29, v24, v65
	v_pk_fma_f16 v65, v54, v25, v65
	s_delay_alu instid0(VALU_DEP_1) | instskip(SKIP_1) | instid1(VALU_DEP_1)
	v_cvt_f32_f16_e32 v66, v65
	v_lshrrev_b32_e32 v65, 16, v65
	v_cvt_f32_f16_e32 v65, v65
	s_delay_alu instid0(VALU_DEP_1) | instskip(NEXT) | instid1(VALU_DEP_1)
	v_add_f32_e32 v65, v65, v66
	v_fmac_f32_e32 v39, v65, v48
	v_pk_fma_f16 v65, v55, v2, 0
	s_delay_alu instid0(VALU_DEP_1) | instskip(NEXT) | instid1(VALU_DEP_1)
	v_pk_fma_f16 v65, v56, v3, v65
	v_pk_fma_f16 v65, v57, v24, v65
	s_delay_alu instid0(VALU_DEP_1) | instskip(NEXT) | instid1(VALU_DEP_1)
	v_pk_fma_f16 v65, v58, v25, v65
	v_cvt_f32_f16_e32 v66, v65
	v_lshrrev_b32_e32 v65, 16, v65
	s_delay_alu instid0(VALU_DEP_1) | instskip(NEXT) | instid1(VALU_DEP_1)
	v_cvt_f32_f16_e32 v65, v65
	v_add_f32_e32 v65, v65, v66
	s_delay_alu instid0(VALU_DEP_1) | instskip(SKIP_2) | instid1(VALU_DEP_2)
	v_fmac_f32_e32 v40, v65, v49
	v_pk_fma_f16 v65, v26, v2, 0
	v_pk_fma_f16 v2, v27, v2, 0
	;; [unrolled: 1-line block ×3, first 2 shown]
	s_delay_alu instid0(VALU_DEP_2) | instskip(NEXT) | instid1(VALU_DEP_2)
	v_pk_fma_f16 v2, v62, v3, v2
	v_pk_fma_f16 v65, v60, v24, v65
	s_delay_alu instid0(VALU_DEP_2) | instskip(NEXT) | instid1(VALU_DEP_2)
	v_pk_fma_f16 v2, v63, v24, v2
	v_pk_fma_f16 v65, v61, v25, v65
	s_delay_alu instid0(VALU_DEP_2) | instskip(NEXT) | instid1(VALU_DEP_2)
	v_pk_fma_f16 v2, v64, v25, v2
	v_cvt_f32_f16_e32 v66, v65
	v_lshrrev_b32_e32 v65, 16, v65
	s_delay_alu instid0(VALU_DEP_3) | instskip(SKIP_1) | instid1(VALU_DEP_3)
	v_cvt_f32_f16_e32 v3, v2
	v_lshrrev_b32_e32 v2, 16, v2
	v_cvt_f32_f16_e32 v65, v65
	s_delay_alu instid0(VALU_DEP_2) | instskip(NEXT) | instid1(VALU_DEP_1)
	v_cvt_f32_f16_e32 v2, v2
	v_dual_add_f32 v65, v65, v66 :: v_dual_add_f32 v2, v2, v3
	s_delay_alu instid0(VALU_DEP_1) | instskip(SKIP_3) | instid1(VALU_DEP_1)
	v_dual_fmac_f32 v38, v65, v10 :: v_dual_fmac_f32 v37, v2, v11
	ds_load_2addr_b32 v[2:3], v28 offset0:136 offset1:137
	s_wait_dscnt 0x0
	v_pk_fma_f16 v24, v30, v2, 0
	v_pk_fma_f16 v65, v31, v3, v24
	ds_load_2addr_b32 v[24:25], v28 offset0:138 offset1:139
	s_wait_dscnt 0x0
	v_pk_fma_f16 v65, v29, v24, v65
	s_delay_alu instid0(VALU_DEP_1) | instskip(NEXT) | instid1(VALU_DEP_1)
	v_pk_fma_f16 v65, v54, v25, v65
	v_cvt_f32_f16_e32 v66, v65
	v_lshrrev_b32_e32 v65, 16, v65
	s_delay_alu instid0(VALU_DEP_1) | instskip(NEXT) | instid1(VALU_DEP_1)
	v_cvt_f32_f16_e32 v65, v65
	v_add_f32_e32 v65, v65, v66
	s_delay_alu instid0(VALU_DEP_1) | instskip(SKIP_1) | instid1(VALU_DEP_1)
	v_fmac_f32_e32 v35, v65, v48
	v_pk_fma_f16 v65, v55, v2, 0
	v_pk_fma_f16 v65, v56, v3, v65
	s_delay_alu instid0(VALU_DEP_1) | instskip(NEXT) | instid1(VALU_DEP_1)
	v_pk_fma_f16 v65, v57, v24, v65
	v_pk_fma_f16 v65, v58, v25, v65
	s_delay_alu instid0(VALU_DEP_1) | instskip(SKIP_1) | instid1(VALU_DEP_1)
	v_cvt_f32_f16_e32 v66, v65
	v_lshrrev_b32_e32 v65, 16, v65
	v_cvt_f32_f16_e32 v65, v65
	s_delay_alu instid0(VALU_DEP_1) | instskip(NEXT) | instid1(VALU_DEP_1)
	v_add_f32_e32 v65, v65, v66
	v_fmac_f32_e32 v36, v65, v49
	v_pk_fma_f16 v65, v26, v2, 0
	v_pk_fma_f16 v2, v27, v2, 0
	s_delay_alu instid0(VALU_DEP_2) | instskip(NEXT) | instid1(VALU_DEP_2)
	v_pk_fma_f16 v65, v59, v3, v65
	v_pk_fma_f16 v2, v62, v3, v2
	s_delay_alu instid0(VALU_DEP_2) | instskip(NEXT) | instid1(VALU_DEP_2)
	;; [unrolled: 3-line block ×3, first 2 shown]
	v_pk_fma_f16 v65, v61, v25, v65
	v_pk_fma_f16 v2, v64, v25, v2
	s_delay_alu instid0(VALU_DEP_2) | instskip(SKIP_1) | instid1(VALU_DEP_3)
	v_cvt_f32_f16_e32 v66, v65
	v_lshrrev_b32_e32 v65, 16, v65
	v_cvt_f32_f16_e32 v3, v2
	v_lshrrev_b32_e32 v2, 16, v2
	s_delay_alu instid0(VALU_DEP_3) | instskip(NEXT) | instid1(VALU_DEP_2)
	v_cvt_f32_f16_e32 v65, v65
	v_cvt_f32_f16_e32 v2, v2
	s_delay_alu instid0(VALU_DEP_2) | instskip(SKIP_2) | instid1(VALU_DEP_1)
	v_add_f32_e32 v65, v65, v66
	ds_load_2addr_b32 v[66:67], v28 offset0:14 offset1:15
	v_add_f32_e32 v2, v2, v3
	v_fmac_f32_e32 v33, v2, v11
	ds_load_2addr_b32 v[2:3], v28 offset0:200 offset1:201
	s_wait_dscnt 0x0
	v_pk_fma_f16 v24, v30, v2, 0
	s_delay_alu instid0(VALU_DEP_1) | instskip(SKIP_3) | instid1(VALU_DEP_1)
	v_pk_fma_f16 v24, v31, v3, v24
	ds_load_2addr_b32 v[30:31], v28 offset0:202 offset1:203
	s_wait_dscnt 0x0
	v_pk_fma_f16 v24, v29, v30, v24
	v_pk_fma_f16 v24, v54, v31, v24
	v_fmac_f32_e32 v32, v65, v10
	s_delay_alu instid0(VALU_DEP_2) | instskip(SKIP_1) | instid1(VALU_DEP_1)
	v_cvt_f32_f16_e32 v25, v24
	v_lshrrev_b32_e32 v24, 16, v24
	v_cvt_f32_f16_e32 v24, v24
	s_delay_alu instid0(VALU_DEP_1) | instskip(NEXT) | instid1(VALU_DEP_1)
	v_add_f32_e32 v24, v24, v25
	v_fmac_f32_e32 v15, v24, v48
	v_pk_fma_f16 v24, v55, v2, 0
	s_delay_alu instid0(VALU_DEP_1) | instskip(NEXT) | instid1(VALU_DEP_1)
	v_pk_fma_f16 v24, v56, v3, v24
	v_pk_fma_f16 v24, v57, v30, v24
	s_delay_alu instid0(VALU_DEP_1) | instskip(NEXT) | instid1(VALU_DEP_1)
	v_pk_fma_f16 v24, v58, v31, v24
	v_cvt_f32_f16_e32 v25, v24
	v_lshrrev_b32_e32 v24, 16, v24
	s_delay_alu instid0(VALU_DEP_1) | instskip(NEXT) | instid1(VALU_DEP_1)
	v_cvt_f32_f16_e32 v24, v24
	v_add_f32_e32 v24, v24, v25
	s_delay_alu instid0(VALU_DEP_1) | instskip(SKIP_2) | instid1(VALU_DEP_2)
	v_fmac_f32_e32 v34, v24, v49
	v_pk_fma_f16 v24, v26, v2, 0
	v_pk_fma_f16 v2, v27, v2, 0
	;; [unrolled: 1-line block ×3, first 2 shown]
	s_delay_alu instid0(VALU_DEP_2) | instskip(NEXT) | instid1(VALU_DEP_2)
	v_pk_fma_f16 v2, v62, v3, v2
	v_pk_fma_f16 v24, v60, v30, v24
	s_delay_alu instid0(VALU_DEP_2) | instskip(NEXT) | instid1(VALU_DEP_2)
	v_pk_fma_f16 v2, v63, v30, v2
	v_pk_fma_f16 v25, v61, v31, v24
	s_delay_alu instid0(VALU_DEP_2) | instskip(NEXT) | instid1(VALU_DEP_2)
	v_pk_fma_f16 v2, v64, v31, v2
	v_cvt_f32_f16_e32 v24, v25
	s_delay_alu instid0(VALU_DEP_2) | instskip(NEXT) | instid1(VALU_DEP_1)
	v_dual_lshrrev_b32 v25, 16, v25 :: v_dual_lshrrev_b32 v3, 16, v2
	v_cvt_f32_f16_e32 v26, v25
	s_delay_alu instid0(VALU_DEP_2)
	v_cvt_f32_f16_e32 v27, v3
	v_cvt_f32_f16_e32 v25, v2
	global_load_b128 v[0:3], v[0:1], off
	s_wait_loadcnt 0x0
	v_and_or_b32 v29, v0, s5, 0x64006400
	v_and_or_b32 v30, v0, s12, 0x64006400
	v_lshrrev_b32_e32 v0, 8, v0
	s_delay_alu instid0(VALU_DEP_2) | instskip(NEXT) | instid1(VALU_DEP_2)
	v_pk_fma_f16 v65, 0x2c00, v30, v12 op_sel_hi:[0,1,1]
	v_and_or_b32 v31, v0, s5, 0x64006400
	v_and_or_b32 v54, v0, s12, 0x64006400
	v_pk_add_f16 v0, v50, v29
	v_and_or_b32 v29, v1, s5, 0x64006400
	v_and_or_b32 v30, v1, s12, 0x64006400
	v_lshrrev_b32_e32 v1, 8, v1
	v_pk_add_f16 v63, v50, v31
	v_pk_fma_f16 v64, 0x2c00, v54, v12 op_sel_hi:[0,1,1]
	v_pk_add_f16 v59, v52, v29
	v_and_or_b32 v29, v2, s12, 0x64006400
	v_and_or_b32 v31, v1, s5, 0x64006400
	;; [unrolled: 1-line block ×3, first 2 shown]
	v_pk_fma_f16 v60, 0x2c00, v30, v5 op_sel_hi:[0,1,1]
	s_delay_alu instid0(VALU_DEP_4) | instskip(NEXT) | instid1(VALU_DEP_4)
	v_pk_fma_f16 v54, 0x2c00, v29, v14 op_sel_hi:[0,1,1]
	v_pk_add_f16 v61, v52, v31
	s_delay_alu instid0(VALU_DEP_4) | instskip(SKIP_3) | instid1(VALU_DEP_2)
	v_pk_fma_f16 v62, 0x2c00, v1, v5 op_sel_hi:[0,1,1]
	v_and_or_b32 v1, v2, s5, 0x64006400
	v_lshrrev_b32_e32 v2, 8, v2
	v_and_or_b32 v29, v3, s12, 0x64006400
	v_and_or_b32 v30, v2, s5, 0x64006400
	;; [unrolled: 1-line block ×3, first 2 shown]
	v_pk_add_f16 v2, v51, v1
	v_and_or_b32 v1, v3, s5, 0x64006400
	v_lshrrev_b32_e32 v3, 8, v3
	v_pk_add_f16 v55, v51, v30
	v_pk_fma_f16 v56, 0x2c00, v31, v14 op_sel_hi:[0,1,1]
	v_pk_fma_f16 v57, 0x2c00, v29, v13 op_sel_hi:[0,1,1]
	v_pk_add_f16 v58, v53, v1
	v_and_or_b32 v30, v3, s5, 0x64006400
	s_delay_alu instid0(VALU_DEP_1) | instskip(SKIP_3) | instid1(VALU_DEP_1)
	v_pk_add_f16 v29, v53, v30
	ds_load_2addr_b32 v[30:31], v28 offset0:12 offset1:13
	s_wait_dscnt 0x0
	v_pk_fma_f16 v1, v0, v30, 0
	v_pk_fma_f16 v1, v65, v31, v1
	s_delay_alu instid0(VALU_DEP_1) | instskip(NEXT) | instid1(VALU_DEP_1)
	v_pk_fma_f16 v1, v63, v66, v1
	v_pk_fma_f16 v1, v64, v67, v1
	s_delay_alu instid0(VALU_DEP_1) | instskip(SKIP_2) | instid1(VALU_DEP_2)
	v_cvt_f32_f16_e32 v68, v1
	v_lshrrev_b32_e32 v1, 16, v1
	v_and_or_b32 v3, v3, s12, 0x64006400
	v_cvt_f32_f16_e32 v1, v1
	s_delay_alu instid0(VALU_DEP_2) | instskip(NEXT) | instid1(VALU_DEP_2)
	v_pk_fma_f16 v3, 0x2c00, v3, v13 op_sel_hi:[0,1,1]
	v_add_f32_e32 v1, v1, v68
	s_delay_alu instid0(VALU_DEP_1) | instskip(SKIP_1) | instid1(VALU_DEP_1)
	v_fmac_f32_e32 v44, v1, v48
	v_pk_fma_f16 v1, v59, v30, 0
	v_pk_fma_f16 v1, v60, v31, v1
	s_delay_alu instid0(VALU_DEP_1) | instskip(NEXT) | instid1(VALU_DEP_1)
	v_pk_fma_f16 v1, v61, v66, v1
	v_pk_fma_f16 v1, v62, v67, v1
	s_delay_alu instid0(VALU_DEP_1) | instskip(SKIP_1) | instid1(VALU_DEP_1)
	v_cvt_f32_f16_e32 v68, v1
	v_lshrrev_b32_e32 v1, 16, v1
	v_cvt_f32_f16_e32 v1, v1
	s_delay_alu instid0(VALU_DEP_1) | instskip(NEXT) | instid1(VALU_DEP_1)
	v_add_f32_e32 v1, v1, v68
	v_fmac_f32_e32 v45, v1, v49
	v_pk_fma_f16 v1, v2, v30, 0
	s_delay_alu instid0(VALU_DEP_1) | instskip(NEXT) | instid1(VALU_DEP_1)
	v_pk_fma_f16 v1, v54, v31, v1
	v_pk_fma_f16 v1, v55, v66, v1
	s_delay_alu instid0(VALU_DEP_1) | instskip(NEXT) | instid1(VALU_DEP_1)
	v_pk_fma_f16 v1, v56, v67, v1
	v_cvt_f32_f16_e32 v68, v1
	v_lshrrev_b32_e32 v1, 16, v1
	s_delay_alu instid0(VALU_DEP_1) | instskip(NEXT) | instid1(VALU_DEP_1)
	v_cvt_f32_f16_e32 v1, v1
	v_add_f32_e32 v1, v1, v68
	s_delay_alu instid0(VALU_DEP_1) | instskip(SKIP_1) | instid1(VALU_DEP_1)
	v_fmac_f32_e32 v42, v1, v10
	v_pk_fma_f16 v1, v58, v30, 0
	v_pk_fma_f16 v1, v57, v31, v1
	s_delay_alu instid0(VALU_DEP_1) | instskip(NEXT) | instid1(VALU_DEP_1)
	v_pk_fma_f16 v1, v29, v66, v1
	v_pk_fma_f16 v1, v3, v67, v1
	ds_load_2addr_b32 v[66:67], v28 offset0:78 offset1:79
	v_cvt_f32_f16_e32 v30, v1
	v_lshrrev_b32_e32 v1, 16, v1
	s_delay_alu instid0(VALU_DEP_1) | instskip(NEXT) | instid1(VALU_DEP_1)
	v_cvt_f32_f16_e32 v1, v1
	v_add_f32_e32 v1, v1, v30
	ds_load_2addr_b32 v[30:31], v28 offset0:76 offset1:77
	v_fmac_f32_e32 v43, v1, v11
	s_wait_dscnt 0x0
	v_pk_fma_f16 v1, v0, v30, 0
	s_delay_alu instid0(VALU_DEP_1) | instskip(NEXT) | instid1(VALU_DEP_1)
	v_pk_fma_f16 v1, v65, v31, v1
	v_pk_fma_f16 v1, v63, v66, v1
	s_delay_alu instid0(VALU_DEP_1) | instskip(NEXT) | instid1(VALU_DEP_1)
	v_pk_fma_f16 v1, v64, v67, v1
	v_cvt_f32_f16_e32 v68, v1
	v_lshrrev_b32_e32 v1, 16, v1
	s_delay_alu instid0(VALU_DEP_1) | instskip(NEXT) | instid1(VALU_DEP_1)
	v_cvt_f32_f16_e32 v1, v1
	v_add_f32_e32 v1, v1, v68
	s_delay_alu instid0(VALU_DEP_1) | instskip(SKIP_1) | instid1(VALU_DEP_1)
	v_fmac_f32_e32 v39, v1, v48
	v_pk_fma_f16 v1, v59, v30, 0
	v_pk_fma_f16 v1, v60, v31, v1
	s_delay_alu instid0(VALU_DEP_1) | instskip(NEXT) | instid1(VALU_DEP_1)
	v_pk_fma_f16 v1, v61, v66, v1
	v_pk_fma_f16 v1, v62, v67, v1
	s_delay_alu instid0(VALU_DEP_1) | instskip(SKIP_1) | instid1(VALU_DEP_1)
	v_cvt_f32_f16_e32 v68, v1
	v_lshrrev_b32_e32 v1, 16, v1
	v_cvt_f32_f16_e32 v1, v1
	s_delay_alu instid0(VALU_DEP_1) | instskip(NEXT) | instid1(VALU_DEP_1)
	v_add_f32_e32 v1, v1, v68
	v_fmac_f32_e32 v40, v1, v49
	v_pk_fma_f16 v1, v2, v30, 0
	s_delay_alu instid0(VALU_DEP_1) | instskip(NEXT) | instid1(VALU_DEP_1)
	v_pk_fma_f16 v1, v54, v31, v1
	v_pk_fma_f16 v1, v55, v66, v1
	s_delay_alu instid0(VALU_DEP_1) | instskip(NEXT) | instid1(VALU_DEP_1)
	v_pk_fma_f16 v1, v56, v67, v1
	v_cvt_f32_f16_e32 v68, v1
	v_lshrrev_b32_e32 v1, 16, v1
	s_delay_alu instid0(VALU_DEP_1) | instskip(NEXT) | instid1(VALU_DEP_1)
	v_cvt_f32_f16_e32 v1, v1
	v_add_f32_e32 v1, v1, v68
	s_delay_alu instid0(VALU_DEP_1) | instskip(SKIP_1) | instid1(VALU_DEP_1)
	v_fmac_f32_e32 v38, v1, v10
	v_pk_fma_f16 v1, v58, v30, 0
	v_pk_fma_f16 v1, v57, v31, v1
	s_delay_alu instid0(VALU_DEP_1) | instskip(NEXT) | instid1(VALU_DEP_1)
	v_pk_fma_f16 v1, v29, v66, v1
	v_pk_fma_f16 v1, v3, v67, v1
	ds_load_2addr_b32 v[66:67], v28 offset0:142 offset1:143
	v_cvt_f32_f16_e32 v30, v1
	v_lshrrev_b32_e32 v1, 16, v1
	s_delay_alu instid0(VALU_DEP_1) | instskip(NEXT) | instid1(VALU_DEP_1)
	v_cvt_f32_f16_e32 v1, v1
	v_add_f32_e32 v1, v1, v30
	ds_load_2addr_b32 v[30:31], v28 offset0:140 offset1:141
	v_fmac_f32_e32 v37, v1, v11
	s_wait_dscnt 0x0
	v_pk_fma_f16 v1, v0, v30, 0
	s_delay_alu instid0(VALU_DEP_1) | instskip(NEXT) | instid1(VALU_DEP_1)
	v_pk_fma_f16 v1, v65, v31, v1
	v_pk_fma_f16 v1, v63, v66, v1
	s_delay_alu instid0(VALU_DEP_1) | instskip(NEXT) | instid1(VALU_DEP_1)
	v_pk_fma_f16 v1, v64, v67, v1
	v_cvt_f32_f16_e32 v68, v1
	v_lshrrev_b32_e32 v1, 16, v1
	s_delay_alu instid0(VALU_DEP_1) | instskip(NEXT) | instid1(VALU_DEP_1)
	v_cvt_f32_f16_e32 v1, v1
	v_add_f32_e32 v1, v1, v68
	s_delay_alu instid0(VALU_DEP_1) | instskip(SKIP_1) | instid1(VALU_DEP_1)
	v_fmac_f32_e32 v35, v1, v48
	v_pk_fma_f16 v1, v59, v30, 0
	v_pk_fma_f16 v1, v60, v31, v1
	s_delay_alu instid0(VALU_DEP_1) | instskip(NEXT) | instid1(VALU_DEP_1)
	v_pk_fma_f16 v1, v61, v66, v1
	v_pk_fma_f16 v1, v62, v67, v1
	s_delay_alu instid0(VALU_DEP_1) | instskip(SKIP_1) | instid1(VALU_DEP_1)
	v_cvt_f32_f16_e32 v68, v1
	v_lshrrev_b32_e32 v1, 16, v1
	v_cvt_f32_f16_e32 v1, v1
	s_delay_alu instid0(VALU_DEP_1) | instskip(NEXT) | instid1(VALU_DEP_1)
	v_add_f32_e32 v1, v1, v68
	v_fmac_f32_e32 v36, v1, v49
	v_pk_fma_f16 v1, v2, v30, 0
	s_delay_alu instid0(VALU_DEP_1) | instskip(NEXT) | instid1(VALU_DEP_1)
	v_pk_fma_f16 v1, v54, v31, v1
	v_pk_fma_f16 v1, v55, v66, v1
	s_delay_alu instid0(VALU_DEP_1) | instskip(NEXT) | instid1(VALU_DEP_1)
	v_pk_fma_f16 v1, v56, v67, v1
	v_cvt_f32_f16_e32 v68, v1
	v_lshrrev_b32_e32 v1, 16, v1
	s_delay_alu instid0(VALU_DEP_1) | instskip(NEXT) | instid1(VALU_DEP_1)
	v_cvt_f32_f16_e32 v1, v1
	v_add_f32_e32 v1, v1, v68
	s_delay_alu instid0(VALU_DEP_1) | instskip(SKIP_1) | instid1(VALU_DEP_1)
	v_fmac_f32_e32 v32, v1, v10
	v_pk_fma_f16 v1, v58, v30, 0
	v_pk_fma_f16 v1, v57, v31, v1
	s_delay_alu instid0(VALU_DEP_1) | instskip(NEXT) | instid1(VALU_DEP_1)
	v_pk_fma_f16 v1, v29, v66, v1
	v_pk_fma_f16 v1, v3, v67, v1
	s_delay_alu instid0(VALU_DEP_1) | instskip(SKIP_1) | instid1(VALU_DEP_1)
	v_cvt_f32_f16_e32 v30, v1
	v_lshrrev_b32_e32 v1, 16, v1
	v_cvt_f32_f16_e32 v1, v1
	s_delay_alu instid0(VALU_DEP_1)
	v_add_f32_e32 v1, v1, v30
	ds_load_2addr_b32 v[30:31], v28 offset0:204 offset1:205
	v_fmac_f32_e32 v33, v1, v11
	s_wait_dscnt 0x0
	v_pk_fma_f16 v0, v0, v30, 0
	v_pk_fma_f16 v2, v2, v30, 0
	s_delay_alu instid0(VALU_DEP_2) | instskip(SKIP_4) | instid1(VALU_DEP_2)
	v_pk_fma_f16 v65, v65, v31, v0
	ds_load_2addr_b32 v[0:1], v28 offset0:206 offset1:207
	v_pk_fma_f16 v2, v54, v31, v2
	s_wait_dscnt 0x0
	v_pk_fma_f16 v28, v63, v0, v65
	v_pk_fma_f16 v2, v55, v0, v2
	s_delay_alu instid0(VALU_DEP_2) | instskip(NEXT) | instid1(VALU_DEP_1)
	v_pk_fma_f16 v28, v64, v1, v28
	v_cvt_f32_f16_e32 v63, v28
	v_lshrrev_b32_e32 v28, 16, v28
	s_delay_alu instid0(VALU_DEP_1) | instskip(NEXT) | instid1(VALU_DEP_1)
	v_cvt_f32_f16_e32 v28, v28
	v_add_f32_e32 v28, v28, v63
	s_delay_alu instid0(VALU_DEP_1) | instskip(SKIP_2) | instid1(VALU_DEP_2)
	v_fmac_f32_e32 v15, v28, v48
	v_pk_fma_f16 v28, v59, v30, 0
	v_pk_fma_f16 v30, v58, v30, 0
	;; [unrolled: 1-line block ×3, first 2 shown]
	s_delay_alu instid0(VALU_DEP_2) | instskip(NEXT) | instid1(VALU_DEP_2)
	v_pk_fma_f16 v30, v57, v31, v30
	v_pk_fma_f16 v28, v61, v0, v28
	s_delay_alu instid0(VALU_DEP_2) | instskip(NEXT) | instid1(VALU_DEP_2)
	v_pk_fma_f16 v0, v29, v0, v30
	v_pk_fma_f16 v28, v62, v1, v28
	s_delay_alu instid0(VALU_DEP_2) | instskip(NEXT) | instid1(VALU_DEP_2)
	v_pk_fma_f16 v0, v3, v1, v0
	v_cvt_f32_f16_e32 v59, v28
	v_lshrrev_b32_e32 v28, 16, v28
	s_delay_alu instid0(VALU_DEP_3) | instskip(NEXT) | instid1(VALU_DEP_2)
	v_cvt_f32_f16_e32 v3, v0
	v_cvt_f32_f16_e32 v28, v28
	s_delay_alu instid0(VALU_DEP_1) | instskip(NEXT) | instid1(VALU_DEP_1)
	v_add_f32_e32 v28, v28, v59
	v_fmac_f32_e32 v34, v28, v49
	v_pk_fma_f16 v28, v56, v1, v2
	v_lshrrev_b32_e32 v1, 16, v0
	s_delay_alu instid0(VALU_DEP_2) | instskip(NEXT) | instid1(VALU_DEP_2)
	v_cvt_f32_f16_e32 v2, v28
	v_cvt_f32_f16_e32 v29, v1
	v_pk_add_f32 v[0:1], v[16:17], v[18:19]
	v_lshrrev_b32_e32 v28, 16, v28
	s_delay_alu instid0(VALU_DEP_2) | instskip(SKIP_1) | instid1(VALU_DEP_3)
	v_pk_fma_f32 v[0:1], v[0:1], v[10:11], v[6:7]
	v_pk_add_f32 v[6:7], v[20:21], v[22:23]
	v_cvt_f32_f16_e32 v28, v28
	s_delay_alu instid0(VALU_DEP_2) | instskip(SKIP_1) | instid1(VALU_DEP_3)
	v_pk_fma_f32 v[0:1], v[6:7], v[10:11], v[0:1]
	v_pk_add_f32 v[6:7], v[24:25], v[26:27]
	v_pk_add_f32 v[2:3], v[2:3], v[28:29]
	s_delay_alu instid0(VALU_DEP_2) | instskip(NEXT) | instid1(VALU_DEP_1)
	v_pk_fma_f32 v[0:1], v[6:7], v[10:11], v[0:1]
	v_pk_fma_f32 v[6:7], v[2:3], v[10:11], v[0:1]
	s_cbranch_scc1 .LBB29_16
.LBB29_14:                              ; =>This Inner Loop Header: Depth=1
	s_cmp_lg_u32 s15, s21
	s_cbranch_scc1 .LBB29_13
; %bb.15:                               ;   in Loop: Header=BB29_14 Depth=1
	s_add_co_i32 s18, s18, 1
	s_add_co_i32 s21, s21, s17
	s_mul_i32 s13, s18, s4
	s_delay_alu instid0(SALU_CYCLE_1) | instskip(NEXT) | instid1(SALU_CYCLE_1)
	s_ashr_i32 s22, s13, 31
	s_lshr_b32 s22, s22, 29
	s_delay_alu instid0(SALU_CYCLE_1) | instskip(NEXT) | instid1(SALU_CYCLE_1)
	s_add_co_i32 s22, s13, s22
	s_ashr_i32 s22, s22, 3
	s_delay_alu instid0(SALU_CYCLE_1) | instskip(SKIP_3) | instid1(VALU_DEP_1)
	v_add_nc_u32_e32 v0, s22, v41
	global_load_b32 v2, v0, s[2:3] scale_offset
	s_wait_loadcnt 0x0
	v_dual_lshrrev_b32 v2, v46, v2 :: v_dual_add_nc_u32 v0, s13, v4
	v_dual_lshrrev_b32 v3, 4, v2 :: v_dual_ashrrev_i32 v1, 31, v0
	v_dual_lshrrev_b32 v5, 12, v2 :: v_dual_lshrrev_b32 v10, 8, v2
	v_and_b32_e32 v2, 15, v2
	s_delay_alu instid0(VALU_DEP_3) | instskip(NEXT) | instid1(VALU_DEP_2)
	v_lshl_add_u64 v[0:1], v[0:1], 1, s[8:9]
	v_dual_add_nc_u32 v2, v2, v47 :: v_dual_bitop2_b32 v5, 15, v5 bitop3:0x40
	global_load_b64 v[0:1], v[0:1], off
	v_and_b32_e32 v3, 15, v3
	v_mad_u32_u24 v50, v2, s20, 0xe400e400
	s_wait_loadcnt 0x0
	v_cvt_f32_f16_e32 v48, v0
	v_dual_lshrrev_b32 v0, 16, v0 :: v_dual_bitop2_b32 v10, 15, v10 bitop3:0x40
	v_dual_add_nc_u32 v3, v3, v47 :: v_dual_add_nc_u32 v5, v5, v47
	s_delay_alu instid0(VALU_DEP_2) | instskip(NEXT) | instid1(VALU_DEP_3)
	v_cvt_f32_f16_e32 v49, v0
	v_add_nc_u32_e32 v12, v10, v47
	v_cvt_f32_ubyte0_e32 v10, v2
	s_delay_alu instid0(VALU_DEP_4)
	v_cvt_f32_ubyte0_e32 v11, v3
	v_cvt_f32_ubyte0_e32 v13, v5
	v_mad_u32_u24 v52, v3, s20, 0xe400e400
	v_cvt_f32_ubyte0_e32 v14, v12
	v_mad_u32_u24 v51, v12, s20, 0xe400e400
	v_cvt_pk_f16_f32 v17, v10, v11
	v_cvt_f32_f16_e32 v10, v1
	v_mad_u32_u24 v53, v5, s20, 0xe400e400
	s_delay_alu instid0(VALU_DEP_3) | instskip(SKIP_2) | instid1(VALU_DEP_3)
	v_pk_add_f16 v0, 0xd400, v17 op_sel_hi:[0,1] neg_lo:[0,1] neg_hi:[0,1]
	v_lshrrev_b32_e32 v16, 16, v1
	v_cvt_pk_f16_f32 v1, v14, v13
	v_and_b32_e32 v2, 0xffff, v0
	v_lshrrev_b32_e32 v0, 16, v0
	s_delay_alu instid0(VALU_DEP_3) | instskip(SKIP_1) | instid1(VALU_DEP_4)
	v_pk_add_f16 v1, 0xd400, v1 op_sel_hi:[0,1] neg_lo:[0,1] neg_hi:[0,1]
	v_cvt_f32_f16_e32 v11, v16
	v_mul_u32_u24_e32 v12, 0x10001, v2
	s_delay_alu instid0(VALU_DEP_4) | instskip(NEXT) | instid1(VALU_DEP_4)
	v_mul_u32_u24_e32 v5, 0x10001, v0
	v_and_b32_e32 v3, 0xffff, v1
	v_lshrrev_b32_e32 v1, 16, v1
	s_delay_alu instid0(VALU_DEP_2) | instskip(NEXT) | instid1(VALU_DEP_2)
	v_mul_u32_u24_e32 v14, 0x10001, v3
	v_mul_u32_u24_e32 v13, 0x10001, v1
	s_branch .LBB29_13
.LBB29_16:
	v_mad_u32 v0, s14, s4, v4
	s_mov_b32 s0, 0
	s_delay_alu instid0(VALU_DEP_1) | instskip(SKIP_1) | instid1(VALU_DEP_1)
	v_ashrrev_i32_e32 v1, 31, v0
	s_wait_kmcnt 0x0
	v_lshl_add_u64 v[2:3], v[0:1], 1, s[10:11]
	v_cvt_pk_f16_f32 v1, v44, v45
	global_load_b32 v5, v[2:3], off
.LBB29_17:                              ; =>This Inner Loop Header: Depth=1
	s_wait_loadcnt 0x0
	v_pk_add_f16 v4, v1, v5
	global_atomic_cmpswap_b32 v4, v[2:3], v[4:5], off th:TH_ATOMIC_RETURN scope:SCOPE_DEV
	s_wait_loadcnt 0x0
	v_cmp_eq_u32_e32 vcc_lo, v5, v4
	v_mov_b32_e32 v5, v4
	s_or_b32 s0, vcc_lo, s0
	s_delay_alu instid0(SALU_CYCLE_1)
	s_and_not1_b32 exec_lo, exec_lo, s0
	s_cbranch_execnz .LBB29_17
; %bb.18:
	s_or_b32 exec_lo, exec_lo, s0
	global_load_b32 v5, v[2:3], off offset:4
	v_cvt_pk_f16_f32 v1, v42, v43
	s_mov_b32 s0, 0
.LBB29_19:                              ; =>This Inner Loop Header: Depth=1
	s_wait_loadcnt 0x0
	s_delay_alu instid0(VALU_DEP_1)
	v_pk_add_f16 v4, v1, v5
	global_atomic_cmpswap_b32 v4, v[2:3], v[4:5], off offset:4 th:TH_ATOMIC_RETURN scope:SCOPE_DEV
	s_wait_loadcnt 0x0
	v_cmp_eq_u32_e32 vcc_lo, v5, v4
	v_mov_b32_e32 v5, v4
	s_or_b32 s0, vcc_lo, s0
	s_delay_alu instid0(SALU_CYCLE_1)
	s_and_not1_b32 exec_lo, exec_lo, s0
	s_cbranch_execnz .LBB29_19
; %bb.20:
	s_or_b32 exec_lo, exec_lo, s0
	v_add_nc_u32_e32 v0, s4, v0
	s_mov_b32 s0, 0
	s_delay_alu instid0(VALU_DEP_1) | instskip(NEXT) | instid1(VALU_DEP_1)
	v_ashrrev_i32_e32 v1, 31, v0
	v_lshl_add_u64 v[2:3], v[0:1], 1, s[10:11]
	v_cvt_pk_f16_f32 v1, v39, v40
	global_load_b32 v5, v[2:3], off
.LBB29_21:                              ; =>This Inner Loop Header: Depth=1
	s_wait_loadcnt 0x0
	v_pk_add_f16 v4, v1, v5
	global_atomic_cmpswap_b32 v4, v[2:3], v[4:5], off th:TH_ATOMIC_RETURN scope:SCOPE_DEV
	s_wait_loadcnt 0x0
	v_cmp_eq_u32_e32 vcc_lo, v5, v4
	v_mov_b32_e32 v5, v4
	s_or_b32 s0, vcc_lo, s0
	s_delay_alu instid0(SALU_CYCLE_1)
	s_and_not1_b32 exec_lo, exec_lo, s0
	s_cbranch_execnz .LBB29_21
; %bb.22:
	s_or_b32 exec_lo, exec_lo, s0
	global_load_b32 v5, v[2:3], off offset:4
	v_cvt_pk_f16_f32 v1, v38, v37
	s_mov_b32 s0, 0
.LBB29_23:                              ; =>This Inner Loop Header: Depth=1
	s_wait_loadcnt 0x0
	s_delay_alu instid0(VALU_DEP_1)
	v_pk_add_f16 v4, v1, v5
	global_atomic_cmpswap_b32 v4, v[2:3], v[4:5], off offset:4 th:TH_ATOMIC_RETURN scope:SCOPE_DEV
	s_wait_loadcnt 0x0
	v_cmp_eq_u32_e32 vcc_lo, v5, v4
	v_mov_b32_e32 v5, v4
	s_or_b32 s0, vcc_lo, s0
	s_delay_alu instid0(SALU_CYCLE_1)
	s_and_not1_b32 exec_lo, exec_lo, s0
	s_cbranch_execnz .LBB29_23
; %bb.24:
	s_or_b32 exec_lo, exec_lo, s0
	v_add_nc_u32_e32 v0, s4, v0
	s_mov_b32 s0, 0
	s_delay_alu instid0(VALU_DEP_1) | instskip(NEXT) | instid1(VALU_DEP_1)
	v_ashrrev_i32_e32 v1, 31, v0
	v_lshl_add_u64 v[2:3], v[0:1], 1, s[10:11]
	v_cvt_pk_f16_f32 v1, v35, v36
	global_load_b32 v5, v[2:3], off
.LBB29_25:                              ; =>This Inner Loop Header: Depth=1
	s_wait_loadcnt 0x0
	v_pk_add_f16 v4, v1, v5
	global_atomic_cmpswap_b32 v4, v[2:3], v[4:5], off th:TH_ATOMIC_RETURN scope:SCOPE_DEV
	s_wait_loadcnt 0x0
	v_cmp_eq_u32_e32 vcc_lo, v5, v4
	v_mov_b32_e32 v5, v4
	s_or_b32 s0, vcc_lo, s0
	s_delay_alu instid0(SALU_CYCLE_1)
	s_and_not1_b32 exec_lo, exec_lo, s0
	s_cbranch_execnz .LBB29_25
; %bb.26:
	s_or_b32 exec_lo, exec_lo, s0
	global_load_b32 v5, v[2:3], off offset:4
	v_cvt_pk_f16_f32 v1, v32, v33
	s_mov_b32 s0, 0
.LBB29_27:                              ; =>This Inner Loop Header: Depth=1
	s_wait_loadcnt 0x0
	s_delay_alu instid0(VALU_DEP_1)
	v_pk_add_f16 v4, v1, v5
	global_atomic_cmpswap_b32 v4, v[2:3], v[4:5], off offset:4 th:TH_ATOMIC_RETURN scope:SCOPE_DEV
	s_wait_loadcnt 0x0
	v_cmp_eq_u32_e32 vcc_lo, v5, v4
	v_mov_b32_e32 v5, v4
	s_or_b32 s0, vcc_lo, s0
	s_delay_alu instid0(SALU_CYCLE_1)
	s_and_not1_b32 exec_lo, exec_lo, s0
	s_cbranch_execnz .LBB29_27
; %bb.28:
	s_or_b32 exec_lo, exec_lo, s0
	v_add_nc_u32_e32 v0, s4, v0
	v_cvt_pk_f16_f32 v4, v15, v34
	s_mov_b32 s0, 0
	s_delay_alu instid0(VALU_DEP_2) | instskip(NEXT) | instid1(VALU_DEP_1)
	v_ashrrev_i32_e32 v1, 31, v0
	v_lshl_add_u64 v[0:1], v[0:1], 1, s[10:11]
	global_load_b32 v3, v[0:1], off
.LBB29_29:                              ; =>This Inner Loop Header: Depth=1
	s_wait_loadcnt 0x0
	v_pk_add_f16 v2, v4, v3
	global_atomic_cmpswap_b32 v2, v[0:1], v[2:3], off th:TH_ATOMIC_RETURN scope:SCOPE_DEV
	s_wait_loadcnt 0x0
	v_cmp_eq_u32_e32 vcc_lo, v3, v2
	v_mov_b32_e32 v3, v2
	s_or_b32 s0, vcc_lo, s0
	s_delay_alu instid0(SALU_CYCLE_1)
	s_and_not1_b32 exec_lo, exec_lo, s0
	s_cbranch_execnz .LBB29_29
; %bb.30:
	s_or_b32 exec_lo, exec_lo, s0
	global_load_b32 v3, v[0:1], off offset:4
	v_cvt_pk_f16_f32 v4, v6, v7
	s_mov_b32 s0, 0
.LBB29_31:                              ; =>This Inner Loop Header: Depth=1
	s_wait_loadcnt 0x0
	s_delay_alu instid0(VALU_DEP_1)
	v_pk_add_f16 v2, v4, v3
	global_atomic_cmpswap_b32 v2, v[0:1], v[2:3], off offset:4 th:TH_ATOMIC_RETURN scope:SCOPE_DEV
	s_wait_loadcnt 0x0
	v_cmp_eq_u32_e32 vcc_lo, v3, v2
	v_mov_b32_e32 v3, v2
	s_or_b32 s0, vcc_lo, s0
	s_delay_alu instid0(SALU_CYCLE_1)
	s_and_not1_b32 exec_lo, exec_lo, s0
	s_cbranch_execnz .LBB29_31
.LBB29_32:
	s_endpgm
	.section	.rodata,"a",@progbits
	.p2align	6, 0x0
	.amdhsa_kernel _ZN4vllm4gptq33gemm_half_q_half_gptq_4bit_kernelILb1ELi4EEEvPK6__halfPKjS6_S4_PS2_iiiibPKi
		.amdhsa_group_segment_fixed_size 1024
		.amdhsa_private_segment_fixed_size 0
		.amdhsa_kernarg_size 72
		.amdhsa_user_sgpr_count 2
		.amdhsa_user_sgpr_dispatch_ptr 0
		.amdhsa_user_sgpr_queue_ptr 0
		.amdhsa_user_sgpr_kernarg_segment_ptr 1
		.amdhsa_user_sgpr_dispatch_id 0
		.amdhsa_user_sgpr_kernarg_preload_length 0
		.amdhsa_user_sgpr_kernarg_preload_offset 0
		.amdhsa_user_sgpr_private_segment_size 0
		.amdhsa_wavefront_size32 1
		.amdhsa_uses_dynamic_stack 0
		.amdhsa_enable_private_segment 0
		.amdhsa_system_sgpr_workgroup_id_x 1
		.amdhsa_system_sgpr_workgroup_id_y 1
		.amdhsa_system_sgpr_workgroup_id_z 1
		.amdhsa_system_sgpr_workgroup_info 0
		.amdhsa_system_vgpr_workitem_id 0
		.amdhsa_next_free_vgpr 69
		.amdhsa_next_free_sgpr 23
		.amdhsa_named_barrier_count 0
		.amdhsa_reserve_vcc 1
		.amdhsa_float_round_mode_32 0
		.amdhsa_float_round_mode_16_64 0
		.amdhsa_float_denorm_mode_32 3
		.amdhsa_float_denorm_mode_16_64 3
		.amdhsa_fp16_overflow 0
		.amdhsa_memory_ordered 1
		.amdhsa_forward_progress 1
		.amdhsa_inst_pref_size 71
		.amdhsa_round_robin_scheduling 0
		.amdhsa_exception_fp_ieee_invalid_op 0
		.amdhsa_exception_fp_denorm_src 0
		.amdhsa_exception_fp_ieee_div_zero 0
		.amdhsa_exception_fp_ieee_overflow 0
		.amdhsa_exception_fp_ieee_underflow 0
		.amdhsa_exception_fp_ieee_inexact 0
		.amdhsa_exception_int_div_zero 0
	.end_amdhsa_kernel
	.section	.text._ZN4vllm4gptq33gemm_half_q_half_gptq_4bit_kernelILb1ELi4EEEvPK6__halfPKjS6_S4_PS2_iiiibPKi,"axG",@progbits,_ZN4vllm4gptq33gemm_half_q_half_gptq_4bit_kernelILb1ELi4EEEvPK6__halfPKjS6_S4_PS2_iiiibPKi,comdat
.Lfunc_end29:
	.size	_ZN4vllm4gptq33gemm_half_q_half_gptq_4bit_kernelILb1ELi4EEEvPK6__halfPKjS6_S4_PS2_iiiibPKi, .Lfunc_end29-_ZN4vllm4gptq33gemm_half_q_half_gptq_4bit_kernelILb1ELi4EEEvPK6__halfPKjS6_S4_PS2_iiiibPKi
                                        ; -- End function
	.set _ZN4vllm4gptq33gemm_half_q_half_gptq_4bit_kernelILb1ELi4EEEvPK6__halfPKjS6_S4_PS2_iiiibPKi.num_vgpr, 69
	.set _ZN4vllm4gptq33gemm_half_q_half_gptq_4bit_kernelILb1ELi4EEEvPK6__halfPKjS6_S4_PS2_iiiibPKi.num_agpr, 0
	.set _ZN4vllm4gptq33gemm_half_q_half_gptq_4bit_kernelILb1ELi4EEEvPK6__halfPKjS6_S4_PS2_iiiibPKi.numbered_sgpr, 23
	.set _ZN4vllm4gptq33gemm_half_q_half_gptq_4bit_kernelILb1ELi4EEEvPK6__halfPKjS6_S4_PS2_iiiibPKi.num_named_barrier, 0
	.set _ZN4vllm4gptq33gemm_half_q_half_gptq_4bit_kernelILb1ELi4EEEvPK6__halfPKjS6_S4_PS2_iiiibPKi.private_seg_size, 0
	.set _ZN4vllm4gptq33gemm_half_q_half_gptq_4bit_kernelILb1ELi4EEEvPK6__halfPKjS6_S4_PS2_iiiibPKi.uses_vcc, 1
	.set _ZN4vllm4gptq33gemm_half_q_half_gptq_4bit_kernelILb1ELi4EEEvPK6__halfPKjS6_S4_PS2_iiiibPKi.uses_flat_scratch, 0
	.set _ZN4vllm4gptq33gemm_half_q_half_gptq_4bit_kernelILb1ELi4EEEvPK6__halfPKjS6_S4_PS2_iiiibPKi.has_dyn_sized_stack, 0
	.set _ZN4vllm4gptq33gemm_half_q_half_gptq_4bit_kernelILb1ELi4EEEvPK6__halfPKjS6_S4_PS2_iiiibPKi.has_recursion, 0
	.set _ZN4vllm4gptq33gemm_half_q_half_gptq_4bit_kernelILb1ELi4EEEvPK6__halfPKjS6_S4_PS2_iiiibPKi.has_indirect_call, 0
	.section	.AMDGPU.csdata,"",@progbits
; Kernel info:
; codeLenInByte = 8976
; TotalNumSgprs: 25
; NumVgprs: 69
; ScratchSize: 0
; MemoryBound: 0
; FloatMode: 240
; IeeeMode: 1
; LDSByteSize: 1024 bytes/workgroup (compile time only)
; SGPRBlocks: 0
; VGPRBlocks: 4
; NumSGPRsForWavesPerEU: 25
; NumVGPRsForWavesPerEU: 69
; NamedBarCnt: 0
; Occupancy: 12
; WaveLimiterHint : 0
; COMPUTE_PGM_RSRC2:SCRATCH_EN: 0
; COMPUTE_PGM_RSRC2:USER_SGPR: 2
; COMPUTE_PGM_RSRC2:TRAP_HANDLER: 0
; COMPUTE_PGM_RSRC2:TGID_X_EN: 1
; COMPUTE_PGM_RSRC2:TGID_Y_EN: 1
; COMPUTE_PGM_RSRC2:TGID_Z_EN: 1
; COMPUTE_PGM_RSRC2:TIDIG_COMP_CNT: 0
	.section	.text._ZN4vllm4gptq33gemm_half_q_half_gptq_8bit_kernelILb1ELi4EEEvPK6__halfPKjS6_S4_PS2_iiiibPKi,"axG",@progbits,_ZN4vllm4gptq33gemm_half_q_half_gptq_8bit_kernelILb1ELi4EEEvPK6__halfPKjS6_S4_PS2_iiiibPKi,comdat
	.protected	_ZN4vllm4gptq33gemm_half_q_half_gptq_8bit_kernelILb1ELi4EEEvPK6__halfPKjS6_S4_PS2_iiiibPKi ; -- Begin function _ZN4vllm4gptq33gemm_half_q_half_gptq_8bit_kernelILb1ELi4EEEvPK6__halfPKjS6_S4_PS2_iiiibPKi
	.globl	_ZN4vllm4gptq33gemm_half_q_half_gptq_8bit_kernelILb1ELi4EEEvPK6__halfPKjS6_S4_PS2_iiiibPKi
	.p2align	8
	.type	_ZN4vllm4gptq33gemm_half_q_half_gptq_8bit_kernelILb1ELi4EEEvPK6__halfPKjS6_S4_PS2_iiiibPKi,@function
_ZN4vllm4gptq33gemm_half_q_half_gptq_8bit_kernelILb1ELi4EEEvPK6__halfPKjS6_S4_PS2_iiiibPKi: ; @_ZN4vllm4gptq33gemm_half_q_half_gptq_8bit_kernelILb1ELi4EEEvPK6__halfPKjS6_S4_PS2_iiiibPKi
; %bb.0:
	s_load_b128 s[4:7], s[0:1], 0x2c
	s_bfe_u32 s2, ttmp6, 0x40010
	s_and_b32 s3, ttmp7, 0xffff
	s_add_co_i32 s2, s2, 1
	s_bfe_u32 s9, ttmp6, 0x40014
	s_mul_i32 s2, s3, s2
	s_bfe_u32 s8, ttmp6, 0x40004
	s_lshr_b32 s10, ttmp7, 16
	s_add_co_i32 s9, s9, 1
	s_add_co_i32 s8, s8, s2
	s_mul_i32 s2, s10, s9
	s_bfe_u32 s9, ttmp6, 0x40008
	s_getreg_b32 s17, hwreg(HW_REG_IB_STS2, 6, 4)
	s_add_co_i32 s9, s9, s2
	s_cmp_eq_u32 s17, 0
	s_mov_b32 s12, exec_lo
	s_cselect_b32 s2, s10, s9
	s_cselect_b32 s8, s3, s8
	s_lshl_b32 s15, s2, 7
	s_lshl_b32 s14, s8, 2
	s_add_co_i32 s2, s15, 0x80
	s_delay_alu instid0(SALU_CYCLE_1) | instskip(SKIP_3) | instid1(VALU_DEP_1)
	v_cvt_f64_u32_e32 v[2:3], s2
	s_load_b64 s[2:3], s[0:1], 0x10
	s_wait_kmcnt 0x0
	v_cvt_f64_i32_e32 v[4:5], s5
	v_min_num_f64_e32 v[2:3], v[2:3], v[4:5]
	s_delay_alu instid0(VALU_DEP_1) | instskip(SKIP_1) | instid1(VALU_DEP_2)
	v_cvt_i32_f64_e32 v1, v[2:3]
	v_add_nc_u32_e32 v2, s15, v0
	v_readfirstlane_b32 s16, v1
	s_delay_alu instid0(VALU_DEP_2)
	v_cmpx_lt_u32_e64 v2, v1
	s_cbranch_execz .LBB30_10
; %bb.1:
	s_clause 0x1
	s_load_b64 s[10:11], s[0:1], 0x40
	s_load_b64 s[8:9], s[0:1], 0x0
	v_mov_b32_e32 v3, 0
	s_delay_alu instid0(VALU_DEP_1)
	v_mov_b64_e32 v[6:7], v[2:3]
	s_wait_kmcnt 0x0
	v_lshl_add_u64 v[4:5], v[2:3], 2, s[10:11]
	s_cmp_lg_u64 s[10:11], 0
	s_cselect_b32 s13, -1, 0
	s_cmp_eq_u64 s[10:11], 0
	s_cbranch_scc1 .LBB30_3
; %bb.2:
	global_load_b32 v6, v[4:5], off
	s_wait_loadcnt 0x0
	v_ashrrev_i32_e32 v7, 31, v6
.LBB30_3:
	s_mul_i32 s10, s14, s5
	v_cndmask_b32_e64 v8, 0, 1, s13
	s_ashr_i32 s11, s10, 31
	v_lshlrev_b32_e32 v1, 1, v0
	s_lshl_b64 s[18:19], s[10:11], 1
	s_and_not1_b32 vcc_lo, exec_lo, s13
	s_add_nc_u64 s[18:19], s[8:9], s[18:19]
	s_delay_alu instid0(SALU_CYCLE_1)
	v_lshl_add_u64 v[6:7], v[6:7], 1, s[18:19]
	global_load_u16 v9, v[6:7], off
	s_wait_xcnt 0x0
	v_mov_b64_e32 v[6:7], v[2:3]
	s_wait_loadcnt 0x0
	ds_store_b16 v1, v9
	s_cbranch_vccnz .LBB30_5
; %bb.4:
	global_load_b32 v6, v[4:5], off
	s_wait_loadcnt 0x0
	v_ashrrev_i32_e32 v7, 31, v6
.LBB30_5:
	s_add_co_i32 s10, s10, s5
	v_cmp_ne_u32_e32 vcc_lo, 1, v8
	s_ashr_i32 s11, s10, 31
	s_delay_alu instid0(SALU_CYCLE_1) | instskip(SKIP_2) | instid1(SALU_CYCLE_1)
	s_lshl_b64 s[18:19], s[10:11], 1
	s_and_b32 vcc_lo, exec_lo, vcc_lo
	s_add_nc_u64 s[18:19], s[8:9], s[18:19]
	v_lshl_add_u64 v[6:7], v[6:7], 1, s[18:19]
	global_load_u16 v9, v[6:7], off
	s_wait_xcnt 0x0
	v_mov_b64_e32 v[6:7], v[2:3]
	s_wait_loadcnt 0x0
	ds_store_b16 v1, v9 offset:256
	s_cbranch_vccnz .LBB30_7
; %bb.6:
	global_load_b32 v6, v[4:5], off
	s_wait_loadcnt 0x0
	v_ashrrev_i32_e32 v7, 31, v6
.LBB30_7:
	s_add_co_i32 s10, s10, s5
	v_cmp_ne_u32_e32 vcc_lo, 1, v8
	s_ashr_i32 s11, s10, 31
	s_delay_alu instid0(SALU_CYCLE_1) | instskip(SKIP_2) | instid1(SALU_CYCLE_1)
	s_lshl_b64 s[18:19], s[10:11], 1
	s_and_b32 vcc_lo, exec_lo, vcc_lo
	s_add_nc_u64 s[18:19], s[8:9], s[18:19]
	v_lshl_add_u64 v[6:7], v[6:7], 1, s[18:19]
	global_load_u16 v6, v[6:7], off
	s_wait_loadcnt 0x0
	ds_store_b16 v1, v6 offset:512
	s_cbranch_vccnz .LBB30_9
; %bb.8:
	global_load_b32 v2, v[4:5], off
	s_wait_loadcnt 0x0
	v_ashrrev_i32_e32 v3, 31, v2
.LBB30_9:
	s_add_co_i32 s10, s10, s5
	s_delay_alu instid0(SALU_CYCLE_1) | instskip(NEXT) | instid1(SALU_CYCLE_1)
	s_ashr_i32 s11, s10, 31
	s_lshl_b64 s[10:11], s[10:11], 1
	s_delay_alu instid0(SALU_CYCLE_1) | instskip(NEXT) | instid1(SALU_CYCLE_1)
	s_add_nc_u64 s[8:9], s[8:9], s[10:11]
	v_lshl_add_u64 v[2:3], v[2:3], 1, s[8:9]
	global_load_u16 v2, v[2:3], off
	s_wait_loadcnt 0x0
	ds_store_b16 v1, v2 offset:768
.LBB30_10:
	s_or_b32 exec_lo, exec_lo, s12
	s_clause 0x1
	s_load_b64 s[12:13], s[0:1], 0x8
	s_load_b128 s[8:11], s[0:1], 0x18
	s_wait_xcnt 0x0
	s_bfe_u32 s0, ttmp6, 0x4000c
	s_and_b32 s1, ttmp6, 15
	s_add_co_i32 s0, s0, 1
	v_lshlrev_b32_e32 v0, 2, v0
	s_mul_i32 s0, ttmp9, s0
	s_delay_alu instid0(SALU_CYCLE_1)
	s_add_co_i32 s1, s1, s0
	s_cmp_eq_u32 s17, 0
	s_cselect_b32 s0, ttmp9, s1
	s_mov_b32 s1, 0
	v_lshl_add_u32 v20, s0, 9, v0
	s_mov_b32 s0, exec_lo
	s_delay_alu instid0(VALU_DEP_1)
	v_cmpx_gt_i32_e64 s4, v20
	s_cbranch_execz .LBB30_32
; %bb.11:
	s_abs_i32 s17, s6
	v_dual_mov_b32 v10, 0 :: v_dual_mov_b32 v11, 0
	s_cvt_f32_u32 s0, s17
	v_dual_mov_b32 v38, 0 :: v_dual_mov_b32 v16, 0
	v_dual_mov_b32 v15, 0 :: v_dual_mov_b32 v14, 0
	s_delay_alu instid0(SALU_CYCLE_1)
	v_rcp_iflag_f32_e32 v0, s0
	v_dual_mov_b32 v13, 0 :: v_dual_mov_b32 v12, 0
	s_cmp_ge_i32 s15, s16
	s_wait_dscnt 0x0
	s_barrier_signal -1
	s_barrier_wait -1
	s_delay_alu instid0(TRANS32_DEP_1)
	v_readfirstlane_b32 s0, v0
	s_cbranch_scc1 .LBB30_16
; %bb.12:
	s_mul_f32 s0, s0, 0x4f7ffffe
	s_ashr_i32 s6, s6, 31
	v_dual_mov_b32 v14, 0 :: v_dual_ashrrev_i32 v21, 31, v20
	s_delay_alu instid0(SALU_CYCLE_1) | instskip(SKIP_2) | instid1(SALU_CYCLE_1)
	s_cvt_u32_f32 s18, s0
	s_sub_co_i32 s0, 0, s17
	v_dual_mov_b32 v15, 0 :: v_dual_mov_b32 v16, 0
	s_mul_i32 s19, s0, s18
	s_abs_i32 s0, s5
	s_mul_hi_u32 s20, s18, s19
	s_mov_b32 s19, s1
	s_add_co_i32 s18, s18, s20
	s_ashr_i32 s5, s5, 31
	s_mul_u64 s[18:19], s[0:1], s[18:19]
	s_xor_b32 s5, s5, s6
	s_mul_i32 s18, s19, s17
	s_add_co_i32 s6, s19, 1
	s_sub_co_i32 s0, s0, s18
	v_dual_mov_b32 v38, 0 :: v_dual_mov_b32 v11, 0
	s_sub_co_i32 s18, s0, s17
	s_cmp_ge_u32 s0, s17
	v_mov_b32_e32 v13, 0
	s_cselect_b32 s6, s6, s19
	s_cselect_b32 s0, s18, s0
	s_add_co_i32 s18, s6, 1
	s_cmp_ge_u32 s0, s17
	v_mov_b32_e32 v12, 0
	s_cselect_b32 s0, s18, s6
	v_mov_b32_e32 v10, 0
	s_xor_b32 s0, s0, s5
	s_delay_alu instid0(SALU_CYCLE_1)
	s_sub_co_i32 s0, s0, s5
	s_bitcmp1_b32 s7, 0
	s_cvt_f32_u32 s5, s0
	s_cselect_b32 s6, -1, 0
	s_sub_co_i32 s7, 0, s0
	s_xor_b32 s18, s6, -1
	v_rcp_iflag_f32_e32 v0, s5
	v_cndmask_b32_e64 v29, 0, 1, s18
	s_delay_alu instid0(TRANS32_DEP_1) | instskip(SKIP_1) | instid1(SALU_CYCLE_3)
	v_readfirstlane_b32 s5, v0
	s_mul_f32 s5, s5, 0x4f7ffffe
	s_cvt_u32_f32 s5, s5
	s_delay_alu instid0(SALU_CYCLE_3) | instskip(NEXT) | instid1(SALU_CYCLE_1)
	s_mul_i32 s7, s7, s5
	s_mul_hi_u32 s7, s5, s7
	s_delay_alu instid0(SALU_CYCLE_1) | instskip(NEXT) | instid1(SALU_CYCLE_1)
	s_add_co_i32 s5, s5, s7
	s_mul_hi_u32 s5, s15, s5
	s_delay_alu instid0(SALU_CYCLE_1) | instskip(NEXT) | instid1(SALU_CYCLE_1)
	s_mul_i32 s7, s5, s0
	s_sub_co_i32 s6, s15, s7
	s_add_co_i32 s7, s5, 1
	s_sub_co_i32 s17, s6, s0
	s_cmp_ge_u32 s6, s0
	s_cselect_b32 s5, s7, s5
	s_cselect_b32 s6, s17, s6
	s_add_co_i32 s7, s5, 1
	s_cmp_ge_u32 s6, s0
	s_cselect_b32 s17, s7, s5
	s_add_co_i32 s18, s0, s15
	s_mul_i32 s5, s17, s4
	s_delay_alu instid0(SALU_CYCLE_1) | instskip(SKIP_1) | instid1(SALU_CYCLE_1)
	v_dual_ashrrev_i32 v28, 2, v20 :: v_dual_add_nc_u32 v0, s5, v20
	s_ashr_i32 s6, s5, 31
	s_lshr_b32 s6, s6, 30
	s_delay_alu instid0(SALU_CYCLE_1) | instskip(NEXT) | instid1(VALU_DEP_1)
	s_add_co_i32 s6, s5, s6
	v_ashrrev_i32_e32 v1, 31, v0
	s_ashr_i32 s6, s6, 2
	s_lshr_b32 s5, s15, 2
	v_add_nc_u32_e32 v2, s6, v28
	s_mul_i32 s6, s4, s5
	s_wait_kmcnt 0x0
	v_lshl_add_u64 v[0:1], v[0:1], 1, s[8:9]
	s_ashr_i32 s7, s6, 31
	s_ashr_i32 s5, s4, 31
	global_load_b32 v2, v2, s[2:3] scale_offset
	s_lshl_b64 s[6:7], s[6:7], 2
	global_load_b64 v[22:23], v[0:1], off
	s_add_nc_u64 s[6:7], s[12:13], s[6:7]
	s_lshl_b64 s[12:13], s[4:5], 2
	v_lshl_add_u64 v[24:25], v[20:21], 2, s[6:7]
	s_lshl_b64 s[6:7], s[4:5], 5
	s_wait_loadcnt 0x1
	v_and_b32_e32 v21, 0xff, v2
	v_bfe_u32 v30, v2, 8, 8
	v_bfe_u32 v31, v2, 16, 8
	v_lshrrev_b32_e32 v32, 24, v2
	s_branch .LBB30_14
.LBB30_13:                              ;   in Loop: Header=BB30_14 Depth=1
	global_load_b128 v[40:43], v[24:25], off
	v_add_nc_u64_e32 v[8:9], s[12:13], v[24:25]
	v_dual_mov_b32 v33, s1 :: v_dual_add_nc_u32 v37, v21, v29
	v_dual_add_nc_u32 v36, v30, v29 :: v_dual_add_nc_u32 v35, v31, v29
	s_add_co_i32 s15, s15, 32
	s_add_co_i32 s1, s1, 64
	global_load_b128 v[44:47], v[8:9], off
	v_add_nc_u32_e32 v34, v32, v29
	ds_load_b128 v[4:7], v33
	s_wait_xcnt 0x2
	ds_load_b128 v[0:3], v33 offset:256
	s_wait_xcnt 0x0
	v_add_nc_u64_e32 v[8:9], s[12:13], v[8:9]
	v_add_nc_u64_e32 v[24:25], s[6:7], v[24:25]
	s_cmp_ge_i32 s15, s16
	s_wait_loadcnt 0x1
	v_and_b32_e32 v17, 0xff, v40
	v_bfe_u32 v18, v40, 8, 8
	v_bfe_u32 v19, v40, 16, 8
	v_lshrrev_b32_e32 v26, 24, v40
	v_and_b32_e32 v27, 0xff, v41
	v_bfe_u32 v39, v41, 8, 8
	v_bfe_u32 v40, v41, 16, 8
	v_lshrrev_b32_e32 v41, 24, v41
	;; [unrolled: 4-line block ×3, first 2 shown]
	v_and_b32_e32 v51, 0xff, v43
	v_bfe_u32 v52, v43, 8, 8
	v_bfe_u32 v53, v43, 16, 8
	v_dual_lshrrev_b32 v43, 24, v43 :: v_dual_sub_nc_u32 v17, v17, v37
	v_dual_sub_nc_u32 v26, v26, v37 :: v_dual_sub_nc_u32 v27, v27, v36
	v_dual_sub_nc_u32 v41, v41, v36 :: v_dual_sub_nc_u32 v48, v48, v35
	;; [unrolled: 1-line block ×7, first 2 shown]
	v_sub_nc_u32_e32 v43, v43, v34
	s_wait_loadcnt 0x0
	v_and_b32_e32 v54, 0xff, v44
	v_bfe_u32 v55, v44, 8, 8
	v_bfe_u32 v56, v44, 16, 8
	v_lshrrev_b32_e32 v44, 24, v44
	v_and_b32_e32 v57, 0xff, v45
	v_bfe_u32 v58, v45, 8, 8
	v_bfe_u32 v59, v45, 16, 8
	v_lshrrev_b32_e32 v45, 24, v45
	;; [unrolled: 4-line block ×3, first 2 shown]
	v_and_b32_e32 v63, 0xff, v47
	v_cvt_f32_i32_e32 v17, v17
	v_cvt_f32_i32_e32 v27, v27
	;; [unrolled: 1-line block ×4, first 2 shown]
	v_bfe_u32 v64, v47, 8, 8
	v_bfe_u32 v65, v47, 16, 8
	v_dual_lshrrev_b32 v47, 24, v47 :: v_dual_sub_nc_u32 v54, v54, v37
	v_cvt_f32_i32_e32 v18, v18
	v_cvt_f32_i32_e32 v19, v19
	;; [unrolled: 1-line block ×8, first 2 shown]
	v_dual_sub_nc_u32 v68, v55, v37 :: v_dual_sub_nc_u32 v69, v56, v37
	v_dual_sub_nc_u32 v70, v44, v37 :: v_dual_sub_nc_u32 v57, v57, v36
	;; [unrolled: 1-line block ×6, first 2 shown]
	v_cvt_f16_f32_e32 v60, v17
	v_cvt_f16_f32_e32 v61, v27
	;; [unrolled: 1-line block ×4, first 2 shown]
	v_cvt_f32_i32_e32 v40, v40
	v_cvt_f32_i32_e32 v50, v50
	;; [unrolled: 1-line block ×3, first 2 shown]
	v_dual_sub_nc_u32 v64, v64, v34 :: v_dual_sub_nc_u32 v65, v65, v34
	v_sub_nc_u32_e32 v79, v47, v34
	v_cvt_f16_f32_e32 v55, v18
	v_cvt_f16_f32_e32 v47, v19
	;; [unrolled: 1-line block ×8, first 2 shown]
	v_cvt_f32_i32_e32 v17, v54
	v_cvt_f32_i32_e32 v18, v68
	;; [unrolled: 1-line block ×10, first 2 shown]
	s_wait_dscnt 0x1
	v_fma_mix_f32 v74, v60, v4, 0 op_sel_hi:[1,1,0]
	v_fma_mix_f32 v75, v61, v4, 0 op_sel_hi:[1,1,0]
	;; [unrolled: 1-line block ×4, first 2 shown]
	v_cvt_f32_i32_e32 v41, v41
	v_cvt_f16_f32_e32 v48, v40
	v_cvt_f16_f32_e32 v50, v50
	v_cvt_f32_i32_e32 v40, v72
	v_cvt_f32_i32_e32 v72, v65
	v_cvt_f16_f32_e32 v65, v17
	v_cvt_f16_f32_e32 v17, v26
	;; [unrolled: 1-line block ×4, first 2 shown]
	v_fma_mix_f32 v26, v55, v4, v74 op_sel:[0,1,0] op_sel_hi:[1,1,0]
	v_fma_mix_f32 v27, v56, v4, v75 op_sel:[0,1,0] op_sel_hi:[1,1,0]
	;; [unrolled: 1-line block ×4, first 2 shown]
	v_cvt_f16_f32_e32 v44, v41
	v_cvt_f16_f32_e32 v46, v67
	v_cvt_f32_i32_e32 v70, v78
	v_fma_mix_f32 v26, v47, v5, v26 op_sel_hi:[1,1,0]
	v_fma_mix_f32 v27, v48, v5, v27 op_sel_hi:[1,1,0]
	;; [unrolled: 1-line block ×4, first 2 shown]
	v_cvt_f32_i32_e32 v71, v64
	v_cvt_f16_f32_e32 v49, v19
	v_cvt_f16_f32_e32 v67, v42
	;; [unrolled: 1-line block ×4, first 2 shown]
	v_fma_mix_f32 v26, v43, v5, v26 op_sel:[0,1,0] op_sel_hi:[1,1,0]
	v_fma_mix_f32 v27, v44, v5, v27 op_sel:[0,1,0] op_sel_hi:[1,1,0]
	;; [unrolled: 1-line block ×4, first 2 shown]
	v_cvt_f16_f32_e32 v54, v18
	v_cvt_f16_f32_e32 v64, v53
	;; [unrolled: 1-line block ×4, first 2 shown]
	v_fma_mix_f32 v5, v65, v6, v26 op_sel_hi:[1,1,0]
	v_fma_mix_f32 v26, v66, v6, v27 op_sel_hi:[1,1,0]
	;; [unrolled: 1-line block ×4, first 2 shown]
	v_cvt_f32_i32_e32 v41, v73
	v_cvt_f32_i32_e32 v73, v79
	v_cvt_f16_f32_e32 v51, v40
	v_cvt_f16_f32_e32 v42, v72
	v_fma_mix_f32 v5, v54, v6, v5 op_sel:[0,1,0] op_sel_hi:[1,1,0]
	v_fma_mix_f32 v26, v57, v6, v26 op_sel:[0,1,0] op_sel_hi:[1,1,0]
	;; [unrolled: 1-line block ×4, first 2 shown]
	v_cvt_f16_f32_e32 v18, v41
	v_cvt_f16_f32_e32 v41, v73
	v_fma_mix_f32 v5, v49, v7, v5 op_sel_hi:[1,1,0]
	v_fma_mix_f32 v6, v51, v7, v26 op_sel_hi:[1,1,0]
	v_fma_mix_f32 v26, v53, v7, v27 op_sel_hi:[1,1,0]
	v_fma_mix_f32 v4, v42, v7, v4 op_sel_hi:[1,1,0]
	s_wait_dscnt 0x0
	v_fma_mix_f32 v70, v60, v0, 0 op_sel_hi:[1,1,0]
	v_fma_mix_f32 v40, v17, v7, v5 op_sel:[0,1,0] op_sel_hi:[1,1,0]
	v_fma_mix_f32 v39, v18, v7, v6 op_sel:[0,1,0] op_sel_hi:[1,1,0]
	;; [unrolled: 1-line block ×4, first 2 shown]
	v_fma_mix_f32 v4, v61, v0, 0 op_sel_hi:[1,1,0]
	v_fma_mix_f32 v5, v62, v0, 0 op_sel_hi:[1,1,0]
	;; [unrolled: 1-line block ×3, first 2 shown]
	v_fma_mix_f32 v7, v55, v0, v70 op_sel:[0,1,0] op_sel_hi:[1,1,0]
	s_delay_alu instid0(VALU_DEP_4) | instskip(NEXT) | instid1(VALU_DEP_4)
	v_fma_mix_f32 v4, v56, v0, v4 op_sel:[0,1,0] op_sel_hi:[1,1,0]
	v_fma_mix_f32 v5, v58, v0, v5 op_sel:[0,1,0] op_sel_hi:[1,1,0]
	s_delay_alu instid0(VALU_DEP_4) | instskip(NEXT) | instid1(VALU_DEP_4)
	v_fma_mix_f32 v0, v59, v0, v6 op_sel:[0,1,0] op_sel_hi:[1,1,0]
	v_fma_mix_f32 v6, v47, v1, v7 op_sel_hi:[1,1,0]
	s_delay_alu instid0(VALU_DEP_4) | instskip(NEXT) | instid1(VALU_DEP_4)
	v_fma_mix_f32 v4, v48, v1, v4 op_sel_hi:[1,1,0]
	v_fma_mix_f32 v5, v50, v1, v5 op_sel_hi:[1,1,0]
	s_delay_alu instid0(VALU_DEP_4) | instskip(NEXT) | instid1(VALU_DEP_4)
	v_fma_mix_f32 v0, v52, v1, v0 op_sel_hi:[1,1,0]
	v_fma_mix_f32 v6, v43, v1, v6 op_sel:[0,1,0] op_sel_hi:[1,1,0]
	s_delay_alu instid0(VALU_DEP_4) | instskip(NEXT) | instid1(VALU_DEP_4)
	v_fma_mix_f32 v4, v44, v1, v4 op_sel:[0,1,0] op_sel_hi:[1,1,0]
	v_fma_mix_f32 v5, v45, v1, v5 op_sel:[0,1,0] op_sel_hi:[1,1,0]
	s_delay_alu instid0(VALU_DEP_4) | instskip(NEXT) | instid1(VALU_DEP_4)
	v_fma_mix_f32 v0, v46, v1, v0 op_sel:[0,1,0] op_sel_hi:[1,1,0]
	v_fma_mix_f32 v1, v65, v2, v6 op_sel_hi:[1,1,0]
	s_delay_alu instid0(VALU_DEP_4) | instskip(NEXT) | instid1(VALU_DEP_4)
	v_fma_mix_f32 v4, v66, v2, v4 op_sel_hi:[1,1,0]
	v_fma_mix_f32 v5, v67, v2, v5 op_sel_hi:[1,1,0]
	s_delay_alu instid0(VALU_DEP_4) | instskip(NEXT) | instid1(VALU_DEP_4)
	v_fma_mix_f32 v6, v69, v2, v0 op_sel_hi:[1,1,0]
	;; [unrolled: 12-line block ×3, first 2 shown]
	v_fma_mix_f32 v89, v17, v3, v0 op_sel:[0,1,0] op_sel_hi:[1,1,0]
	s_delay_alu instid0(VALU_DEP_4) | instskip(NEXT) | instid1(VALU_DEP_4)
	v_fma_mix_f32 v88, v18, v3, v1 op_sel:[0,1,0] op_sel_hi:[1,1,0]
	v_fma_mix_f32 v87, v19, v3, v4 op_sel:[0,1,0] op_sel_hi:[1,1,0]
	s_delay_alu instid0(VALU_DEP_4)
	v_fma_mix_f32 v86, v41, v3, v2 op_sel:[0,1,0] op_sel_hi:[1,1,0]
	global_load_b128 v[0:3], v[8:9], off
	ds_load_b128 v[4:7], v33 offset:512
	s_wait_xcnt 0x0
	v_add_nc_u64_e32 v[8:9], s[12:13], v[8:9]
	s_wait_loadcnt 0x0
	v_and_b32_e32 v85, 0xff, v0
	v_bfe_u32 v84, v0, 8, 8
	v_bfe_u32 v83, v0, 16, 8
	v_lshrrev_b32_e32 v82, 24, v0
	v_and_b32_e32 v80, 0xff, v1
	v_bfe_u32 v81, v1, 8, 8
	v_bfe_u32 v70, v1, 16, 8
	v_dual_lshrrev_b32 v71, 24, v1 :: v_dual_lshrrev_b32 v78, 24, v2
	v_and_b32_e32 v73, 0xff, v2
	v_bfe_u32 v79, v2, 8, 8
	v_bfe_u32 v72, v2, 16, 8
	v_and_b32_e32 v76, 0xff, v3
	v_bfe_u32 v77, v3, 8, 8
	v_bfe_u32 v75, v3, 16, 8
	v_lshrrev_b32_e32 v74, 24, v3
	ds_load_b128 v[0:3], v33 offset:768
	s_wait_dscnt 0x1
	v_fma_mix_f32 v90, v60, v4, 0 op_sel_hi:[1,1,0]
	s_delay_alu instid0(VALU_DEP_1) | instskip(SKIP_2) | instid1(VALU_DEP_1)
	v_fma_mix_f32 v90, v55, v4, v90 op_sel:[0,1,0] op_sel_hi:[1,1,0]
	s_wait_dscnt 0x0
	v_fma_mix_f32 v60, v60, v0, 0 op_sel_hi:[1,1,0]
	v_fma_mix_f32 v55, v55, v0, v60 op_sel:[0,1,0] op_sel_hi:[1,1,0]
	v_fma_mix_f32 v60, v61, v4, 0 op_sel_hi:[1,1,0]
	v_fma_mix_f32 v61, v61, v0, 0 op_sel_hi:[1,1,0]
	s_delay_alu instid0(VALU_DEP_2) | instskip(NEXT) | instid1(VALU_DEP_2)
	v_fma_mix_f32 v60, v56, v4, v60 op_sel:[0,1,0] op_sel_hi:[1,1,0]
	v_fma_mix_f32 v56, v56, v0, v61 op_sel:[0,1,0] op_sel_hi:[1,1,0]
	v_fma_mix_f32 v61, v62, v4, 0 op_sel_hi:[1,1,0]
	v_fma_mix_f32 v62, v62, v0, 0 op_sel_hi:[1,1,0]
	s_delay_alu instid0(VALU_DEP_2) | instskip(NEXT) | instid1(VALU_DEP_2)
	v_fma_mix_f32 v61, v58, v4, v61 op_sel:[0,1,0] op_sel_hi:[1,1,0]
	;; [unrolled: 5-line block ×3, first 2 shown]
	v_fma_mix_f32 v0, v59, v0, v63 op_sel:[0,1,0] op_sel_hi:[1,1,0]
	v_fma_mix_f32 v59, v47, v5, v90 op_sel_hi:[1,1,0]
	v_fma_mix_f32 v47, v47, v1, v55 op_sel_hi:[1,1,0]
	;; [unrolled: 1-line block ×8, first 2 shown]
	v_fma_mix_f32 v52, v43, v5, v59 op_sel:[0,1,0] op_sel_hi:[1,1,0]
	v_fma_mix_f32 v43, v43, v1, v47 op_sel:[0,1,0] op_sel_hi:[1,1,0]
	;; [unrolled: 1-line block ×8, first 2 shown]
	v_fma_mix_f32 v1, v65, v6, v52 op_sel_hi:[1,1,0]
	v_fma_mix_f32 v5, v65, v2, v43 op_sel_hi:[1,1,0]
	;; [unrolled: 1-line block ×8, first 2 shown]
	v_fma_mix_f32 v1, v54, v6, v1 op_sel:[0,1,0] op_sel_hi:[1,1,0]
	v_fma_mix_f32 v5, v54, v2, v5 op_sel:[0,1,0] op_sel_hi:[1,1,0]
	;; [unrolled: 1-line block ×8, first 2 shown]
	v_fma_mix_f32 v1, v49, v7, v1 op_sel_hi:[1,1,0]
	v_fma_mix_f32 v2, v49, v3, v5 op_sel_hi:[1,1,0]
	;; [unrolled: 1-line block ×7, first 2 shown]
	v_fma_mix_f32 v1, v17, v7, v1 op_sel:[0,1,0] op_sel_hi:[1,1,0]
	v_fma_mix_f32 v45, v18, v7, v5 op_sel:[0,1,0] op_sel_hi:[1,1,0]
	;; [unrolled: 1-line block ×4, first 2 shown]
	global_load_b128 v[4:7], v[8:9], off
	v_fma_mix_f32 v0, v42, v3, v0 op_sel_hi:[1,1,0]
	v_fma_mix_f32 v2, v17, v3, v2 op_sel:[0,1,0] op_sel_hi:[1,1,0]
	v_fma_mix_f32 v18, v18, v3, v43 op_sel:[0,1,0] op_sel_hi:[1,1,0]
	;; [unrolled: 1-line block ×3, first 2 shown]
	v_fma_mixlo_f16 v1, v1, v22, 0 op_sel_hi:[0,1,0]
	v_fma_mix_f32 v48, v41, v3, v0 op_sel:[0,1,0] op_sel_hi:[1,1,0]
	v_fma_mixlo_f16 v0, v40, v22, 0 op_sel_hi:[0,1,0]
	v_fma_mixlo_f16 v3, v39, v22, 0 op_sel:[0,1,0] op_sel_hi:[0,1,0]
	v_fma_mixlo_f16 v2, v2, v22, 0 op_sel_hi:[0,1,0]
	s_wait_xcnt 0x0
	v_add_nc_u64_e32 v[8:9], s[12:13], v[8:9]
	v_add_f16_e32 v61, v10, v0
	v_lshrrev_b32_e32 v0, 16, v10
	v_add_f16_e32 v39, v13, v2
	s_delay_alu instid0(VALU_DEP_2) | instskip(SKIP_2) | instid1(VALU_DEP_2)
	v_add_f16_e32 v63, v0, v3
	v_fma_mixlo_f16 v0, v27, v23, 0 op_sel_hi:[0,1,0]
	v_fma_mixlo_f16 v3, v26, v23, 0 op_sel:[0,1,0] op_sel_hi:[0,1,0]
	v_add_f16_e32 v69, v11, v0
	v_lshrrev_b32_e32 v0, 16, v11
	v_fma_mixlo_f16 v11, v47, v23, 0 op_sel:[0,1,0] op_sel_hi:[0,1,0]
	s_wait_loadcnt 0x0
	v_lshrrev_b32_e32 v68, 24, v7
	v_and_b32_e32 v42, 0xff, v4
	v_bfe_u32 v17, v4, 8, 8
	v_bfe_u32 v43, v4, 16, 8
	v_lshrrev_b32_e32 v44, 24, v4
	v_add_f16_e32 v4, v15, v1
	v_lshrrev_b32_e32 v1, 16, v14
	v_add_f16_e32 v58, v0, v3
	v_fma_mixlo_f16 v0, v89, v22, 0 op_sel_hi:[0,1,0]
	v_fma_mixlo_f16 v3, v88, v22, 0 op_sel:[0,1,0] op_sel_hi:[0,1,0]
	v_and_b32_e32 v57, 0xff, v7
	v_bfe_u32 v60, v7, 8, 8
	v_bfe_u32 v62, v7, 16, 8
	v_add_f16_e32 v59, v38, v0
	v_lshrrev_b32_e32 v0, 16, v38
	v_add_f16_e32 v38, v1, v11
	v_sub_nc_u32_e32 v11, v85, v37
	v_dual_lshrrev_b32 v52, 24, v5 :: v_dual_lshrrev_b32 v56, 24, v6
	s_delay_alu instid0(VALU_DEP_4)
	v_add_f16_e32 v7, v0, v3
	v_fma_mixlo_f16 v0, v87, v23, 0 op_sel_hi:[0,1,0]
	v_and_b32_e32 v53, 0xff, v6
	v_bfe_u32 v54, v6, 8, 8
	v_bfe_u32 v55, v6, 16, 8
	v_fma_mixlo_f16 v3, v86, v23, 0 op_sel:[0,1,0] op_sel_hi:[0,1,0]
	v_add_f16_e32 v6, v16, v0
	v_lshrrev_b32_e32 v0, 16, v16
	v_and_b32_e32 v49, 0xff, v5
	v_bfe_u32 v50, v5, 8, 8
	v_bfe_u32 v51, v5, 16, 8
	v_cvt_f32_i32_e32 v11, v11
	v_add_f16_e32 v5, v0, v3
	v_lshrrev_b32_e32 v0, 16, v15
	v_fma_mixlo_f16 v3, v45, v22, 0 op_sel:[0,1,0] op_sel_hi:[0,1,0]
	v_fma_mixlo_f16 v15, v18, v22, 0 op_sel:[0,1,0] op_sel_hi:[0,1,0]
	v_cvt_f16_f32_e32 v65, v11
	v_dual_sub_nc_u32 v11, v82, v37 :: v_dual_sub_nc_u32 v16, v44, v37
	s_delay_alu instid0(VALU_DEP_4)
	v_add_f16_e32 v27, v0, v3
	v_lshrrev_b32_e32 v0, 16, v13
	v_fma_mixlo_f16 v3, v46, v23, 0 op_sel_hi:[0,1,0]
	v_fma_mixlo_f16 v13, v19, v23, 0 op_sel_hi:[0,1,0]
	v_cvt_f32_i32_e32 v11, v11
	v_sub_nc_u32_e32 v26, v51, v36
	v_add_f16_e32 v40, v0, v15
	v_add_f16_e32 v10, v14, v3
	ds_load_b128 v[0:3], v33 offset:16
	v_sub_nc_u32_e32 v14, v84, v37
	v_add_f16_e32 v41, v12, v13
	v_dual_lshrrev_b32 v12, 16, v12 :: v_dual_sub_nc_u32 v13, v83, v37
	v_fma_mixlo_f16 v15, v48, v23, 0 op_sel:[0,1,0] op_sel_hi:[0,1,0]
	s_delay_alu instid0(VALU_DEP_4) | instskip(SKIP_1) | instid1(VALU_DEP_4)
	v_cvt_f32_i32_e32 v14, v14
	v_sub_nc_u32_e32 v48, v78, v35
	v_cvt_f32_i32_e32 v13, v13
	s_delay_alu instid0(VALU_DEP_4) | instskip(NEXT) | instid1(VALU_DEP_4)
	v_add_f16_e32 v19, v12, v15
	v_cvt_f16_f32_e32 v66, v14
	v_dual_sub_nc_u32 v14, v42, v37 :: v_dual_sub_nc_u32 v15, v17, v37
	s_delay_alu instid0(VALU_DEP_4) | instskip(NEXT) | instid1(VALU_DEP_2)
	v_cvt_f16_f32_e32 v64, v13
	v_cvt_f32_i32_e32 v15, v15
	s_wait_dscnt 0x0
	v_fma_mix_f32 v12, v65, v0, 0 op_sel_hi:[1,1,0]
	s_delay_alu instid0(VALU_DEP_2) | instskip(SKIP_1) | instid1(VALU_DEP_3)
	v_cvt_f16_f32_e32 v44, v15
	v_cvt_f32_i32_e32 v15, v16
	v_fma_mix_f32 v13, v66, v0, v12 op_sel:[0,1,0] op_sel_hi:[1,1,0]
	v_cvt_f16_f32_e32 v12, v11
	v_cvt_f32_i32_e32 v11, v14
	v_sub_nc_u32_e32 v14, v43, v37
	v_cvt_f16_f32_e32 v42, v15
	v_fma_mix_f32 v13, v64, v1, v13 op_sel_hi:[1,1,0]
	v_dual_sub_nc_u32 v15, v81, v36 :: v_dual_sub_nc_u32 v16, v70, v36
	v_cvt_f16_f32_e32 v11, v11
	v_cvt_f32_i32_e32 v14, v14
	s_delay_alu instid0(VALU_DEP_4) | instskip(NEXT) | instid1(VALU_DEP_4)
	v_fma_mix_f32 v13, v12, v1, v13 op_sel:[0,1,0] op_sel_hi:[1,1,0]
	v_cvt_f32_i32_e32 v15, v15
	v_cvt_f32_i32_e32 v17, v16
	s_delay_alu instid0(VALU_DEP_4) | instskip(NEXT) | instid1(VALU_DEP_4)
	v_cvt_f16_f32_e32 v43, v14
	v_fma_mix_f32 v13, v11, v2, v13 op_sel_hi:[1,1,0]
	v_sub_nc_u32_e32 v14, v80, v36
	s_delay_alu instid0(VALU_DEP_4)
	v_cvt_f16_f32_e32 v67, v17
	v_sub_nc_u32_e32 v17, v50, v36
	v_sub_nc_u32_e32 v50, v54, v35
	v_fma_mix_f32 v13, v44, v2, v13 op_sel:[0,1,0] op_sel_hi:[1,1,0]
	v_cvt_f32_i32_e32 v14, v14
	v_sub_nc_u32_e32 v54, v75, v34
	v_cvt_f32_i32_e32 v17, v17
	s_delay_alu instid0(VALU_DEP_4) | instskip(NEXT) | instid1(VALU_DEP_4)
	v_fma_mix_f32 v13, v43, v3, v13 op_sel_hi:[1,1,0]
	v_cvt_f16_f32_e32 v70, v14
	v_sub_nc_u32_e32 v14, v71, v36
	v_cvt_f16_f32_e32 v71, v15
	v_sub_nc_u32_e32 v15, v49, v36
	v_fma_mix_f32 v13, v42, v3, v13 op_sel:[0,1,0] op_sel_hi:[1,1,0]
	v_cvt_f16_f32_e32 v47, v17
	v_cvt_f32_i32_e32 v14, v14
	v_cvt_f32_i32_e32 v17, v26
	;; [unrolled: 1-line block ×3, first 2 shown]
	v_fma_mixlo_f16 v13, v13, v22, 0 op_sel_hi:[0,1,0]
	v_sub_nc_u32_e32 v26, v72, v35
	v_cvt_f16_f32_e32 v14, v14
	v_cvt_f16_f32_e32 v46, v17
	s_delay_alu instid0(VALU_DEP_4) | instskip(SKIP_1) | instid1(VALU_DEP_1)
	v_add_f16_e32 v16, v61, v13
	v_fma_mix_f32 v13, v70, v0, 0 op_sel_hi:[1,1,0]
	v_fma_mix_f32 v13, v71, v0, v13 op_sel:[0,1,0] op_sel_hi:[1,1,0]
	s_delay_alu instid0(VALU_DEP_1) | instskip(SKIP_1) | instid1(VALU_DEP_2)
	v_fma_mix_f32 v18, v67, v1, v13 op_sel_hi:[1,1,0]
	v_cvt_f16_f32_e32 v13, v15
	v_fma_mix_f32 v15, v14, v1, v18 op_sel:[0,1,0] op_sel_hi:[1,1,0]
	v_dual_sub_nc_u32 v18, v52, v36 :: v_dual_sub_nc_u32 v52, v55, v35
	s_delay_alu instid0(VALU_DEP_2) | instskip(NEXT) | instid1(VALU_DEP_2)
	v_fma_mix_f32 v15, v13, v2, v15 op_sel_hi:[1,1,0]
	v_cvt_f32_i32_e32 v17, v18
	v_sub_nc_u32_e32 v18, v79, v35
	s_delay_alu instid0(VALU_DEP_3) | instskip(NEXT) | instid1(VALU_DEP_3)
	v_fma_mix_f32 v15, v47, v2, v15 op_sel:[0,1,0] op_sel_hi:[1,1,0]
	v_cvt_f16_f32_e32 v45, v17
	v_sub_nc_u32_e32 v17, v73, v35
	s_delay_alu instid0(VALU_DEP_4) | instskip(NEXT) | instid1(VALU_DEP_4)
	v_cvt_f32_i32_e32 v18, v18
	v_fma_mix_f32 v15, v46, v3, v15 op_sel_hi:[1,1,0]
	s_delay_alu instid0(VALU_DEP_3) | instskip(NEXT) | instid1(VALU_DEP_3)
	v_cvt_f32_i32_e32 v17, v17
	v_cvt_f16_f32_e32 v72, v18
	v_cvt_f32_i32_e32 v18, v26
	s_delay_alu instid0(VALU_DEP_4) | instskip(NEXT) | instid1(VALU_DEP_4)
	v_fma_mix_f32 v15, v45, v3, v15 op_sel:[0,1,0] op_sel_hi:[1,1,0]
	v_cvt_f16_f32_e32 v73, v17
	s_delay_alu instid0(VALU_DEP_3) | instskip(NEXT) | instid1(VALU_DEP_3)
	v_cvt_f16_f32_e32 v26, v18
	v_fma_mixlo_f16 v15, v15, v22, 0 op_sel:[0,1,0] op_sel_hi:[0,1,0]
	v_cvt_f32_i32_e32 v18, v48
	v_sub_nc_u32_e32 v48, v53, v35
	v_sub_nc_u32_e32 v53, v77, v34
	s_delay_alu instid0(VALU_DEP_4) | instskip(SKIP_1) | instid1(VALU_DEP_3)
	v_add_f16_e32 v17, v63, v15
	v_fma_mix_f32 v15, v73, v0, 0 op_sel_hi:[1,1,0]
	v_cvt_f32_i32_e32 v53, v53
	s_delay_alu instid0(VALU_DEP_2) | instskip(SKIP_2) | instid1(VALU_DEP_4)
	v_fma_mix_f32 v49, v72, v0, v15 op_sel:[0,1,0] op_sel_hi:[1,1,0]
	v_cvt_f16_f32_e32 v15, v18
	v_cvt_f32_i32_e32 v18, v48
	v_cvt_f16_f32_e32 v61, v53
	v_sub_nc_u32_e32 v53, v74, v34
	v_fma_mix_f32 v48, v26, v1, v49 op_sel_hi:[1,1,0]
	v_cvt_f32_i32_e32 v49, v50
	v_cvt_f16_f32_e32 v51, v18
	s_delay_alu instid0(VALU_DEP_3) | instskip(SKIP_3) | instid1(VALU_DEP_4)
	v_fma_mix_f32 v18, v15, v1, v48 op_sel:[0,1,0] op_sel_hi:[1,1,0]
	v_cvt_f32_i32_e32 v48, v52
	v_sub_nc_u32_e32 v52, v56, v35
	v_cvt_f16_f32_e32 v50, v49
	v_fma_mix_f32 v18, v51, v2, v18 op_sel_hi:[1,1,0]
	s_delay_alu instid0(VALU_DEP_4) | instskip(NEXT) | instid1(VALU_DEP_4)
	v_cvt_f16_f32_e32 v49, v48
	v_cvt_f32_i32_e32 v48, v52
	v_sub_nc_u32_e32 v52, v76, v34
	ds_load_b128 v[74:77], v33 offset:272
	v_fma_mix_f32 v18, v50, v2, v18 op_sel:[0,1,0] op_sel_hi:[1,1,0]
	v_cvt_f16_f32_e32 v48, v48
	v_cvt_f32_i32_e32 v52, v52
	s_delay_alu instid0(VALU_DEP_3) | instskip(NEXT) | instid1(VALU_DEP_2)
	v_fma_mix_f32 v18, v49, v3, v18 op_sel_hi:[1,1,0]
	v_cvt_f16_f32_e32 v63, v52
	v_cvt_f32_i32_e32 v52, v54
	s_delay_alu instid0(VALU_DEP_3) | instskip(NEXT) | instid1(VALU_DEP_3)
	v_fma_mix_f32 v18, v48, v3, v18 op_sel:[0,1,0] op_sel_hi:[1,1,0]
	v_fma_mix_f32 v54, v63, v0, 0 op_sel_hi:[1,1,0]
	s_delay_alu instid0(VALU_DEP_3) | instskip(NEXT) | instid1(VALU_DEP_3)
	v_cvt_f16_f32_e32 v55, v52
	v_fma_mixlo_f16 v18, v18, v23, 0 op_sel_hi:[0,1,0]
	s_delay_alu instid0(VALU_DEP_3) | instskip(SKIP_3) | instid1(VALU_DEP_4)
	v_fma_mix_f32 v0, v61, v0, v54 op_sel:[0,1,0] op_sel_hi:[1,1,0]
	v_sub_nc_u32_e32 v54, v60, v34
	v_cvt_f32_i32_e32 v52, v53
	v_dual_sub_nc_u32 v53, v57, v34 :: v_dual_sub_nc_u32 v60, v62, v34
	v_fma_mix_f32 v0, v55, v1, v0 op_sel_hi:[1,1,0]
	v_add_f16_e32 v18, v69, v18
	s_delay_alu instid0(VALU_DEP_4) | instskip(NEXT) | instid1(VALU_DEP_4)
	v_cvt_f16_f32_e32 v56, v52
	v_cvt_f32_i32_e32 v52, v53
	v_cvt_f32_i32_e32 v53, v54
	s_delay_alu instid0(VALU_DEP_3) | instskip(NEXT) | instid1(VALU_DEP_3)
	v_fma_mix_f32 v0, v56, v1, v0 op_sel:[0,1,0] op_sel_hi:[1,1,0]
	v_cvt_f16_f32_e32 v57, v52
	s_delay_alu instid0(VALU_DEP_3) | instskip(SKIP_2) | instid1(VALU_DEP_4)
	v_cvt_f16_f32_e32 v54, v53
	v_cvt_f32_i32_e32 v1, v60
	v_sub_nc_u32_e32 v52, v68, v34
	v_fma_mix_f32 v0, v57, v2, v0 op_sel_hi:[1,1,0]
	s_delay_alu instid0(VALU_DEP_3) | instskip(NEXT) | instid1(VALU_DEP_3)
	v_cvt_f16_f32_e32 v53, v1
	v_cvt_f32_i32_e32 v1, v52
	s_delay_alu instid0(VALU_DEP_3) | instskip(NEXT) | instid1(VALU_DEP_2)
	v_fma_mix_f32 v0, v54, v2, v0 op_sel:[0,1,0] op_sel_hi:[1,1,0]
	v_cvt_f16_f32_e32 v52, v1
	s_delay_alu instid0(VALU_DEP_2) | instskip(NEXT) | instid1(VALU_DEP_1)
	v_fma_mix_f32 v0, v53, v3, v0 op_sel_hi:[1,1,0]
	v_fma_mix_f32 v0, v52, v3, v0 op_sel:[0,1,0] op_sel_hi:[1,1,0]
	s_delay_alu instid0(VALU_DEP_1) | instskip(NEXT) | instid1(VALU_DEP_1)
	v_fma_mixlo_f16 v0, v0, v23, 0 op_sel:[0,1,0] op_sel_hi:[0,1,0]
	v_add_f16_e32 v58, v58, v0
	s_wait_dscnt 0x0
	v_fma_mix_f32 v0, v65, v74, 0 op_sel_hi:[1,1,0]
	s_delay_alu instid0(VALU_DEP_1) | instskip(NEXT) | instid1(VALU_DEP_1)
	v_fma_mix_f32 v0, v66, v74, v0 op_sel:[0,1,0] op_sel_hi:[1,1,0]
	v_fma_mix_f32 v0, v64, v75, v0 op_sel_hi:[1,1,0]
	s_delay_alu instid0(VALU_DEP_1) | instskip(NEXT) | instid1(VALU_DEP_1)
	v_fma_mix_f32 v0, v12, v75, v0 op_sel:[0,1,0] op_sel_hi:[1,1,0]
	;; [unrolled: 3-line block ×4, first 2 shown]
	v_fma_mixlo_f16 v0, v0, v22, 0 op_sel_hi:[0,1,0]
	s_delay_alu instid0(VALU_DEP_1) | instskip(SKIP_1) | instid1(VALU_DEP_1)
	v_add_f16_e32 v59, v59, v0
	v_fma_mix_f32 v0, v70, v74, 0 op_sel_hi:[1,1,0]
	v_fma_mix_f32 v0, v71, v74, v0 op_sel:[0,1,0] op_sel_hi:[1,1,0]
	s_delay_alu instid0(VALU_DEP_1) | instskip(NEXT) | instid1(VALU_DEP_1)
	v_fma_mix_f32 v0, v67, v75, v0 op_sel_hi:[1,1,0]
	v_fma_mix_f32 v0, v14, v75, v0 op_sel:[0,1,0] op_sel_hi:[1,1,0]
	s_delay_alu instid0(VALU_DEP_1) | instskip(NEXT) | instid1(VALU_DEP_1)
	;; [unrolled: 3-line block ×4, first 2 shown]
	v_fma_mixlo_f16 v0, v0, v22, 0 op_sel:[0,1,0] op_sel_hi:[0,1,0]
	v_add_f16_e32 v60, v7, v0
	v_fma_mix_f32 v0, v73, v74, 0 op_sel_hi:[1,1,0]
	s_delay_alu instid0(VALU_DEP_1) | instskip(NEXT) | instid1(VALU_DEP_1)
	v_fma_mix_f32 v0, v72, v74, v0 op_sel:[0,1,0] op_sel_hi:[1,1,0]
	v_fma_mix_f32 v0, v26, v75, v0 op_sel_hi:[1,1,0]
	s_delay_alu instid0(VALU_DEP_1) | instskip(NEXT) | instid1(VALU_DEP_1)
	v_fma_mix_f32 v0, v15, v75, v0 op_sel:[0,1,0] op_sel_hi:[1,1,0]
	;; [unrolled: 3-line block ×4, first 2 shown]
	v_fma_mixlo_f16 v0, v0, v23, 0 op_sel_hi:[0,1,0]
	s_delay_alu instid0(VALU_DEP_1) | instskip(SKIP_1) | instid1(VALU_DEP_1)
	v_add_f16_e32 v62, v6, v0
	v_fma_mix_f32 v0, v63, v74, 0 op_sel_hi:[1,1,0]
	v_fma_mix_f32 v0, v61, v74, v0 op_sel:[0,1,0] op_sel_hi:[1,1,0]
	s_delay_alu instid0(VALU_DEP_1) | instskip(NEXT) | instid1(VALU_DEP_1)
	v_fma_mix_f32 v0, v55, v75, v0 op_sel_hi:[1,1,0]
	v_fma_mix_f32 v0, v56, v75, v0 op_sel:[0,1,0] op_sel_hi:[1,1,0]
	s_delay_alu instid0(VALU_DEP_1) | instskip(NEXT) | instid1(VALU_DEP_1)
	;; [unrolled: 3-line block ×3, first 2 shown]
	v_fma_mix_f32 v0, v53, v77, v0 op_sel_hi:[1,1,0]
	v_fma_mix_f32 v6, v52, v77, v0 op_sel:[0,1,0] op_sel_hi:[1,1,0]
	ds_load_b128 v[0:3], v33 offset:528
	v_fma_mixlo_f16 v6, v6, v23, 0 op_sel:[0,1,0] op_sel_hi:[0,1,0]
	s_delay_alu instid0(VALU_DEP_1) | instskip(SKIP_2) | instid1(VALU_DEP_1)
	v_add_f16_e32 v69, v5, v6
	s_wait_dscnt 0x0
	v_fma_mix_f32 v5, v65, v0, 0 op_sel_hi:[1,1,0]
	v_fma_mix_f32 v5, v66, v0, v5 op_sel:[0,1,0] op_sel_hi:[1,1,0]
	s_delay_alu instid0(VALU_DEP_1) | instskip(NEXT) | instid1(VALU_DEP_1)
	v_fma_mix_f32 v5, v64, v1, v5 op_sel_hi:[1,1,0]
	v_fma_mix_f32 v5, v12, v1, v5 op_sel:[0,1,0] op_sel_hi:[1,1,0]
	s_delay_alu instid0(VALU_DEP_1) | instskip(NEXT) | instid1(VALU_DEP_1)
	;; [unrolled: 3-line block ×4, first 2 shown]
	v_fma_mixlo_f16 v5, v5, v22, 0 op_sel_hi:[0,1,0]
	v_add_f16_e32 v68, v4, v5
	ds_load_b128 v[4:7], v33 offset:784
	s_wait_dscnt 0x0
	v_fma_mix_f32 v65, v65, v4, 0 op_sel_hi:[1,1,0]
	s_delay_alu instid0(VALU_DEP_1) | instskip(SKIP_2) | instid1(VALU_DEP_2)
	v_fma_mix_f32 v65, v66, v4, v65 op_sel:[0,1,0] op_sel_hi:[1,1,0]
	v_fma_mix_f32 v66, v70, v0, 0 op_sel_hi:[1,1,0]
	v_fma_mix_f32 v70, v70, v4, 0 op_sel_hi:[1,1,0]
	v_fma_mix_f32 v66, v71, v0, v66 op_sel:[0,1,0] op_sel_hi:[1,1,0]
	s_delay_alu instid0(VALU_DEP_2) | instskip(NEXT) | instid1(VALU_DEP_2)
	v_fma_mix_f32 v71, v71, v4, v70 op_sel:[0,1,0] op_sel_hi:[1,1,0]
	v_fma_mix_f32 v66, v67, v1, v66 op_sel_hi:[1,1,0]
	s_delay_alu instid0(VALU_DEP_1) | instskip(NEXT) | instid1(VALU_DEP_1)
	v_fma_mix_f32 v66, v14, v1, v66 op_sel:[0,1,0] op_sel_hi:[1,1,0]
	v_fma_mix_f32 v66, v13, v2, v66 op_sel_hi:[1,1,0]
	s_delay_alu instid0(VALU_DEP_1) | instskip(NEXT) | instid1(VALU_DEP_1)
	;; [unrolled: 3-line block ×3, first 2 shown]
	v_fma_mix_f32 v66, v45, v3, v66 op_sel:[0,1,0] op_sel_hi:[1,1,0]
	v_fma_mixlo_f16 v66, v66, v22, 0 op_sel:[0,1,0] op_sel_hi:[0,1,0]
	s_delay_alu instid0(VALU_DEP_1) | instskip(SKIP_4) | instid1(VALU_DEP_3)
	v_add_f16_e32 v70, v27, v66
	v_fma_mix_f32 v27, v64, v5, v65 op_sel_hi:[1,1,0]
	v_fma_mix_f32 v65, v73, v0, 0 op_sel_hi:[1,1,0]
	;; [unrolled: 1-line block ×4, first 2 shown]
	v_fma_mix_f32 v65, v72, v0, v65 op_sel:[0,1,0] op_sel_hi:[1,1,0]
	s_delay_alu instid0(VALU_DEP_1) | instskip(NEXT) | instid1(VALU_DEP_1)
	v_fma_mix_f32 v65, v26, v1, v65 op_sel_hi:[1,1,0]
	v_fma_mix_f32 v65, v15, v1, v65 op_sel:[0,1,0] op_sel_hi:[1,1,0]
	s_delay_alu instid0(VALU_DEP_1) | instskip(NEXT) | instid1(VALU_DEP_1)
	v_fma_mix_f32 v65, v51, v2, v65 op_sel_hi:[1,1,0]
	v_fma_mix_f32 v65, v50, v2, v65 op_sel:[0,1,0] op_sel_hi:[1,1,0]
	s_delay_alu instid0(VALU_DEP_1) | instskip(NEXT) | instid1(VALU_DEP_1)
	v_fma_mix_f32 v65, v49, v3, v65 op_sel_hi:[1,1,0]
	v_fma_mix_f32 v65, v48, v3, v65 op_sel:[0,1,0] op_sel_hi:[1,1,0]
	s_delay_alu instid0(VALU_DEP_1) | instskip(SKIP_3) | instid1(VALU_DEP_4)
	v_fma_mixlo_f16 v66, v65, v23, 0 op_sel_hi:[0,1,0]
	v_fma_mix_f32 v65, v72, v4, v67 op_sel:[0,1,0] op_sel_hi:[1,1,0]
	v_fma_mix_f32 v67, v63, v0, 0 op_sel_hi:[1,1,0]
	v_fma_mix_f32 v63, v63, v4, 0 op_sel_hi:[1,1,0]
	v_add_f16_e32 v71, v10, v66
	v_fma_mix_f32 v10, v12, v5, v27 op_sel:[0,1,0] op_sel_hi:[1,1,0]
	v_fma_mix_f32 v12, v14, v5, v64 op_sel:[0,1,0] op_sel_hi:[1,1,0]
	v_fma_mix_f32 v14, v26, v5, v65 op_sel_hi:[1,1,0]
	v_add_nc_u64_e32 v[26:27], s[12:13], v[8:9]
	v_fma_mix_f32 v0, v61, v0, v67 op_sel:[0,1,0] op_sel_hi:[1,1,0]
	v_fma_mix_f32 v64, v11, v6, v10 op_sel_hi:[1,1,0]
	global_load_b128 v[8:11], v[8:9], off
	v_fma_mix_f32 v65, v13, v6, v12 op_sel_hi:[1,1,0]
	v_fma_mix_f32 v66, v15, v5, v14 op_sel:[0,1,0] op_sel_hi:[1,1,0]
	v_fma_mix_f32 v0, v55, v1, v0 op_sel_hi:[1,1,0]
	global_load_b128 v[12:15], v[26:27], off
	v_fma_mix_f32 v4, v61, v4, v63 op_sel:[0,1,0] op_sel_hi:[1,1,0]
	v_fma_mix_f32 v0, v56, v1, v0 op_sel:[0,1,0] op_sel_hi:[1,1,0]
	v_fma_mix_f32 v1, v51, v6, v66 op_sel_hi:[1,1,0]
	s_delay_alu instid0(VALU_DEP_3) | instskip(NEXT) | instid1(VALU_DEP_3)
	v_fma_mix_f32 v4, v55, v5, v4 op_sel_hi:[1,1,0]
	v_fma_mix_f32 v0, v57, v2, v0 op_sel_hi:[1,1,0]
	s_delay_alu instid0(VALU_DEP_3) | instskip(NEXT) | instid1(VALU_DEP_3)
	v_fma_mix_f32 v1, v50, v6, v1 op_sel:[0,1,0] op_sel_hi:[1,1,0]
	v_fma_mix_f32 v4, v56, v5, v4 op_sel:[0,1,0] op_sel_hi:[1,1,0]
	s_delay_alu instid0(VALU_DEP_3)
	v_fma_mix_f32 v0, v54, v2, v0 op_sel:[0,1,0] op_sel_hi:[1,1,0]
	v_fma_mix_f32 v2, v44, v6, v64 op_sel:[0,1,0] op_sel_hi:[1,1,0]
	;; [unrolled: 1-line block ×3, first 2 shown]
	v_fma_mix_f32 v1, v49, v7, v1 op_sel_hi:[1,1,0]
	v_fma_mix_f32 v4, v57, v6, v4 op_sel_hi:[1,1,0]
	;; [unrolled: 1-line block ×5, first 2 shown]
	v_fma_mix_f32 v1, v48, v7, v1 op_sel:[0,1,0] op_sel_hi:[1,1,0]
	v_fma_mix_f32 v4, v54, v6, v4 op_sel:[0,1,0] op_sel_hi:[1,1,0]
	;; [unrolled: 1-line block ×5, first 2 shown]
	v_fma_mixlo_f16 v1, v1, v23, 0 op_sel_hi:[0,1,0]
	v_fma_mix_f32 v4, v53, v7, v4 op_sel_hi:[1,1,0]
	v_fma_mixlo_f16 v0, v0, v23, 0 op_sel:[0,1,0] op_sel_hi:[0,1,0]
	v_fma_mixlo_f16 v2, v2, v22, 0 op_sel_hi:[0,1,0]
	v_fma_mixlo_f16 v3, v3, v22, 0 op_sel:[0,1,0] op_sel_hi:[0,1,0]
	v_add_f16_e32 v41, v41, v1
	v_fma_mix_f32 v4, v52, v7, v4 op_sel:[0,1,0] op_sel_hi:[1,1,0]
	v_add_f16_e32 v42, v38, v0
	v_add_f16_e32 v43, v39, v2
	;; [unrolled: 1-line block ×3, first 2 shown]
	ds_load_b128 v[0:3], v33 offset:32
	v_fma_mixlo_f16 v4, v4, v23, 0 op_sel:[0,1,0] op_sel_hi:[0,1,0]
	s_delay_alu instid0(VALU_DEP_1)
	v_add_f16_e32 v45, v19, v4
	s_wait_loadcnt 0x1
	v_and_b32_e32 v5, 0xff, v8
	v_bfe_u32 v6, v8, 8, 8
	v_bfe_u32 v7, v8, 16, 8
	v_lshrrev_b32_e32 v8, 24, v8
	s_wait_loadcnt 0x0
	v_and_b32_e32 v73, 0xff, v15
	v_bfe_u32 v74, v15, 8, 8
	v_bfe_u32 v75, v15, 16, 8
	v_dual_lshrrev_b32 v15, 24, v15 :: v_dual_sub_nc_u32 v5, v5, v37
	v_dual_sub_nc_u32 v6, v6, v37 :: v_dual_sub_nc_u32 v7, v7, v37
	v_and_b32_e32 v38, 0xff, v12
	v_bfe_u32 v39, v12, 8, 8
	s_delay_alu instid0(VALU_DEP_4) | instskip(NEXT) | instid1(VALU_DEP_4)
	v_cvt_f32_i32_e32 v5, v5
	v_cvt_f32_i32_e32 v6, v6
	;; [unrolled: 1-line block ×3, first 2 shown]
	v_dual_sub_nc_u32 v7, v8, v37 :: v_dual_sub_nc_u32 v19, v38, v37
	s_delay_alu instid0(VALU_DEP_4) | instskip(NEXT) | instid1(VALU_DEP_4)
	v_cvt_f16_f32_e32 v5, v5
	v_cvt_f16_f32_e32 v6, v6
	s_delay_alu instid0(VALU_DEP_4) | instskip(NEXT) | instid1(VALU_DEP_4)
	v_cvt_f16_f32_e32 v4, v4
	v_cvt_f32_i32_e32 v7, v7
	v_bfe_u32 v40, v12, 16, 8
	s_wait_dscnt 0x0
	v_fma_mix_f32 v8, v5, v0, 0 op_sel_hi:[1,1,0]
	v_sub_nc_u32_e32 v38, v39, v37
	v_cvt_f32_i32_e32 v19, v19
	v_cvt_f16_f32_e32 v7, v7
	v_lshrrev_b32_e32 v12, 24, v12
	v_fma_mix_f32 v8, v6, v0, v8 op_sel:[0,1,0] op_sel_hi:[1,1,0]
	v_sub_nc_u32_e32 v39, v40, v37
	v_cvt_f32_i32_e32 v38, v38
	v_cvt_f16_f32_e32 v76, v19
	v_and_b32_e32 v48, 0xff, v9
	v_fma_mix_f32 v8, v4, v1, v8 op_sel_hi:[1,1,0]
	v_bfe_u32 v49, v9, 8, 8
	v_bfe_u32 v50, v9, 16, 8
	v_lshrrev_b32_e32 v9, 24, v9
	v_cvt_f16_f32_e32 v77, v38
	v_fma_mix_f32 v8, v7, v1, v8 op_sel:[0,1,0] op_sel_hi:[1,1,0]
	v_cvt_f32_i32_e32 v19, v39
	v_dual_sub_nc_u32 v12, v12, v37 :: v_dual_sub_nc_u32 v38, v50, v36
	v_and_b32_e32 v51, 0xff, v13
	s_delay_alu instid0(VALU_DEP_4) | instskip(NEXT) | instid1(VALU_DEP_4)
	v_fma_mix_f32 v8, v76, v2, v8 op_sel_hi:[1,1,0]
	v_cvt_f16_f32_e32 v47, v19
	v_sub_nc_u32_e32 v19, v49, v36
	v_cvt_f32_i32_e32 v12, v12
	v_sub_nc_u32_e32 v9, v9, v36
	v_fma_mix_f32 v8, v77, v2, v8 op_sel:[0,1,0] op_sel_hi:[1,1,0]
	v_bfe_u32 v52, v13, 8, 8
	v_cvt_f32_i32_e32 v19, v19
	v_cvt_f16_f32_e32 v46, v12
	v_sub_nc_u32_e32 v12, v48, v36
	v_fma_mix_f32 v8, v47, v3, v8 op_sel_hi:[1,1,0]
	v_bfe_u32 v53, v13, 16, 8
	v_cvt_f16_f32_e32 v78, v19
	v_lshrrev_b32_e32 v13, 24, v13
	v_cvt_f32_i32_e32 v12, v12
	v_fma_mix_f32 v8, v46, v3, v8 op_sel:[0,1,0] op_sel_hi:[1,1,0]
	v_sub_nc_u32_e32 v19, v53, v36
	v_and_b32_e32 v54, 0xff, v10
	v_bfe_u32 v55, v10, 8, 8
	v_cvt_f16_f32_e32 v40, v12
	v_fma_mixlo_f16 v8, v8, v22, 0 op_sel_hi:[0,1,0]
	v_cvt_f32_i32_e32 v12, v38
	v_bfe_u32 v56, v10, 16, 8
	v_dual_lshrrev_b32 v10, 24, v10 :: v_dual_sub_nc_u32 v13, v13, v36
	s_delay_alu instid0(VALU_DEP_4)
	v_add_f16_e32 v66, v16, v8
	v_fma_mix_f32 v8, v40, v0, 0 op_sel_hi:[1,1,0]
	v_cvt_f16_f32_e32 v79, v12
	v_sub_nc_u32_e32 v12, v51, v36
	v_cvt_f32_i32_e32 v9, v9
	v_sub_nc_u32_e32 v16, v52, v36
	v_fma_mix_f32 v8, v78, v0, v8 op_sel:[0,1,0] op_sel_hi:[1,1,0]
	v_and_b32_e32 v57, 0xff, v14
	v_cvt_f32_i32_e32 v12, v12
	v_cvt_f16_f32_e32 v9, v9
	v_cvt_f32_i32_e32 v16, v16
	v_fma_mix_f32 v8, v79, v1, v8 op_sel_hi:[1,1,0]
	v_sub_nc_u32_e32 v10, v10, v35
	v_cvt_f16_f32_e32 v80, v12
	v_cvt_f32_i32_e32 v12, v19
	v_cvt_f16_f32_e32 v81, v16
	v_fma_mix_f32 v8, v9, v1, v8 op_sel:[0,1,0] op_sel_hi:[1,1,0]
	v_sub_nc_u32_e32 v16, v56, v35
	v_bfe_u32 v61, v14, 8, 8
	v_cvt_f16_f32_e32 v49, v12
	v_cvt_f32_i32_e32 v12, v13
	v_fma_mix_f32 v8, v80, v2, v8 op_sel_hi:[1,1,0]
	v_sub_nc_u32_e32 v13, v55, v35
	v_bfe_u32 v63, v14, 16, 8
	v_lshrrev_b32_e32 v14, 24, v14
	v_cvt_f16_f32_e32 v48, v12
	v_fma_mix_f32 v8, v81, v2, v8 op_sel:[0,1,0] op_sel_hi:[1,1,0]
	v_sub_nc_u32_e32 v12, v54, v35
	v_cvt_f32_i32_e32 v13, v13
	v_and_b32_e32 v64, 0xff, v11
	v_bfe_u32 v65, v11, 8, 8
	v_fma_mix_f32 v8, v49, v3, v8 op_sel_hi:[1,1,0]
	v_cvt_f32_i32_e32 v12, v12
	v_cvt_f16_f32_e32 v83, v13
	v_bfe_u32 v72, v11, 16, 8
	v_lshrrev_b32_e32 v11, 24, v11
	v_fma_mix_f32 v8, v48, v3, v8 op_sel:[0,1,0] op_sel_hi:[1,1,0]
	v_cvt_f16_f32_e32 v82, v12
	v_cvt_f32_i32_e32 v12, v16
	s_delay_alu instid0(VALU_DEP_4) | instskip(NEXT) | instid1(VALU_DEP_4)
	v_dual_sub_nc_u32 v13, v61, v35 :: v_dual_sub_nc_u32 v11, v11, v34
	v_fma_mixlo_f16 v8, v8, v22, 0 op_sel:[0,1,0] op_sel_hi:[0,1,0]
	s_delay_alu instid0(VALU_DEP_3) | instskip(SKIP_2) | instid1(VALU_DEP_4)
	v_cvt_f16_f32_e32 v84, v12
	v_sub_nc_u32_e32 v12, v57, v35
	v_cvt_f32_i32_e32 v10, v10
	v_add_f16_e32 v67, v17, v8
	v_fma_mix_f32 v8, v82, v0, 0 op_sel_hi:[1,1,0]
	s_delay_alu instid0(VALU_DEP_3) | instskip(SKIP_1) | instid1(VALU_DEP_3)
	v_cvt_f16_f32_e32 v85, v10
	v_cvt_f32_i32_e32 v10, v12
	v_fma_mix_f32 v8, v83, v0, v8 op_sel:[0,1,0] op_sel_hi:[1,1,0]
	v_cvt_f32_i32_e32 v12, v13
	v_sub_nc_u32_e32 v13, v63, v35
	s_delay_alu instid0(VALU_DEP_4) | instskip(NEXT) | instid1(VALU_DEP_4)
	v_cvt_f16_f32_e32 v53, v10
	v_fma_mix_f32 v8, v84, v1, v8 op_sel_hi:[1,1,0]
	s_delay_alu instid0(VALU_DEP_4) | instskip(NEXT) | instid1(VALU_DEP_4)
	v_cvt_f16_f32_e32 v52, v12
	v_cvt_f32_i32_e32 v10, v13
	v_dual_sub_nc_u32 v12, v14, v35 :: v_dual_sub_nc_u32 v13, v72, v34
	s_delay_alu instid0(VALU_DEP_4) | instskip(NEXT) | instid1(VALU_DEP_3)
	v_fma_mix_f32 v8, v85, v1, v8 op_sel:[0,1,0] op_sel_hi:[1,1,0]
	v_cvt_f16_f32_e32 v51, v10
	s_delay_alu instid0(VALU_DEP_3) | instskip(SKIP_1) | instid1(VALU_DEP_4)
	v_cvt_f32_i32_e32 v10, v12
	v_sub_nc_u32_e32 v12, v65, v34
	v_fma_mix_f32 v8, v53, v2, v8 op_sel_hi:[1,1,0]
	s_delay_alu instid0(VALU_DEP_3) | instskip(SKIP_1) | instid1(VALU_DEP_3)
	v_cvt_f16_f32_e32 v50, v10
	v_sub_nc_u32_e32 v10, v64, v34
	v_fma_mix_f32 v8, v52, v2, v8 op_sel:[0,1,0] op_sel_hi:[1,1,0]
	v_cvt_f32_i32_e32 v12, v12
	s_delay_alu instid0(VALU_DEP_3) | instskip(NEXT) | instid1(VALU_DEP_3)
	v_cvt_f32_i32_e32 v10, v10
	v_fma_mix_f32 v8, v51, v3, v8 op_sel_hi:[1,1,0]
	s_delay_alu instid0(VALU_DEP_3) | instskip(NEXT) | instid1(VALU_DEP_3)
	v_cvt_f16_f32_e32 v87, v12
	v_cvt_f16_f32_e32 v86, v10
	s_delay_alu instid0(VALU_DEP_3) | instskip(SKIP_1) | instid1(VALU_DEP_2)
	v_fma_mix_f32 v8, v50, v3, v8 op_sel:[0,1,0] op_sel_hi:[1,1,0]
	v_cvt_f32_i32_e32 v10, v13
	v_fma_mixlo_f16 v8, v8, v23, 0 op_sel_hi:[0,1,0]
	s_delay_alu instid0(VALU_DEP_2) | instskip(NEXT) | instid1(VALU_DEP_2)
	v_cvt_f16_f32_e32 v57, v10
	v_add_f16_e32 v61, v18, v8
	v_fma_mix_f32 v8, v86, v0, 0 op_sel_hi:[1,1,0]
	ds_load_b128 v[16:19], v33 offset:544
	v_fma_mix_f32 v0, v87, v0, v8 op_sel:[0,1,0] op_sel_hi:[1,1,0]
	v_sub_nc_u32_e32 v8, v74, v34
	v_cvt_f32_i32_e32 v10, v11
	v_sub_nc_u32_e32 v11, v73, v34
	s_delay_alu instid0(VALU_DEP_4) | instskip(NEXT) | instid1(VALU_DEP_4)
	v_fma_mix_f32 v0, v57, v1, v0 op_sel_hi:[1,1,0]
	v_cvt_f32_i32_e32 v8, v8
	s_delay_alu instid0(VALU_DEP_4) | instskip(NEXT) | instid1(VALU_DEP_2)
	v_cvt_f16_f32_e32 v72, v10
	v_cvt_f16_f32_e32 v56, v8
	v_sub_nc_u32_e32 v8, v15, v34
	v_cvt_f32_i32_e32 v10, v11
	v_sub_nc_u32_e32 v11, v75, v34
	v_fma_mix_f32 v0, v72, v1, v0 op_sel:[0,1,0] op_sel_hi:[1,1,0]
	ds_load_b128 v[12:15], v33 offset:800
	v_cvt_f16_f32_e32 v73, v10
	v_cvt_f32_i32_e32 v1, v11
	s_delay_alu instid0(VALU_DEP_2) | instskip(NEXT) | instid1(VALU_DEP_2)
	v_fma_mix_f32 v0, v73, v2, v0 op_sel_hi:[1,1,0]
	v_cvt_f16_f32_e32 v55, v1
	v_cvt_f32_i32_e32 v1, v8
	s_delay_alu instid0(VALU_DEP_3) | instskip(NEXT) | instid1(VALU_DEP_2)
	v_fma_mix_f32 v0, v56, v2, v0 op_sel:[0,1,0] op_sel_hi:[1,1,0]
	v_cvt_f16_f32_e32 v54, v1
	s_delay_alu instid0(VALU_DEP_2) | instskip(NEXT) | instid1(VALU_DEP_1)
	v_fma_mix_f32 v0, v55, v3, v0 op_sel_hi:[1,1,0]
	v_fma_mix_f32 v8, v54, v3, v0 op_sel:[0,1,0] op_sel_hi:[1,1,0]
	ds_load_b128 v[0:3], v33 offset:288
	v_fma_mixlo_f16 v8, v8, v23, 0 op_sel:[0,1,0] op_sel_hi:[0,1,0]
	s_delay_alu instid0(VALU_DEP_1) | instskip(SKIP_2) | instid1(VALU_DEP_1)
	v_add_f16_e32 v63, v58, v8
	s_wait_dscnt 0x0
	v_fma_mix_f32 v8, v5, v0, 0 op_sel_hi:[1,1,0]
	v_fma_mix_f32 v8, v6, v0, v8 op_sel:[0,1,0] op_sel_hi:[1,1,0]
	s_delay_alu instid0(VALU_DEP_1) | instskip(NEXT) | instid1(VALU_DEP_1)
	v_fma_mix_f32 v8, v4, v1, v8 op_sel_hi:[1,1,0]
	v_fma_mix_f32 v8, v7, v1, v8 op_sel:[0,1,0] op_sel_hi:[1,1,0]
	s_delay_alu instid0(VALU_DEP_1) | instskip(NEXT) | instid1(VALU_DEP_1)
	;; [unrolled: 3-line block ×4, first 2 shown]
	v_fma_mixlo_f16 v8, v8, v22, 0 op_sel_hi:[0,1,0]
	v_add_f16_e32 v64, v59, v8
	v_fma_mix_f32 v8, v40, v0, 0 op_sel_hi:[1,1,0]
	s_delay_alu instid0(VALU_DEP_1) | instskip(NEXT) | instid1(VALU_DEP_1)
	v_fma_mix_f32 v8, v78, v0, v8 op_sel:[0,1,0] op_sel_hi:[1,1,0]
	v_fma_mix_f32 v8, v79, v1, v8 op_sel_hi:[1,1,0]
	s_delay_alu instid0(VALU_DEP_1) | instskip(NEXT) | instid1(VALU_DEP_1)
	v_fma_mix_f32 v8, v9, v1, v8 op_sel:[0,1,0] op_sel_hi:[1,1,0]
	;; [unrolled: 3-line block ×4, first 2 shown]
	v_fma_mixlo_f16 v8, v8, v22, 0 op_sel:[0,1,0] op_sel_hi:[0,1,0]
	s_delay_alu instid0(VALU_DEP_1) | instskip(SKIP_1) | instid1(VALU_DEP_1)
	v_add_f16_e32 v65, v60, v8
	v_fma_mix_f32 v8, v82, v0, 0 op_sel_hi:[1,1,0]
	v_fma_mix_f32 v8, v83, v0, v8 op_sel:[0,1,0] op_sel_hi:[1,1,0]
	s_delay_alu instid0(VALU_DEP_1) | instskip(NEXT) | instid1(VALU_DEP_1)
	v_fma_mix_f32 v8, v84, v1, v8 op_sel_hi:[1,1,0]
	v_fma_mix_f32 v8, v85, v1, v8 op_sel:[0,1,0] op_sel_hi:[1,1,0]
	s_delay_alu instid0(VALU_DEP_1) | instskip(NEXT) | instid1(VALU_DEP_1)
	;; [unrolled: 3-line block ×4, first 2 shown]
	v_fma_mixlo_f16 v8, v8, v23, 0 op_sel_hi:[0,1,0]
	v_add_f16_e32 v38, v62, v8
	v_fma_mix_f32 v8, v86, v0, 0 op_sel_hi:[1,1,0]
	s_delay_alu instid0(VALU_DEP_1) | instskip(NEXT) | instid1(VALU_DEP_1)
	v_fma_mix_f32 v0, v87, v0, v8 op_sel:[0,1,0] op_sel_hi:[1,1,0]
	v_fma_mix_f32 v0, v57, v1, v0 op_sel_hi:[1,1,0]
	s_delay_alu instid0(VALU_DEP_1) | instskip(SKIP_1) | instid1(VALU_DEP_2)
	v_fma_mix_f32 v0, v72, v1, v0 op_sel:[0,1,0] op_sel_hi:[1,1,0]
	v_fma_mix_f32 v1, v5, v16, 0 op_sel_hi:[1,1,0]
	v_fma_mix_f32 v0, v73, v2, v0 op_sel_hi:[1,1,0]
	s_delay_alu instid0(VALU_DEP_2) | instskip(NEXT) | instid1(VALU_DEP_2)
	v_fma_mix_f32 v1, v6, v16, v1 op_sel:[0,1,0] op_sel_hi:[1,1,0]
	v_fma_mix_f32 v0, v56, v2, v0 op_sel:[0,1,0] op_sel_hi:[1,1,0]
	v_fma_mix_f32 v2, v5, v12, 0 op_sel_hi:[1,1,0]
	s_delay_alu instid0(VALU_DEP_2) | instskip(NEXT) | instid1(VALU_DEP_2)
	v_fma_mix_f32 v0, v55, v3, v0 op_sel_hi:[1,1,0]
	v_fma_mix_f32 v2, v6, v12, v2 op_sel:[0,1,0] op_sel_hi:[1,1,0]
	s_delay_alu instid0(VALU_DEP_2) | instskip(SKIP_1) | instid1(VALU_DEP_2)
	v_fma_mix_f32 v0, v54, v3, v0 op_sel:[0,1,0] op_sel_hi:[1,1,0]
	v_fma_mix_f32 v3, v40, v12, 0 op_sel_hi:[1,1,0]
	v_fma_mixlo_f16 v0, v0, v23, 0 op_sel:[0,1,0] op_sel_hi:[0,1,0]
	s_delay_alu instid0(VALU_DEP_2) | instskip(NEXT) | instid1(VALU_DEP_2)
	v_fma_mix_f32 v3, v78, v12, v3 op_sel:[0,1,0] op_sel_hi:[1,1,0]
	v_add_f16_e32 v39, v69, v0
	v_fma_mix_f32 v0, v4, v17, v1 op_sel_hi:[1,1,0]
	v_fma_mix_f32 v1, v4, v13, v2 op_sel_hi:[1,1,0]
	;; [unrolled: 1-line block ×3, first 2 shown]
	s_delay_alu instid0(VALU_DEP_3) | instskip(NEXT) | instid1(VALU_DEP_3)
	v_fma_mix_f32 v0, v7, v17, v0 op_sel:[0,1,0] op_sel_hi:[1,1,0]
	v_fma_mix_f32 v4, v7, v13, v1 op_sel:[0,1,0] op_sel_hi:[1,1,0]
	v_fma_mix_f32 v1, v82, v16, 0 op_sel_hi:[1,1,0]
	s_delay_alu instid0(VALU_DEP_4) | instskip(NEXT) | instid1(VALU_DEP_4)
	v_fma_mix_f32 v2, v78, v16, v2 op_sel:[0,1,0] op_sel_hi:[1,1,0]
	v_fma_mix_f32 v0, v76, v18, v0 op_sel_hi:[1,1,0]
	s_delay_alu instid0(VALU_DEP_3) | instskip(NEXT) | instid1(VALU_DEP_2)
	v_fma_mix_f32 v1, v83, v16, v1 op_sel:[0,1,0] op_sel_hi:[1,1,0]
	v_fma_mix_f32 v0, v77, v18, v0 op_sel:[0,1,0] op_sel_hi:[1,1,0]
	s_delay_alu instid0(VALU_DEP_2) | instskip(NEXT) | instid1(VALU_DEP_2)
	v_fma_mix_f32 v1, v84, v17, v1 op_sel_hi:[1,1,0]
	v_fma_mix_f32 v0, v47, v19, v0 op_sel_hi:[1,1,0]
	s_delay_alu instid0(VALU_DEP_2) | instskip(NEXT) | instid1(VALU_DEP_2)
	v_fma_mix_f32 v1, v85, v17, v1 op_sel:[0,1,0] op_sel_hi:[1,1,0]
	v_fma_mix_f32 v0, v46, v19, v0 op_sel:[0,1,0] op_sel_hi:[1,1,0]
	s_delay_alu instid0(VALU_DEP_2) | instskip(NEXT) | instid1(VALU_DEP_2)
	v_fma_mix_f32 v1, v53, v18, v1 op_sel_hi:[1,1,0]
	v_fma_mixlo_f16 v0, v0, v22, 0 op_sel_hi:[0,1,0]
	s_delay_alu instid0(VALU_DEP_2) | instskip(NEXT) | instid1(VALU_DEP_2)
	v_fma_mix_f32 v1, v52, v18, v1 op_sel:[0,1,0] op_sel_hi:[1,1,0]
	v_add_f16_e32 v40, v68, v0
	v_fma_mix_f32 v0, v79, v17, v2 op_sel_hi:[1,1,0]
	s_delay_alu instid0(VALU_DEP_3) | instskip(SKIP_1) | instid1(VALU_DEP_3)
	v_fma_mix_f32 v1, v51, v19, v1 op_sel_hi:[1,1,0]
	v_fma_mix_f32 v2, v79, v13, v3 op_sel_hi:[1,1,0]
	v_fma_mix_f32 v0, v9, v17, v0 op_sel:[0,1,0] op_sel_hi:[1,1,0]
	s_delay_alu instid0(VALU_DEP_3) | instskip(NEXT) | instid1(VALU_DEP_3)
	v_fma_mix_f32 v1, v50, v19, v1 op_sel:[0,1,0] op_sel_hi:[1,1,0]
	v_fma_mix_f32 v2, v9, v13, v2 op_sel:[0,1,0] op_sel_hi:[1,1,0]
	s_delay_alu instid0(VALU_DEP_3) | instskip(NEXT) | instid1(VALU_DEP_3)
	v_fma_mix_f32 v0, v80, v18, v0 op_sel_hi:[1,1,0]
	v_fma_mixlo_f16 v5, v1, v23, 0 op_sel_hi:[0,1,0]
	s_delay_alu instid0(VALU_DEP_3) | instskip(NEXT) | instid1(VALU_DEP_3)
	v_fma_mix_f32 v2, v80, v14, v2 op_sel_hi:[1,1,0]
	v_fma_mix_f32 v0, v81, v18, v0 op_sel:[0,1,0] op_sel_hi:[1,1,0]
	s_delay_alu instid0(VALU_DEP_1) | instskip(NEXT) | instid1(VALU_DEP_1)
	v_fma_mix_f32 v0, v49, v19, v0 op_sel_hi:[1,1,0]
	v_fma_mix_f32 v0, v48, v19, v0 op_sel:[0,1,0] op_sel_hi:[1,1,0]
	s_delay_alu instid0(VALU_DEP_1) | instskip(SKIP_2) | instid1(VALU_DEP_3)
	v_fma_mixlo_f16 v3, v0, v22, 0 op_sel:[0,1,0] op_sel_hi:[0,1,0]
	v_add_nc_u64_e32 v[0:1], s[12:13], v[26:27]
	v_add_f16_e32 v27, v71, v5
	v_add_f16_e32 v26, v70, v3
	v_fma_mix_f32 v3, v76, v14, v4 op_sel_hi:[1,1,0]
	v_fma_mix_f32 v4, v82, v12, 0 op_sel_hi:[1,1,0]
	global_load_b128 v[8:11], v[0:1], off
	s_wait_xcnt 0x0
	v_add_nc_u64_e32 v[0:1], s[12:13], v[0:1]
	v_fma_mix_f32 v58, v83, v12, v4 op_sel:[0,1,0] op_sel_hi:[1,1,0]
	global_load_b128 v[4:7], v[0:1], off
	s_wait_xcnt 0x0
	v_fma_mix_f32 v1, v86, v16, 0 op_sel_hi:[1,1,0]
	v_fma_mix_f32 v0, v84, v13, v58 op_sel_hi:[1,1,0]
	s_delay_alu instid0(VALU_DEP_2) | instskip(NEXT) | instid1(VALU_DEP_1)
	v_fma_mix_f32 v1, v87, v16, v1 op_sel:[0,1,0] op_sel_hi:[1,1,0]
	v_fma_mix_f32 v1, v57, v17, v1 op_sel_hi:[1,1,0]
	s_delay_alu instid0(VALU_DEP_1) | instskip(SKIP_1) | instid1(VALU_DEP_2)
	v_fma_mix_f32 v1, v72, v17, v1 op_sel:[0,1,0] op_sel_hi:[1,1,0]
	v_fma_mix_f32 v17, v86, v12, 0 op_sel_hi:[1,1,0]
	v_fma_mix_f32 v1, v73, v18, v1 op_sel_hi:[1,1,0]
	s_delay_alu instid0(VALU_DEP_2) | instskip(SKIP_2) | instid1(VALU_DEP_4)
	v_fma_mix_f32 v58, v87, v12, v17 op_sel:[0,1,0] op_sel_hi:[1,1,0]
	v_fma_mix_f32 v17, v81, v14, v2 op_sel:[0,1,0] op_sel_hi:[1,1,0]
	;; [unrolled: 1-line block ×5, first 2 shown]
	v_fma_mix_f32 v57, v57, v13, v58 op_sel_hi:[1,1,0]
	v_fma_mix_f32 v17, v49, v15, v17 op_sel_hi:[1,1,0]
	;; [unrolled: 1-line block ×5, first 2 shown]
	v_fma_mix_f32 v13, v72, v13, v57 op_sel:[0,1,0] op_sel_hi:[1,1,0]
	v_fma_mix_f32 v17, v48, v15, v17 op_sel:[0,1,0] op_sel_hi:[1,1,0]
	;; [unrolled: 1-line block ×5, first 2 shown]
	v_fma_mix_f32 v13, v73, v14, v13 op_sel_hi:[1,1,0]
	v_fma_mixlo_f16 v17, v17, v22, 0 op_sel:[0,1,0] op_sel_hi:[0,1,0]
	v_fma_mixlo_f16 v19, v12, v22, 0 op_sel_hi:[0,1,0]
	v_fma_mixlo_f16 v16, v16, v23, 0 op_sel:[0,1,0] op_sel_hi:[0,1,0]
	v_fma_mix_f32 v18, v51, v15, v18 op_sel_hi:[1,1,0]
	v_fma_mix_f32 v46, v56, v14, v13 op_sel:[0,1,0] op_sel_hi:[1,1,0]
	v_add_f16_e32 v14, v44, v17
	v_add_f16_e32 v13, v43, v19
	;; [unrolled: 1-line block ×3, first 2 shown]
	v_fma_mix_f32 v18, v50, v15, v18 op_sel:[0,1,0] op_sel_hi:[1,1,0]
	v_fma_mix_f32 v16, v55, v15, v46 op_sel_hi:[1,1,0]
	ds_load_b128 v[0:3], v33 offset:48
	v_fma_mixlo_f16 v17, v18, v23, 0 op_sel_hi:[0,1,0]
	v_fma_mix_f32 v16, v54, v15, v16 op_sel:[0,1,0] op_sel_hi:[1,1,0]
	s_delay_alu instid0(VALU_DEP_2) | instskip(NEXT) | instid1(VALU_DEP_2)
	v_add_f16_e32 v15, v41, v17
	v_fma_mixlo_f16 v16, v16, v23, 0 op_sel:[0,1,0] op_sel_hi:[0,1,0]
	s_wait_loadcnt 0x1
	v_and_b32_e32 v18, 0xff, v8
	v_bfe_u32 v19, v8, 8, 8
	v_bfe_u32 v42, v8, 16, 8
	;; [unrolled: 1-line block ×3, first 2 shown]
	s_delay_alu instid0(VALU_DEP_3) | instskip(NEXT) | instid1(VALU_DEP_3)
	v_dual_sub_nc_u32 v17, v18, v37 :: v_dual_sub_nc_u32 v18, v19, v37
	v_sub_nc_u32_e32 v19, v42, v37
	s_wait_loadcnt 0x0
	v_bfe_u32 v68, v7, 8, 8
	s_delay_alu instid0(VALU_DEP_3) | instskip(SKIP_2) | instid1(VALU_DEP_3)
	v_cvt_f32_i32_e32 v17, v17
	v_cvt_f32_i32_e32 v18, v18
	;; [unrolled: 1-line block ×3, first 2 shown]
	v_cvt_f16_f32_e32 v52, v17
	v_and_b32_e32 v17, 0xff, v4
	v_lshrrev_b32_e32 v41, 24, v8
	v_add_f16_e32 v8, v45, v16
	v_cvt_f16_f32_e32 v43, v18
	v_cvt_f16_f32_e32 v42, v19
	v_sub_nc_u32_e32 v17, v17, v37
	v_sub_nc_u32_e32 v16, v41, v37
	v_bfe_u32 v18, v4, 8, 8
	v_bfe_u32 v19, v4, 16, 8
	v_lshrrev_b32_e32 v4, 24, v4
	v_cvt_f32_i32_e32 v17, v17
	v_cvt_f32_i32_e32 v16, v16
	v_and_b32_e32 v45, 0xff, v5
	s_delay_alu instid0(VALU_DEP_2) | instskip(SKIP_4) | instid1(VALU_DEP_4)
	v_cvt_f16_f32_e32 v41, v16
	v_dual_sub_nc_u32 v16, v18, v37 :: v_dual_sub_nc_u32 v18, v19, v37
	v_and_b32_e32 v19, 0xff, v9
	v_sub_nc_u32_e32 v4, v4, v37
	v_cvt_f16_f32_e32 v37, v17
	v_cvt_f32_i32_e32 v16, v16
	v_cvt_f32_i32_e32 v18, v18
	v_sub_nc_u32_e32 v44, v19, v36
	v_cvt_f32_i32_e32 v4, v4
	s_delay_alu instid0(VALU_DEP_4) | instskip(NEXT) | instid1(VALU_DEP_4)
	v_cvt_f16_f32_e32 v19, v16
	v_cvt_f16_f32_e32 v18, v18
	s_delay_alu instid0(VALU_DEP_4) | instskip(NEXT) | instid1(VALU_DEP_4)
	v_cvt_f32_i32_e32 v16, v44
	v_cvt_f16_f32_e32 v17, v4
	v_bfe_u32 v4, v9, 8, 8
	v_bfe_u32 v44, v9, 16, 8
	v_lshrrev_b32_e32 v9, 24, v9
	v_cvt_f16_f32_e32 v56, v16
	s_delay_alu instid0(VALU_DEP_4) | instskip(NEXT) | instid1(VALU_DEP_3)
	v_sub_nc_u32_e32 v4, v4, v36
	v_dual_sub_nc_u32 v16, v44, v36 :: v_dual_sub_nc_u32 v9, v9, v36
	v_sub_nc_u32_e32 v44, v45, v36
	v_bfe_u32 v45, v5, 8, 8
	s_delay_alu instid0(VALU_DEP_4) | instskip(NEXT) | instid1(VALU_DEP_4)
	v_cvt_f32_i32_e32 v4, v4
	v_cvt_f32_i32_e32 v16, v16
	;; [unrolled: 1-line block ×3, first 2 shown]
	s_delay_alu instid0(VALU_DEP_3)
	v_cvt_f16_f32_e32 v48, v4
	v_sub_nc_u32_e32 v4, v45, v36
	v_cvt_f32_i32_e32 v44, v44
	v_cvt_f16_f32_e32 v47, v16
	v_cvt_f16_f32_e32 v46, v9
	v_bfe_u32 v9, v5, 16, 8
	v_cvt_f32_i32_e32 v4, v4
	v_lshrrev_b32_e32 v5, 24, v5
	v_and_b32_e32 v16, 0xff, v10
	v_cvt_f16_f32_e32 v45, v44
	v_sub_nc_u32_e32 v9, v9, v36
	v_cvt_f16_f32_e32 v44, v4
	s_delay_alu instid0(VALU_DEP_4) | instskip(SKIP_3) | instid1(VALU_DEP_4)
	v_dual_sub_nc_u32 v4, v5, v36 :: v_dual_sub_nc_u32 v5, v16, v35
	v_sub_nc_u32_e32 v16, v49, v35
	v_bfe_u32 v49, v10, 16, 8
	v_cvt_f32_i32_e32 v9, v9
	v_cvt_f32_i32_e32 v4, v4
	;; [unrolled: 1-line block ×3, first 2 shown]
	s_delay_alu instid0(VALU_DEP_4)
	v_sub_nc_u32_e32 v49, v49, v35
	v_cvt_f32_i32_e32 v16, v16
	v_cvt_f16_f32_e32 v36, v9
	v_cvt_f16_f32_e32 v9, v4
	;; [unrolled: 1-line block ×3, first 2 shown]
	v_lshrrev_b32_e32 v4, 24, v10
	v_cvt_f16_f32_e32 v53, v16
	v_cvt_f32_i32_e32 v5, v49
	v_and_b32_e32 v10, 0xff, v6
	v_bfe_u32 v16, v6, 8, 8
	v_bfe_u32 v49, v6, 16, 8
	v_lshrrev_b32_e32 v6, 24, v6
	v_cvt_f16_f32_e32 v54, v5
	v_dual_sub_nc_u32 v5, v10, v35 :: v_dual_sub_nc_u32 v4, v4, v35
	s_delay_alu instid0(VALU_DEP_4) | instskip(NEXT) | instid1(VALU_DEP_2)
	v_dual_sub_nc_u32 v10, v16, v35 :: v_dual_sub_nc_u32 v16, v49, v35
	v_cvt_f32_i32_e32 v5, v5
	s_delay_alu instid0(VALU_DEP_3) | instskip(NEXT) | instid1(VALU_DEP_3)
	v_cvt_f32_i32_e32 v4, v4
	v_cvt_f32_i32_e32 v10, v10
	s_delay_alu instid0(VALU_DEP_4) | instskip(NEXT) | instid1(VALU_DEP_4)
	v_cvt_f32_i32_e32 v16, v16
	v_cvt_f16_f32_e32 v51, v5
	s_delay_alu instid0(VALU_DEP_4)
	v_cvt_f16_f32_e32 v55, v4
	s_wait_dscnt 0x0
	v_fma_mix_f32 v5, v52, v0, 0 op_sel_hi:[1,1,0]
	v_cvt_f16_f32_e32 v49, v16
	v_bfe_u32 v16, v11, 8, 8
	v_sub_nc_u32_e32 v4, v6, v35
	v_fma_mix_f32 v6, v56, v0, 0 op_sel_hi:[1,1,0]
	v_fma_mix_f32 v5, v43, v0, v5 op_sel:[0,1,0] op_sel_hi:[1,1,0]
	v_cvt_f16_f32_e32 v50, v10
	v_and_b32_e32 v10, 0xff, v11
	v_cvt_f32_i32_e32 v4, v4
	s_delay_alu instid0(VALU_DEP_4) | instskip(NEXT) | instid1(VALU_DEP_2)
	v_fma_mix_f32 v5, v42, v1, v5 op_sel_hi:[1,1,0]
	v_cvt_f16_f32_e32 v35, v4
	v_fma_mix_f32 v4, v48, v0, v6 op_sel:[0,1,0] op_sel_hi:[1,1,0]
	s_delay_alu instid0(VALU_DEP_3) | instskip(SKIP_2) | instid1(VALU_DEP_4)
	v_fma_mix_f32 v5, v41, v1, v5 op_sel:[0,1,0] op_sel_hi:[1,1,0]
	v_dual_sub_nc_u32 v6, v10, v34 :: v_dual_sub_nc_u32 v10, v16, v34
	v_bfe_u32 v16, v11, 16, 8
	v_fma_mix_f32 v4, v47, v1, v4 op_sel_hi:[1,1,0]
	s_delay_alu instid0(VALU_DEP_4) | instskip(NEXT) | instid1(VALU_DEP_4)
	v_fma_mix_f32 v5, v37, v2, v5 op_sel_hi:[1,1,0]
	v_cvt_f32_i32_e32 v10, v10
	s_delay_alu instid0(VALU_DEP_4) | instskip(NEXT) | instid1(VALU_DEP_4)
	v_sub_nc_u32_e32 v16, v16, v34
	v_fma_mix_f32 v4, v46, v1, v4 op_sel:[0,1,0] op_sel_hi:[1,1,0]
	v_cvt_f32_i32_e32 v6, v6
	v_fma_mix_f32 v5, v19, v2, v5 op_sel:[0,1,0] op_sel_hi:[1,1,0]
	v_cvt_f16_f32_e32 v59, v10
	v_lshrrev_b32_e32 v10, 24, v11
	v_fma_mix_f32 v4, v45, v2, v4 op_sel_hi:[1,1,0]
	v_cvt_f16_f32_e32 v60, v6
	v_cvt_f32_i32_e32 v6, v16
	v_and_b32_e32 v11, 0xff, v7
	v_fma_mix_f32 v5, v18, v3, v5 op_sel_hi:[1,1,0]
	v_fma_mix_f32 v4, v44, v2, v4 op_sel:[0,1,0] op_sel_hi:[1,1,0]
	s_delay_alu instid0(VALU_DEP_4) | instskip(NEXT) | instid1(VALU_DEP_4)
	v_cvt_f16_f32_e32 v58, v6
	v_dual_sub_nc_u32 v62, v11, v34 :: v_dual_sub_nc_u32 v16, v10, v34
	v_lshrrev_b32_e32 v11, 24, v7
	s_delay_alu instid0(VALU_DEP_4)
	v_fma_mix_f32 v70, v36, v3, v4 op_sel_hi:[1,1,0]
	v_bfe_u32 v10, v7, 16, 8
	v_fma_mix_f32 v69, v17, v3, v5 op_sel:[0,1,0] op_sel_hi:[1,1,0]
	ds_load_b128 v[4:7], v33 offset:304
	v_cvt_f32_i32_e32 v16, v16
	v_fma_mix_f32 v70, v9, v3, v70 op_sel:[0,1,0] op_sel_hi:[1,1,0]
	v_sub_nc_u32_e32 v71, v68, v34
	v_cvt_f32_i32_e32 v62, v62
	v_fma_mixlo_f16 v72, v69, v22, 0 op_sel_hi:[0,1,0]
	v_cvt_f16_f32_e32 v69, v16
	v_fma_mixlo_f16 v70, v70, v22, 0 op_sel:[0,1,0] op_sel_hi:[0,1,0]
	v_cvt_f32_i32_e32 v16, v71
	v_fma_mix_f32 v71, v60, v0, 0 op_sel_hi:[1,1,0]
	v_cvt_f16_f32_e32 v68, v62
	v_add_f16_e32 v66, v66, v72
	v_add_f16_e32 v67, v67, v70
	v_fma_mix_f32 v70, v57, v0, 0 op_sel_hi:[1,1,0]
	v_cvt_f16_f32_e32 v62, v16
	v_dual_sub_nc_u32 v16, v10, v34 :: v_dual_sub_nc_u32 v11, v11, v34
	s_delay_alu instid0(VALU_DEP_4) | instskip(NEXT) | instid1(VALU_DEP_4)
	v_pack_b32_f16 v10, v66, v67
	v_fma_mix_f32 v34, v53, v0, v70 op_sel:[0,1,0] op_sel_hi:[1,1,0]
	v_fma_mix_f32 v0, v59, v0, v71 op_sel:[0,1,0] op_sel_hi:[1,1,0]
	s_wait_dscnt 0x0
	v_fma_mix_f32 v66, v52, v4, 0 op_sel_hi:[1,1,0]
	v_fma_mix_f32 v67, v56, v4, 0 op_sel_hi:[1,1,0]
	v_cvt_f32_i32_e32 v16, v16
	v_fma_mix_f32 v34, v54, v1, v34 op_sel_hi:[1,1,0]
	v_fma_mix_f32 v0, v58, v1, v0 op_sel_hi:[1,1,0]
	v_fma_mix_f32 v66, v43, v4, v66 op_sel:[0,1,0] op_sel_hi:[1,1,0]
	v_fma_mix_f32 v67, v48, v4, v67 op_sel:[0,1,0] op_sel_hi:[1,1,0]
	v_cvt_f32_i32_e32 v11, v11
	v_fma_mix_f32 v70, v55, v1, v34 op_sel:[0,1,0] op_sel_hi:[1,1,0]
	v_fma_mix_f32 v0, v69, v1, v0 op_sel:[0,1,0] op_sel_hi:[1,1,0]
	v_cvt_f16_f32_e32 v34, v16
	v_fma_mix_f32 v1, v42, v5, v66 op_sel_hi:[1,1,0]
	v_fma_mix_f32 v16, v47, v5, v67 op_sel_hi:[1,1,0]
	;; [unrolled: 1-line block ×4, first 2 shown]
	s_delay_alu instid0(VALU_DEP_4) | instskip(NEXT) | instid1(VALU_DEP_4)
	v_fma_mix_f32 v1, v41, v5, v1 op_sel:[0,1,0] op_sel_hi:[1,1,0]
	v_fma_mix_f32 v16, v46, v5, v16 op_sel:[0,1,0] op_sel_hi:[1,1,0]
	s_delay_alu instid0(VALU_DEP_4) | instskip(NEXT) | instid1(VALU_DEP_4)
	v_fma_mix_f32 v67, v50, v2, v66 op_sel:[0,1,0] op_sel_hi:[1,1,0]
	v_fma_mix_f32 v0, v62, v2, v0 op_sel:[0,1,0] op_sel_hi:[1,1,0]
	v_cvt_f16_f32_e32 v66, v11
	v_fma_mix_f32 v1, v37, v6, v1 op_sel_hi:[1,1,0]
	v_fma_mix_f32 v2, v45, v6, v16 op_sel_hi:[1,1,0]
	;; [unrolled: 1-line block ×4, first 2 shown]
	s_delay_alu instid0(VALU_DEP_4) | instskip(NEXT) | instid1(VALU_DEP_4)
	v_fma_mix_f32 v16, v19, v6, v1 op_sel:[0,1,0] op_sel_hi:[1,1,0]
	v_fma_mix_f32 v67, v44, v6, v2 op_sel:[0,1,0] op_sel_hi:[1,1,0]
	s_delay_alu instid0(VALU_DEP_4) | instskip(NEXT) | instid1(VALU_DEP_4)
	v_fma_mix_f32 v11, v35, v3, v11 op_sel:[0,1,0] op_sel_hi:[1,1,0]
	v_fma_mix_f32 v70, v66, v3, v0 op_sel:[0,1,0] op_sel_hi:[1,1,0]
	ds_load_b128 v[0:3], v33 offset:560
	v_fma_mix_f32 v16, v18, v7, v16 op_sel_hi:[1,1,0]
	v_fma_mix_f32 v67, v36, v7, v67 op_sel_hi:[1,1,0]
	v_fma_mixlo_f16 v11, v11, v23, 0 op_sel_hi:[0,1,0]
	v_fma_mixlo_f16 v70, v70, v23, 0 op_sel:[0,1,0] op_sel_hi:[0,1,0]
	s_delay_alu instid0(VALU_DEP_4) | instskip(NEXT) | instid1(VALU_DEP_4)
	v_fma_mix_f32 v16, v17, v7, v16 op_sel:[0,1,0] op_sel_hi:[1,1,0]
	v_fma_mix_f32 v67, v9, v7, v67 op_sel:[0,1,0] op_sel_hi:[1,1,0]
	s_delay_alu instid0(VALU_DEP_4)
	v_add_f16_e32 v11, v61, v11
	v_fma_mix_f32 v61, v57, v4, 0 op_sel_hi:[1,1,0]
	v_add_f16_e32 v63, v63, v70
	v_fma_mix_f32 v70, v60, v4, 0 op_sel_hi:[1,1,0]
	v_fma_mixlo_f16 v16, v16, v22, 0 op_sel_hi:[0,1,0]
	v_fma_mixlo_f16 v67, v67, v22, 0 op_sel:[0,1,0] op_sel_hi:[0,1,0]
	v_fma_mix_f32 v71, v53, v4, v61 op_sel:[0,1,0] op_sel_hi:[1,1,0]
	v_pack_b32_f16 v11, v11, v63
	v_fma_mix_f32 v4, v59, v4, v70 op_sel:[0,1,0] op_sel_hi:[1,1,0]
	v_add_f16_e32 v16, v64, v16
	v_add_f16_e32 v61, v65, v67
	v_fma_mix_f32 v63, v54, v5, v71 op_sel_hi:[1,1,0]
	s_wait_dscnt 0x0
	v_fma_mix_f32 v64, v52, v0, 0 op_sel_hi:[1,1,0]
	v_fma_mix_f32 v65, v56, v0, 0 op_sel_hi:[1,1,0]
	;; [unrolled: 1-line block ×4, first 2 shown]
	v_fma_mix_f32 v63, v55, v5, v63 op_sel:[0,1,0] op_sel_hi:[1,1,0]
	v_fma_mix_f32 v64, v43, v0, v64 op_sel:[0,1,0] op_sel_hi:[1,1,0]
	;; [unrolled: 1-line block ×5, first 2 shown]
	v_fma_mix_f32 v5, v51, v6, v63 op_sel_hi:[1,1,0]
	v_fma_mix_f32 v63, v42, v1, v64 op_sel_hi:[1,1,0]
	v_fma_mix_f32 v64, v47, v1, v65 op_sel_hi:[1,1,0]
	v_fma_mix_f32 v4, v68, v6, v4 op_sel_hi:[1,1,0]
	v_fma_mix_f32 v65, v54, v1, v67 op_sel_hi:[1,1,0]
	v_fma_mix_f32 v5, v50, v6, v5 op_sel:[0,1,0] op_sel_hi:[1,1,0]
	v_fma_mix_f32 v63, v41, v1, v63 op_sel:[0,1,0] op_sel_hi:[1,1,0]
	;; [unrolled: 1-line block ×5, first 2 shown]
	v_fma_mix_f32 v5, v49, v7, v5 op_sel_hi:[1,1,0]
	v_fma_mix_f32 v6, v37, v2, v63 op_sel_hi:[1,1,0]
	;; [unrolled: 1-line block ×5, first 2 shown]
	v_fma_mix_f32 v63, v35, v7, v5 op_sel:[0,1,0] op_sel_hi:[1,1,0]
	v_fma_mix_f32 v65, v19, v2, v6 op_sel:[0,1,0] op_sel_hi:[1,1,0]
	;; [unrolled: 1-line block ×4, first 2 shown]
	ds_load_b128 v[4:7], v33 offset:816
	v_fma_mixlo_f16 v63, v63, v23, 0 op_sel_hi:[0,1,0]
	v_fma_mix_f32 v33, v18, v3, v65 op_sel_hi:[1,1,0]
	v_fma_mix_f32 v70, v50, v2, v70 op_sel:[0,1,0] op_sel_hi:[1,1,0]
	v_fma_mixlo_f16 v64, v64, v23, 0 op_sel:[0,1,0] op_sel_hi:[0,1,0]
	v_fma_mix_f32 v65, v36, v3, v67 op_sel_hi:[1,1,0]
	v_add_f16_e32 v63, v38, v63
	v_fma_mix_f32 v33, v17, v3, v33 op_sel:[0,1,0] op_sel_hi:[1,1,0]
	v_pack_b32_f16 v38, v16, v61
	v_add_f16_e32 v39, v39, v64
	v_fma_mix_f32 v67, v49, v3, v70 op_sel_hi:[1,1,0]
	v_fma_mix_f32 v65, v9, v3, v65 op_sel:[0,1,0] op_sel_hi:[1,1,0]
	v_fma_mixlo_f16 v33, v33, v22, 0 op_sel_hi:[0,1,0]
	s_delay_alu instid0(VALU_DEP_4) | instskip(SKIP_2) | instid1(VALU_DEP_4)
	v_pack_b32_f16 v16, v63, v39
	v_fma_mix_f32 v39, v60, v0, 0 op_sel_hi:[1,1,0]
	v_fma_mix_f32 v67, v35, v3, v67 op_sel:[0,1,0] op_sel_hi:[1,1,0]
	v_add_f16_e32 v33, v40, v33
	v_fma_mixlo_f16 v64, v65, v22, 0 op_sel:[0,1,0] op_sel_hi:[0,1,0]
	s_wait_dscnt 0x0
	v_fma_mix_f32 v40, v52, v4, 0 op_sel_hi:[1,1,0]
	v_fma_mix_f32 v52, v56, v4, 0 op_sel_hi:[1,1,0]
	v_fma_mix_f32 v56, v57, v4, 0 op_sel_hi:[1,1,0]
	v_fma_mix_f32 v57, v60, v4, 0 op_sel_hi:[1,1,0]
	v_fma_mix_f32 v0, v59, v0, v39 op_sel:[0,1,0] op_sel_hi:[1,1,0]
	v_fma_mix_f32 v39, v43, v4, v40 op_sel:[0,1,0] op_sel_hi:[1,1,0]
	v_fma_mix_f32 v40, v48, v4, v52 op_sel:[0,1,0] op_sel_hi:[1,1,0]
	v_fma_mix_f32 v43, v53, v4, v56 op_sel:[0,1,0] op_sel_hi:[1,1,0]
	v_fma_mix_f32 v4, v59, v4, v57 op_sel:[0,1,0] op_sel_hi:[1,1,0]
	v_fma_mix_f32 v0, v58, v1, v0 op_sel_hi:[1,1,0]
	v_fma_mix_f32 v39, v42, v5, v39 op_sel_hi:[1,1,0]
	v_fma_mix_f32 v40, v47, v5, v40 op_sel_hi:[1,1,0]
	v_fma_mix_f32 v42, v54, v5, v43 op_sel_hi:[1,1,0]
	v_fma_mix_f32 v4, v58, v5, v4 op_sel_hi:[1,1,0]
	v_fma_mix_f32 v0, v69, v1, v0 op_sel:[0,1,0] op_sel_hi:[1,1,0]
	v_fma_mix_f32 v1, v41, v5, v39 op_sel:[0,1,0] op_sel_hi:[1,1,0]
	v_fma_mix_f32 v39, v46, v5, v40 op_sel:[0,1,0] op_sel_hi:[1,1,0]
	v_fma_mix_f32 v40, v55, v5, v42 op_sel:[0,1,0] op_sel_hi:[1,1,0]
	v_fma_mix_f32 v4, v69, v5, v4 op_sel:[0,1,0] op_sel_hi:[1,1,0]
	v_fma_mix_f32 v0, v68, v2, v0 op_sel_hi:[1,1,0]
	;; [unrolled: 10-line block ×3, first 2 shown]
	v_fma_mix_f32 v1, v18, v7, v1 op_sel_hi:[1,1,0]
	v_fma_mix_f32 v2, v36, v7, v2 op_sel_hi:[1,1,0]
	;; [unrolled: 1-line block ×4, first 2 shown]
	v_fma_mix_f32 v0, v66, v3, v0 op_sel:[0,1,0] op_sel_hi:[1,1,0]
	v_fma_mix_f32 v1, v17, v7, v1 op_sel:[0,1,0] op_sel_hi:[1,1,0]
	;; [unrolled: 1-line block ×5, first 2 shown]
	v_fma_mixlo_f16 v65, v67, v23, 0 op_sel_hi:[0,1,0]
	v_fma_mixlo_f16 v0, v0, v23, 0 op_sel:[0,1,0] op_sel_hi:[0,1,0]
	v_fma_mixlo_f16 v1, v1, v22, 0 op_sel_hi:[0,1,0]
	v_fma_mixlo_f16 v2, v2, v22, 0 op_sel:[0,1,0] op_sel_hi:[0,1,0]
	;; [unrolled: 2-line block ×3, first 2 shown]
	v_add_f16_e32 v26, v26, v64
	v_add_f16_e32 v27, v27, v65
	;; [unrolled: 1-line block ×7, first 2 shown]
	v_pack_b32_f16 v15, v33, v26
	v_pack_b32_f16 v14, v27, v0
	;; [unrolled: 1-line block ×3, first 2 shown]
	s_delay_alu instid0(VALU_DEP_4)
	v_pack_b32_f16 v12, v3, v4
	s_cbranch_scc1 .LBB30_16
.LBB30_14:                              ; =>This Inner Loop Header: Depth=1
	s_cmp_lg_u32 s15, s18
	s_cbranch_scc1 .LBB30_13
; %bb.15:                               ;   in Loop: Header=BB30_14 Depth=1
	s_add_co_i32 s17, s17, 1
	s_add_co_i32 s18, s18, s0
	s_mul_i32 s5, s17, s4
	s_delay_alu instid0(SALU_CYCLE_1) | instskip(SKIP_3) | instid1(SALU_CYCLE_1)
	s_ashr_i32 s19, s5, 31
	s_wait_xcnt 0x0
	v_add_nc_u32_e32 v0, s5, v20
	s_lshr_b32 s19, s19, 30
	s_add_co_i32 s19, s5, s19
	s_delay_alu instid0(SALU_CYCLE_1) | instskip(NEXT) | instid1(SALU_CYCLE_1)
	s_ashr_i32 s5, s19, 2
	v_add_nc_u32_e32 v2, s5, v28
	global_load_b32 v2, v2, s[2:3] scale_offset
	s_wait_loadcnt 0x0
	v_dual_lshrrev_b32 v32, 24, v2 :: v_dual_ashrrev_i32 v1, 31, v0
	v_and_b32_e32 v21, 0xff, v2
	v_bfe_u32 v30, v2, 8, 8
	v_bfe_u32 v31, v2, 16, 8
	s_delay_alu instid0(VALU_DEP_4)
	v_lshl_add_u64 v[0:1], v[0:1], 1, s[8:9]
	global_load_b64 v[22:23], v[0:1], off
	s_branch .LBB30_13
.LBB30_16:
	v_mad_u32 v0, s14, s4, v20
	s_mov_b32 s0, 0
	s_delay_alu instid0(VALU_DEP_1) | instskip(SKIP_1) | instid1(VALU_DEP_1)
	v_ashrrev_i32_e32 v1, 31, v0
	s_wait_kmcnt 0x0
	v_lshl_add_u64 v[2:3], v[0:1], 1, s[10:11]
	global_load_b32 v5, v[2:3], off
.LBB30_17:                              ; =>This Inner Loop Header: Depth=1
	s_wait_loadcnt 0x0
	v_pk_add_f16 v4, v10, v5
	global_atomic_cmpswap_b32 v1, v[2:3], v[4:5], off th:TH_ATOMIC_RETURN scope:SCOPE_DEV
	s_wait_loadcnt 0x0
	v_cmp_eq_u32_e32 vcc_lo, v5, v1
	v_mov_b32_e32 v5, v1
	s_or_b32 s0, vcc_lo, s0
	s_delay_alu instid0(SALU_CYCLE_1)
	s_and_not1_b32 exec_lo, exec_lo, s0
	s_cbranch_execnz .LBB30_17
; %bb.18:
	s_or_b32 exec_lo, exec_lo, s0
	global_load_b32 v5, v[2:3], off offset:4
	s_mov_b32 s0, 0
.LBB30_19:                              ; =>This Inner Loop Header: Depth=1
	s_wait_loadcnt 0x0
	v_pk_add_f16 v4, v11, v5
	global_atomic_cmpswap_b32 v1, v[2:3], v[4:5], off offset:4 th:TH_ATOMIC_RETURN scope:SCOPE_DEV
	s_wait_loadcnt 0x0
	v_cmp_eq_u32_e32 vcc_lo, v5, v1
	v_mov_b32_e32 v5, v1
	s_or_b32 s0, vcc_lo, s0
	s_delay_alu instid0(SALU_CYCLE_1)
	s_and_not1_b32 exec_lo, exec_lo, s0
	s_cbranch_execnz .LBB30_19
; %bb.20:
	s_or_b32 exec_lo, exec_lo, s0
	v_add_nc_u32_e32 v0, s4, v0
	s_mov_b32 s0, 0
	s_delay_alu instid0(VALU_DEP_1) | instskip(NEXT) | instid1(VALU_DEP_1)
	v_ashrrev_i32_e32 v1, 31, v0
	v_lshl_add_u64 v[2:3], v[0:1], 1, s[10:11]
	global_load_b32 v5, v[2:3], off
.LBB30_21:                              ; =>This Inner Loop Header: Depth=1
	s_wait_loadcnt 0x0
	v_pk_add_f16 v4, v38, v5
	global_atomic_cmpswap_b32 v1, v[2:3], v[4:5], off th:TH_ATOMIC_RETURN scope:SCOPE_DEV
	s_wait_loadcnt 0x0
	v_cmp_eq_u32_e32 vcc_lo, v5, v1
	v_mov_b32_e32 v5, v1
	s_or_b32 s0, vcc_lo, s0
	s_delay_alu instid0(SALU_CYCLE_1)
	s_and_not1_b32 exec_lo, exec_lo, s0
	s_cbranch_execnz .LBB30_21
; %bb.22:
	s_or_b32 exec_lo, exec_lo, s0
	global_load_b32 v5, v[2:3], off offset:4
	s_mov_b32 s0, 0
.LBB30_23:                              ; =>This Inner Loop Header: Depth=1
	s_wait_loadcnt 0x0
	v_pk_add_f16 v4, v16, v5
	global_atomic_cmpswap_b32 v1, v[2:3], v[4:5], off offset:4 th:TH_ATOMIC_RETURN scope:SCOPE_DEV
	s_wait_loadcnt 0x0
	v_cmp_eq_u32_e32 vcc_lo, v5, v1
	v_mov_b32_e32 v5, v1
	s_or_b32 s0, vcc_lo, s0
	s_delay_alu instid0(SALU_CYCLE_1)
	s_and_not1_b32 exec_lo, exec_lo, s0
	s_cbranch_execnz .LBB30_23
; %bb.24:
	s_or_b32 exec_lo, exec_lo, s0
	v_add_nc_u32_e32 v0, s4, v0
	s_mov_b32 s0, 0
	s_delay_alu instid0(VALU_DEP_1) | instskip(NEXT) | instid1(VALU_DEP_1)
	v_ashrrev_i32_e32 v1, 31, v0
	v_lshl_add_u64 v[2:3], v[0:1], 1, s[10:11]
	global_load_b32 v5, v[2:3], off
.LBB30_25:                              ; =>This Inner Loop Header: Depth=1
	s_wait_loadcnt 0x0
	v_pk_add_f16 v4, v15, v5
	global_atomic_cmpswap_b32 v1, v[2:3], v[4:5], off th:TH_ATOMIC_RETURN scope:SCOPE_DEV
	s_wait_loadcnt 0x0
	v_cmp_eq_u32_e32 vcc_lo, v5, v1
	v_mov_b32_e32 v5, v1
	s_or_b32 s0, vcc_lo, s0
	s_delay_alu instid0(SALU_CYCLE_1)
	s_and_not1_b32 exec_lo, exec_lo, s0
	s_cbranch_execnz .LBB30_25
; %bb.26:
	s_or_b32 exec_lo, exec_lo, s0
	global_load_b32 v5, v[2:3], off offset:4
	s_mov_b32 s0, 0
.LBB30_27:                              ; =>This Inner Loop Header: Depth=1
	s_wait_loadcnt 0x0
	v_pk_add_f16 v4, v14, v5
	global_atomic_cmpswap_b32 v1, v[2:3], v[4:5], off offset:4 th:TH_ATOMIC_RETURN scope:SCOPE_DEV
	s_wait_loadcnt 0x0
	v_cmp_eq_u32_e32 vcc_lo, v5, v1
	v_mov_b32_e32 v5, v1
	s_or_b32 s0, vcc_lo, s0
	s_delay_alu instid0(SALU_CYCLE_1)
	s_and_not1_b32 exec_lo, exec_lo, s0
	s_cbranch_execnz .LBB30_27
; %bb.28:
	s_or_b32 exec_lo, exec_lo, s0
	v_add_nc_u32_e32 v0, s4, v0
	s_mov_b32 s0, 0
	s_delay_alu instid0(VALU_DEP_1) | instskip(NEXT) | instid1(VALU_DEP_1)
	v_ashrrev_i32_e32 v1, 31, v0
	v_lshl_add_u64 v[0:1], v[0:1], 1, s[10:11]
	global_load_b32 v3, v[0:1], off
.LBB30_29:                              ; =>This Inner Loop Header: Depth=1
	s_wait_loadcnt 0x0
	v_pk_add_f16 v2, v13, v3
	global_atomic_cmpswap_b32 v2, v[0:1], v[2:3], off th:TH_ATOMIC_RETURN scope:SCOPE_DEV
	s_wait_loadcnt 0x0
	v_cmp_eq_u32_e32 vcc_lo, v3, v2
	v_mov_b32_e32 v3, v2
	s_or_b32 s0, vcc_lo, s0
	s_delay_alu instid0(SALU_CYCLE_1)
	s_and_not1_b32 exec_lo, exec_lo, s0
	s_cbranch_execnz .LBB30_29
; %bb.30:
	s_or_b32 exec_lo, exec_lo, s0
	global_load_b32 v3, v[0:1], off offset:4
	s_mov_b32 s0, 0
.LBB30_31:                              ; =>This Inner Loop Header: Depth=1
	s_wait_loadcnt 0x0
	v_pk_add_f16 v2, v12, v3
	global_atomic_cmpswap_b32 v2, v[0:1], v[2:3], off offset:4 th:TH_ATOMIC_RETURN scope:SCOPE_DEV
	s_wait_loadcnt 0x0
	v_cmp_eq_u32_e32 vcc_lo, v3, v2
	v_mov_b32_e32 v3, v2
	s_or_b32 s0, vcc_lo, s0
	s_delay_alu instid0(SALU_CYCLE_1)
	s_and_not1_b32 exec_lo, exec_lo, s0
	s_cbranch_execnz .LBB30_31
.LBB30_32:
	s_endpgm
	.section	.rodata,"a",@progbits
	.p2align	6, 0x0
	.amdhsa_kernel _ZN4vllm4gptq33gemm_half_q_half_gptq_8bit_kernelILb1ELi4EEEvPK6__halfPKjS6_S4_PS2_iiiibPKi
		.amdhsa_group_segment_fixed_size 1024
		.amdhsa_private_segment_fixed_size 0
		.amdhsa_kernarg_size 72
		.amdhsa_user_sgpr_count 2
		.amdhsa_user_sgpr_dispatch_ptr 0
		.amdhsa_user_sgpr_queue_ptr 0
		.amdhsa_user_sgpr_kernarg_segment_ptr 1
		.amdhsa_user_sgpr_dispatch_id 0
		.amdhsa_user_sgpr_kernarg_preload_length 0
		.amdhsa_user_sgpr_kernarg_preload_offset 0
		.amdhsa_user_sgpr_private_segment_size 0
		.amdhsa_wavefront_size32 1
		.amdhsa_uses_dynamic_stack 0
		.amdhsa_enable_private_segment 0
		.amdhsa_system_sgpr_workgroup_id_x 1
		.amdhsa_system_sgpr_workgroup_id_y 1
		.amdhsa_system_sgpr_workgroup_id_z 1
		.amdhsa_system_sgpr_workgroup_info 0
		.amdhsa_system_vgpr_workitem_id 0
		.amdhsa_next_free_vgpr 91
		.amdhsa_next_free_sgpr 21
		.amdhsa_named_barrier_count 0
		.amdhsa_reserve_vcc 1
		.amdhsa_float_round_mode_32 0
		.amdhsa_float_round_mode_16_64 0
		.amdhsa_float_denorm_mode_32 3
		.amdhsa_float_denorm_mode_16_64 3
		.amdhsa_fp16_overflow 0
		.amdhsa_memory_ordered 1
		.amdhsa_forward_progress 1
		.amdhsa_inst_pref_size 84
		.amdhsa_round_robin_scheduling 0
		.amdhsa_exception_fp_ieee_invalid_op 0
		.amdhsa_exception_fp_denorm_src 0
		.amdhsa_exception_fp_ieee_div_zero 0
		.amdhsa_exception_fp_ieee_overflow 0
		.amdhsa_exception_fp_ieee_underflow 0
		.amdhsa_exception_fp_ieee_inexact 0
		.amdhsa_exception_int_div_zero 0
	.end_amdhsa_kernel
	.section	.text._ZN4vllm4gptq33gemm_half_q_half_gptq_8bit_kernelILb1ELi4EEEvPK6__halfPKjS6_S4_PS2_iiiibPKi,"axG",@progbits,_ZN4vllm4gptq33gemm_half_q_half_gptq_8bit_kernelILb1ELi4EEEvPK6__halfPKjS6_S4_PS2_iiiibPKi,comdat
.Lfunc_end30:
	.size	_ZN4vllm4gptq33gemm_half_q_half_gptq_8bit_kernelILb1ELi4EEEvPK6__halfPKjS6_S4_PS2_iiiibPKi, .Lfunc_end30-_ZN4vllm4gptq33gemm_half_q_half_gptq_8bit_kernelILb1ELi4EEEvPK6__halfPKjS6_S4_PS2_iiiibPKi
                                        ; -- End function
	.set _ZN4vllm4gptq33gemm_half_q_half_gptq_8bit_kernelILb1ELi4EEEvPK6__halfPKjS6_S4_PS2_iiiibPKi.num_vgpr, 91
	.set _ZN4vllm4gptq33gemm_half_q_half_gptq_8bit_kernelILb1ELi4EEEvPK6__halfPKjS6_S4_PS2_iiiibPKi.num_agpr, 0
	.set _ZN4vllm4gptq33gemm_half_q_half_gptq_8bit_kernelILb1ELi4EEEvPK6__halfPKjS6_S4_PS2_iiiibPKi.numbered_sgpr, 21
	.set _ZN4vllm4gptq33gemm_half_q_half_gptq_8bit_kernelILb1ELi4EEEvPK6__halfPKjS6_S4_PS2_iiiibPKi.num_named_barrier, 0
	.set _ZN4vllm4gptq33gemm_half_q_half_gptq_8bit_kernelILb1ELi4EEEvPK6__halfPKjS6_S4_PS2_iiiibPKi.private_seg_size, 0
	.set _ZN4vllm4gptq33gemm_half_q_half_gptq_8bit_kernelILb1ELi4EEEvPK6__halfPKjS6_S4_PS2_iiiibPKi.uses_vcc, 1
	.set _ZN4vllm4gptq33gemm_half_q_half_gptq_8bit_kernelILb1ELi4EEEvPK6__halfPKjS6_S4_PS2_iiiibPKi.uses_flat_scratch, 0
	.set _ZN4vllm4gptq33gemm_half_q_half_gptq_8bit_kernelILb1ELi4EEEvPK6__halfPKjS6_S4_PS2_iiiibPKi.has_dyn_sized_stack, 0
	.set _ZN4vllm4gptq33gemm_half_q_half_gptq_8bit_kernelILb1ELi4EEEvPK6__halfPKjS6_S4_PS2_iiiibPKi.has_recursion, 0
	.set _ZN4vllm4gptq33gemm_half_q_half_gptq_8bit_kernelILb1ELi4EEEvPK6__halfPKjS6_S4_PS2_iiiibPKi.has_indirect_call, 0
	.section	.AMDGPU.csdata,"",@progbits
; Kernel info:
; codeLenInByte = 10660
; TotalNumSgprs: 23
; NumVgprs: 91
; ScratchSize: 0
; MemoryBound: 0
; FloatMode: 240
; IeeeMode: 1
; LDSByteSize: 1024 bytes/workgroup (compile time only)
; SGPRBlocks: 0
; VGPRBlocks: 5
; NumSGPRsForWavesPerEU: 23
; NumVGPRsForWavesPerEU: 91
; NamedBarCnt: 0
; Occupancy: 10
; WaveLimiterHint : 0
; COMPUTE_PGM_RSRC2:SCRATCH_EN: 0
; COMPUTE_PGM_RSRC2:USER_SGPR: 2
; COMPUTE_PGM_RSRC2:TRAP_HANDLER: 0
; COMPUTE_PGM_RSRC2:TGID_X_EN: 1
; COMPUTE_PGM_RSRC2:TGID_Y_EN: 1
; COMPUTE_PGM_RSRC2:TGID_Z_EN: 1
; COMPUTE_PGM_RSRC2:TIDIG_COMP_CNT: 0
	.section	.text._ZN4vllm4gptq33gemm_half_q_half_gptq_2bit_kernelILb1ELi5EEEvPK6__halfPKjS6_S4_PS2_iiiibPKi,"axG",@progbits,_ZN4vllm4gptq33gemm_half_q_half_gptq_2bit_kernelILb1ELi5EEEvPK6__halfPKjS6_S4_PS2_iiiibPKi,comdat
	.protected	_ZN4vllm4gptq33gemm_half_q_half_gptq_2bit_kernelILb1ELi5EEEvPK6__halfPKjS6_S4_PS2_iiiibPKi ; -- Begin function _ZN4vllm4gptq33gemm_half_q_half_gptq_2bit_kernelILb1ELi5EEEvPK6__halfPKjS6_S4_PS2_iiiibPKi
	.globl	_ZN4vllm4gptq33gemm_half_q_half_gptq_2bit_kernelILb1ELi5EEEvPK6__halfPKjS6_S4_PS2_iiiibPKi
	.p2align	8
	.type	_ZN4vllm4gptq33gemm_half_q_half_gptq_2bit_kernelILb1ELi5EEEvPK6__halfPKjS6_S4_PS2_iiiibPKi,@function
_ZN4vllm4gptq33gemm_half_q_half_gptq_2bit_kernelILb1ELi5EEEvPK6__halfPKjS6_S4_PS2_iiiibPKi: ; @_ZN4vllm4gptq33gemm_half_q_half_gptq_2bit_kernelILb1ELi5EEEvPK6__halfPKjS6_S4_PS2_iiiibPKi
; %bb.0:
	s_load_b128 s[4:7], s[0:1], 0x2c
	s_bfe_u32 s2, ttmp6, 0x40014
	s_lshr_b32 s3, ttmp7, 16
	s_add_co_i32 s2, s2, 1
	s_bfe_u32 s9, ttmp6, 0x40010
	s_mul_i32 s2, s3, s2
	s_bfe_u32 s8, ttmp6, 0x40008
	s_and_b32 s10, ttmp7, 0xffff
	s_add_co_i32 s9, s9, 1
	s_add_co_i32 s8, s8, s2
	s_mul_i32 s2, s10, s9
	s_bfe_u32 s9, ttmp6, 0x40004
	s_getreg_b32 s17, hwreg(HW_REG_IB_STS2, 6, 4)
	s_add_co_i32 s9, s9, s2
	s_cmp_eq_u32 s17, 0
	s_mov_b32 s12, exec_lo
	s_cselect_b32 s2, s3, s8
	s_cselect_b32 s14, s10, s9
	s_lshl_b32 s15, s2, 7
	s_mul_i32 s14, s14, 5
	s_add_co_i32 s2, s15, 0x80
	s_delay_alu instid0(SALU_CYCLE_1) | instskip(SKIP_3) | instid1(VALU_DEP_1)
	v_cvt_f64_u32_e32 v[2:3], s2
	s_load_b64 s[2:3], s[0:1], 0x10
	s_wait_kmcnt 0x0
	v_cvt_f64_i32_e32 v[4:5], s5
	v_min_num_f64_e32 v[2:3], v[2:3], v[4:5]
	s_delay_alu instid0(VALU_DEP_1) | instskip(SKIP_1) | instid1(VALU_DEP_2)
	v_cvt_i32_f64_e32 v1, v[2:3]
	v_add_nc_u32_e32 v2, s15, v0
	v_readfirstlane_b32 s16, v1
	s_delay_alu instid0(VALU_DEP_2)
	v_cmpx_lt_u32_e64 v2, v1
	s_cbranch_execz .LBB31_12
; %bb.1:
	s_clause 0x1
	s_load_b64 s[10:11], s[0:1], 0x40
	s_load_b64 s[8:9], s[0:1], 0x0
	v_mov_b32_e32 v3, 0
	s_delay_alu instid0(VALU_DEP_1)
	v_mov_b64_e32 v[6:7], v[2:3]
	s_wait_kmcnt 0x0
	v_lshl_add_u64 v[4:5], v[2:3], 2, s[10:11]
	s_cmp_lg_u64 s[10:11], 0
	s_cselect_b32 s13, -1, 0
	s_cmp_eq_u64 s[10:11], 0
	s_cbranch_scc1 .LBB31_3
; %bb.2:
	global_load_b32 v6, v[4:5], off
	s_wait_loadcnt 0x0
	v_ashrrev_i32_e32 v7, 31, v6
.LBB31_3:
	s_mul_i32 s10, s14, s5
	v_cndmask_b32_e64 v8, 0, 1, s13
	s_ashr_i32 s11, s10, 31
	v_lshlrev_b32_e32 v1, 1, v0
	s_lshl_b64 s[18:19], s[10:11], 1
	s_and_not1_b32 vcc_lo, exec_lo, s13
	s_add_nc_u64 s[18:19], s[8:9], s[18:19]
	s_delay_alu instid0(SALU_CYCLE_1)
	v_lshl_add_u64 v[6:7], v[6:7], 1, s[18:19]
	global_load_u16 v9, v[6:7], off
	s_wait_xcnt 0x0
	v_mov_b64_e32 v[6:7], v[2:3]
	s_wait_loadcnt 0x0
	ds_store_b16 v1, v9
	s_cbranch_vccnz .LBB31_5
; %bb.4:
	global_load_b32 v6, v[4:5], off
	s_wait_loadcnt 0x0
	v_ashrrev_i32_e32 v7, 31, v6
.LBB31_5:
	s_add_co_i32 s10, s10, s5
	v_cmp_ne_u32_e32 vcc_lo, 1, v8
	s_ashr_i32 s11, s10, 31
	s_delay_alu instid0(SALU_CYCLE_1) | instskip(SKIP_2) | instid1(SALU_CYCLE_1)
	s_lshl_b64 s[18:19], s[10:11], 1
	s_and_b32 vcc_lo, exec_lo, vcc_lo
	s_add_nc_u64 s[18:19], s[8:9], s[18:19]
	v_lshl_add_u64 v[6:7], v[6:7], 1, s[18:19]
	global_load_u16 v9, v[6:7], off
	s_wait_xcnt 0x0
	v_mov_b64_e32 v[6:7], v[2:3]
	s_wait_loadcnt 0x0
	ds_store_b16 v1, v9 offset:256
	s_cbranch_vccnz .LBB31_7
; %bb.6:
	global_load_b32 v6, v[4:5], off
	s_wait_loadcnt 0x0
	v_ashrrev_i32_e32 v7, 31, v6
.LBB31_7:
	s_add_co_i32 s10, s10, s5
	v_cmp_ne_u32_e32 vcc_lo, 1, v8
	s_ashr_i32 s11, s10, 31
	s_delay_alu instid0(SALU_CYCLE_1) | instskip(SKIP_2) | instid1(SALU_CYCLE_1)
	s_lshl_b64 s[18:19], s[10:11], 1
	s_and_b32 vcc_lo, exec_lo, vcc_lo
	s_add_nc_u64 s[18:19], s[8:9], s[18:19]
	v_lshl_add_u64 v[6:7], v[6:7], 1, s[18:19]
	global_load_u16 v9, v[6:7], off
	s_wait_xcnt 0x0
	v_mov_b64_e32 v[6:7], v[2:3]
	s_wait_loadcnt 0x0
	ds_store_b16 v1, v9 offset:512
	s_cbranch_vccnz .LBB31_9
; %bb.8:
	global_load_b32 v6, v[4:5], off
	s_wait_loadcnt 0x0
	v_ashrrev_i32_e32 v7, 31, v6
.LBB31_9:
	s_add_co_i32 s10, s10, s5
	v_cmp_ne_u32_e32 vcc_lo, 1, v8
	s_ashr_i32 s11, s10, 31
	s_delay_alu instid0(SALU_CYCLE_1) | instskip(SKIP_2) | instid1(SALU_CYCLE_1)
	s_lshl_b64 s[18:19], s[10:11], 1
	s_and_b32 vcc_lo, exec_lo, vcc_lo
	s_add_nc_u64 s[18:19], s[8:9], s[18:19]
	v_lshl_add_u64 v[6:7], v[6:7], 1, s[18:19]
	global_load_u16 v6, v[6:7], off
	s_wait_loadcnt 0x0
	ds_store_b16 v1, v6 offset:768
	s_cbranch_vccnz .LBB31_11
; %bb.10:
	global_load_b32 v2, v[4:5], off
	s_wait_loadcnt 0x0
	v_ashrrev_i32_e32 v3, 31, v2
.LBB31_11:
	s_add_co_i32 s10, s10, s5
	s_delay_alu instid0(SALU_CYCLE_1) | instskip(NEXT) | instid1(SALU_CYCLE_1)
	s_ashr_i32 s11, s10, 31
	s_lshl_b64 s[10:11], s[10:11], 1
	s_delay_alu instid0(SALU_CYCLE_1) | instskip(NEXT) | instid1(SALU_CYCLE_1)
	s_add_nc_u64 s[8:9], s[8:9], s[10:11]
	v_lshl_add_u64 v[2:3], v[2:3], 1, s[8:9]
	global_load_u16 v2, v[2:3], off
	s_wait_loadcnt 0x0
	ds_store_b16 v1, v2 offset:1024
.LBB31_12:
	s_or_b32 exec_lo, exec_lo, s12
	s_clause 0x1
	s_load_b64 s[12:13], s[0:1], 0x8
	s_load_b128 s[8:11], s[0:1], 0x18
	s_wait_xcnt 0x0
	s_bfe_u32 s0, ttmp6, 0x4000c
	s_and_b32 s1, ttmp6, 15
	s_add_co_i32 s0, s0, 1
	v_lshlrev_b32_e32 v1, 2, v0
	s_mul_i32 s0, ttmp9, s0
	s_delay_alu instid0(SALU_CYCLE_1)
	s_add_co_i32 s1, s1, s0
	s_cmp_eq_u32 s17, 0
	s_cselect_b32 s0, ttmp9, s1
	s_mov_b32 s1, 0
	v_lshl_add_u32 v4, s0, 9, v1
	s_mov_b32 s0, exec_lo
	s_delay_alu instid0(VALU_DEP_1)
	v_cmpx_gt_i32_e64 s4, v4
	s_cbranch_execz .LBB31_38
; %bb.13:
	s_abs_i32 s17, s6
	v_dual_mov_b32 v25, 0 :: v_dual_mov_b32 v24, 0
	s_cvt_f32_u32 s0, s17
	v_dual_mov_b32 v23, 0 :: v_dual_mov_b32 v22, 0
	v_dual_mov_b32 v21, 0 :: v_dual_mov_b32 v20, 0
	s_delay_alu instid0(SALU_CYCLE_1) | instskip(SKIP_4) | instid1(TRANS32_DEP_1)
	v_rcp_iflag_f32_e32 v1, s0
	v_dual_mov_b32 v19, 0 :: v_dual_mov_b32 v18, 0
	v_dual_mov_b32 v17, 0 :: v_dual_mov_b32 v16, 0
	s_cmp_ge_i32 s15, s16
	s_wait_dscnt 0x0
	v_readfirstlane_b32 s0, v1
	s_barrier_signal -1
	s_barrier_wait -1
	s_cbranch_scc1 .LBB31_18
; %bb.14:
	s_mul_f32 s0, s0, 0x4f7ffffe
	s_ashr_i32 s6, s6, 31
	v_dual_mov_b32 v16, 0 :: v_dual_ashrrev_i32 v5, 31, v4
	v_mov_b32_e32 v17, 0
	s_cvt_u32_f32 s18, s0
	s_sub_co_i32 s0, 0, s17
	v_dual_mov_b32 v18, 0 :: v_dual_mov_b32 v19, 0
	s_delay_alu instid0(SALU_CYCLE_1)
	s_mul_i32 s19, s0, s18
	s_abs_i32 s0, s5
	s_mul_hi_u32 s20, s18, s19
	s_mov_b32 s19, s1
	s_add_co_i32 s18, s18, s20
	s_ashr_i32 s5, s5, 31
	s_mul_u64 s[18:19], s[0:1], s[18:19]
	s_xor_b32 s5, s5, s6
	s_mul_i32 s18, s19, s17
	s_add_co_i32 s6, s19, 1
	s_sub_co_i32 s0, s0, s18
	v_dual_mov_b32 v20, 0 :: v_dual_mov_b32 v21, 0
	s_sub_co_i32 s18, s0, s17
	s_cmp_ge_u32 s0, s17
	v_dual_mov_b32 v22, 0 :: v_dual_mov_b32 v23, 0
	s_cselect_b32 s6, s6, s19
	s_cselect_b32 s0, s18, s0
	s_add_co_i32 s18, s6, 1
	s_cmp_ge_u32 s0, s17
	s_mov_b32 s19, 0x30003
	s_cselect_b32 s0, s18, s6
	s_mov_b32 s18, 0x10001
	s_xor_b32 s0, s0, s5
	v_mov_b32_e32 v25, 0
	s_sub_co_i32 s0, s0, s5
	s_bitcmp1_b32 s7, 0
	s_cvt_f32_u32 s5, s0
	s_cselect_b32 s6, -1, 0
	s_sub_co_i32 s7, 0, s0
	s_xor_b32 s20, s6, -1
	v_rcp_iflag_f32_e32 v1, s5
	v_cndmask_b32_e64 v28, 0, 1, s20
	s_mov_b32 s20, 0xc000c0
	s_delay_alu instid0(TRANS32_DEP_1) | instskip(SKIP_1) | instid1(SALU_CYCLE_3)
	v_readfirstlane_b32 s5, v1
	s_mul_f32 s5, s5, 0x4f7ffffe
	s_cvt_u32_f32 s5, s5
	s_delay_alu instid0(SALU_CYCLE_3) | instskip(NEXT) | instid1(SALU_CYCLE_1)
	s_mul_i32 s7, s7, s5
	s_mul_hi_u32 s7, s5, s7
	s_delay_alu instid0(SALU_CYCLE_1) | instskip(NEXT) | instid1(SALU_CYCLE_1)
	s_add_co_i32 s5, s5, s7
	s_mul_hi_u32 s5, s15, s5
	s_delay_alu instid0(SALU_CYCLE_1) | instskip(NEXT) | instid1(SALU_CYCLE_1)
	s_mul_i32 s7, s5, s0
	s_sub_co_i32 s6, s15, s7
	s_add_co_i32 s7, s5, 1
	s_sub_co_i32 s17, s6, s0
	s_cmp_ge_u32 s6, s0
	s_cselect_b32 s5, s7, s5
	s_cselect_b32 s6, s17, s6
	s_add_co_i32 s7, s5, 1
	s_cmp_ge_u32 s6, s0
	s_cselect_b32 s17, s7, s5
	s_delay_alu instid0(SALU_CYCLE_1) | instskip(NEXT) | instid1(SALU_CYCLE_1)
	s_mul_i32 s5, s17, s4
	v_dual_lshrrev_b32 v1, 28, v5 :: v_dual_add_nc_u32 v2, s5, v4
	s_ashr_i32 s6, s5, 31
	s_delay_alu instid0(SALU_CYCLE_1) | instskip(NEXT) | instid1(VALU_DEP_1)
	s_lshr_b32 s6, s6, 28
	v_dual_add_nc_u32 v1, v4, v1 :: v_dual_ashrrev_i32 v3, 31, v2
	s_add_co_i32 s6, s5, s6
	s_lshr_b32 s5, s15, 4
	s_ashr_i32 s6, s6, 4
	s_delay_alu instid0(VALU_DEP_1) | instskip(SKIP_2) | instid1(VALU_DEP_2)
	v_ashrrev_i32_e32 v26, 4, v1
	s_wait_kmcnt 0x0
	v_lshl_add_u64 v[2:3], v[2:3], 1, s[8:9]
	v_add_nc_u32_e32 v1, s6, v26
	global_load_b64 v[6:7], v[2:3], off
	s_wait_xcnt 0x0
	v_lshlrev_b32_e32 v2, 3, v0
	s_mul_i32 s6, s4, s5
	v_mov_b32_e32 v24, 0
	global_load_b32 v10, v1, s[2:3] scale_offset
	s_ashr_i32 s7, s6, 31
	v_and_b32_e32 v27, 24, v2
	s_lshl_b64 s[6:7], s[6:7], 2
	s_ashr_i32 s5, s4, 31
	s_add_nc_u64 s[6:7], s[12:13], s[6:7]
	s_add_co_i32 s12, s0, s15
	s_wait_xcnt 0x0
	v_lshl_add_u64 v[0:1], v[4:5], 2, s[6:7]
	s_lshl_b64 s[6:7], s[4:5], 2
	s_mov_b32 s5, 0xc000c
	s_mov_b32 s13, 0x300030
	s_delay_alu instid0(VALU_DEP_1) | instskip(SKIP_3) | instid1(VALU_DEP_2)
	v_add_nc_u64_e32 v[8:9], 8, v[0:1]
	s_wait_loadcnt 0x0
	v_lshrrev_b32_e32 v2, v2, v10
	v_bfe_u32 v5, v10, v27, 2
	v_bfe_u32 v29, v2, 2, 2
	;; [unrolled: 1-line block ×4, first 2 shown]
	s_branch .LBB31_16
.LBB31_15:                              ;   in Loop: Header=BB31_16 Depth=1
	global_load_b128 v[0:3], v[8:9], off offset:-8
	v_dual_add_nc_u32 v10, v5, v28 :: v_dual_add_nc_u32 v13, v30, v28
	v_dual_add_nc_u32 v11, v29, v28 :: v_dual_add_nc_u32 v14, v31, v28
	v_mov_b32_e32 v12, s1
	s_delay_alu instid0(VALU_DEP_3) | instskip(NEXT) | instid1(VALU_DEP_4)
	v_cvt_f32_i32_e32 v15, v10
	v_cvt_f32_i32_e32 v33, v13
	s_delay_alu instid0(VALU_DEP_4)
	v_cvt_f32_i32_e32 v32, v11
	v_cvt_f32_i32_e32 v35, v14
	v_and_b32_e32 v36, 0x1bff, v14
	v_cvt_f16_f32_e32 v15, v15
	v_and_b32_e32 v34, 0x1bff, v13
	v_cvt_f16_f32_e32 v47, v33
	v_cvt_f16_f32_e32 v14, v35
	;; [unrolled: 1-line block ×3, first 2 shown]
	v_sub_f16_e32 v33, 0xdc00, v15
	v_mad_u32_u24 v32, v34, s18, 0xe400e400
	v_and_b32_e32 v10, 0x1bff, v10
	v_sub_f16_e32 v37, 0xdc00, v14
	v_and_b32_e32 v11, 0x1bff, v11
	v_and_b32_e32 v34, 0xffff, v33
	v_mad_u32_u24 v33, v36, s18, 0xe400e400
	v_sub_f16_e32 v35, 0xdc00, v46
	v_and_b32_e32 v48, 0xffff, v37
	v_mad_u32_u24 v13, v10, s18, 0xe400e400
	v_mul_u32_u24_e32 v37, 0x10001, v34
	v_mad_u32_u24 v11, v11, s18, 0xe400e400
	v_and_b32_e32 v35, 0xffff, v35
	v_mul_u32_u24_e32 v34, 0x10001, v48
	s_add_co_i32 s21, s1, 0x400
	s_wait_xcnt 0x0
	v_add_nc_u64_e32 v[8:9], s[6:7], v[8:9]
	s_add_co_i32 s15, s15, 16
	v_mul_u32_u24_e32 v36, 0x10001, v35
	s_wait_loadcnt 0x0
	v_and_or_b32 v44, v3, s19, 0x64006400
	v_and_or_b32 v45, v3, s5, 0x64006400
	;; [unrolled: 1-line block ×6, first 2 shown]
	v_lshrrev_b32_e32 v0, 8, v0
	v_pk_add_f16 v71, v33, v44
	v_pk_fma_f16 v72, 0x3400, v45, v34 op_sel_hi:[0,1,1]
	ds_load_2addr_b32 v[44:45], v12 offset1:1
	ds_load_2addr_b32 v[52:53], v12 offset0:64 offset1:65
	ds_load_2addr_b32 v[74:75], v12 offset0:192 offset1:193
	v_and_or_b32 v40, v1, s19, 0x64006400
	v_and_or_b32 v69, v3, s13, 0x64006400
	;; [unrolled: 1-line block ×3, first 2 shown]
	v_lshrrev_b32_e32 v10, 8, v3
	v_sub_f16_e32 v3, 0xdc00, v47
	v_and_or_b32 v41, v1, s5, 0x64006400
	v_and_or_b32 v42, v2, s19, 0x64006400
	v_pk_add_f16 v49, v11, v40
	v_and_or_b32 v43, v2, s5, 0x64006400
	v_and_b32_e32 v3, 0xffff, v3
	v_pk_fma_f16 v48, 0x3400, v39, v37 op_sel_hi:[0,1,1]
	v_pk_fma_f16 v50, 0x3400, v41, v36 op_sel_hi:[0,1,1]
	v_pk_add_f16 v59, v32, v42
	v_and_or_b32 v65, v1, s13, 0x64006400
	v_mul_u32_u24_e32 v35, 0x10001, v3
	v_pk_add_f16 v3, v13, v38
	v_and_or_b32 v67, v2, s13, 0x64006400
	s_wait_dscnt 0x2
	v_pk_fma_f16 v39, v49, v44, 0
	s_wait_dscnt 0x1
	v_pk_fma_f16 v41, v49, v52, 0
	v_pk_fma_f16 v62, 0x3400, v43, v35 op_sel_hi:[0,1,1]
	v_pk_fma_f16 v38, v3, v44, 0
	v_pk_fma_f16 v43, v59, v52, 0
	;; [unrolled: 1-line block ×7, first 2 shown]
	v_and_or_b32 v68, v2, s20, 0x64006400
	v_pk_fma_f16 v42, v62, v45, v39
	v_pk_fma_f16 v39, v71, v44, 0
	v_and_or_b32 v66, v1, s20, 0x64006400
	v_dual_lshrrev_b32 v1, 8, v1 :: v_dual_lshrrev_b32 v2, 8, v2
	s_delay_alu instid0(VALU_DEP_3) | instskip(SKIP_2) | instid1(VALU_DEP_2)
	v_pk_fma_f16 v44, v72, v45, v39
	v_pk_fma_f16 v39, v3, v52, 0
	;; [unrolled: 1-line block ×4, first 2 shown]
	s_delay_alu instid0(VALU_DEP_2)
	v_pk_fma_f16 v45, v72, v53, v45
	ds_load_2addr_b32 v[52:53], v12 offset0:128 offset1:129
	s_wait_dscnt 0x0
	v_pk_fma_f16 v51, v3, v52, 0
	v_pk_fma_f16 v54, v49, v52, 0
	;; [unrolled: 1-line block ×4, first 2 shown]
	s_delay_alu instid0(VALU_DEP_4) | instskip(NEXT) | instid1(VALU_DEP_4)
	v_pk_fma_f16 v51, v48, v53, v51
	v_pk_fma_f16 v54, v50, v53, v54
	s_delay_alu instid0(VALU_DEP_4) | instskip(NEXT) | instid1(VALU_DEP_4)
	v_pk_fma_f16 v57, v62, v53, v55
	v_pk_fma_f16 v60, v72, v53, v52
	;; [unrolled: 1-line block ×4, first 2 shown]
	s_delay_alu instid0(VALU_DEP_2) | instskip(SKIP_1) | instid1(VALU_DEP_3)
	v_pk_fma_f16 v55, v50, v75, v53
	v_pk_fma_f16 v53, v59, v74, 0
	;; [unrolled: 1-line block ×3, first 2 shown]
	s_delay_alu instid0(VALU_DEP_2) | instskip(SKIP_1) | instid1(VALU_DEP_1)
	v_pk_fma_f16 v58, v62, v75, v53
	v_pk_fma_f16 v53, v71, v74, 0
	;; [unrolled: 1-line block ×3, first 2 shown]
	v_mov_b32_e32 v53, s21
	s_add_co_i32 s21, s1, 0x408
	ds_load_2addr_b32 v[74:75], v53 offset1:1
	s_wait_dscnt 0x0
	v_pk_fma_f16 v3, v3, v74, 0
	s_delay_alu instid0(VALU_DEP_1)
	v_pk_fma_f16 v53, v48, v75, v3
	v_pk_fma_f16 v3, v49, v74, 0
	v_sub_f16_e32 v48, 0xd400, v46
	v_sub_f16_e32 v49, 0xd400, v47
	;; [unrolled: 1-line block ×4, first 2 shown]
	v_pk_fma_f16 v56, v50, v75, v3
	v_pk_fma_f16 v3, v59, v74, 0
	v_sub_f16_e32 v50, 0xd400, v14
	v_sub_f16_e32 v14, 0xcc00, v14
	v_and_b32_e32 v48, 0xffff, v48
	v_and_b32_e32 v46, 0xffff, v46
	v_pk_fma_f16 v59, v62, v75, v3
	v_pk_fma_f16 v3, v71, v74, 0
	v_and_b32_e32 v71, 0xffff, v49
	v_and_b32_e32 v73, 0xffff, v50
	v_and_b32_e32 v14, 0xffff, v14
	v_mul_u32_u24_e32 v48, 0x10001, v48
	v_pk_fma_f16 v62, v72, v75, v3
	v_sub_f16_e32 v3, 0xd400, v15
	v_sub_f16_e32 v15, 0xcc00, v15
	ds_load_2addr_b32 v[74:75], v12 offset0:2 offset1:3
	v_and_b32_e32 v72, 0xffff, v47
	v_mul_u32_u24_e32 v47, 0x10001, v71
	v_and_b32_e32 v3, 0xffff, v3
	v_and_b32_e32 v15, 0xffff, v15
	v_mul_u32_u24_e32 v46, 0x10001, v46
	v_mul_u32_u24_e32 v14, 0x10001, v14
	v_pk_fma_f16 v67, 0x2c00, v67, v47 op_sel_hi:[0,1,1]
	v_mul_u32_u24_e32 v50, 0x10001, v3
	v_mul_u32_u24_e32 v49, 0x10001, v15
	;; [unrolled: 1-line block ×4, first 2 shown]
	v_pk_fma_f16 v72, 0x2c00, v65, v48 op_sel_hi:[0,1,1]
	v_pk_fma_f16 v71, 0x2c00, v63, v50 op_sel_hi:[0,1,1]
	;; [unrolled: 1-line block ×7, first 2 shown]
	s_wait_dscnt 0x0
	v_pk_fma_f16 v38, v71, v74, v38
	v_pk_fma_f16 v40, v72, v74, v40
	;; [unrolled: 1-line block ×4, first 2 shown]
	s_delay_alu instid0(VALU_DEP_4) | instskip(NEXT) | instid1(VALU_DEP_4)
	v_pk_fma_f16 v69, v63, v75, v38
	v_pk_fma_f16 v40, v64, v75, v40
	s_delay_alu instid0(VALU_DEP_4) | instskip(NEXT) | instid1(VALU_DEP_4)
	v_pk_fma_f16 v42, v65, v75, v42
	v_pk_fma_f16 v44, v66, v75, v44
	ds_load_2addr_b32 v[74:75], v12 offset0:66 offset1:67
	s_wait_dscnt 0x0
	v_pk_fma_f16 v38, v71, v74, v39
	v_pk_fma_f16 v39, v72, v74, v41
	;; [unrolled: 1-line block ×4, first 2 shown]
	s_delay_alu instid0(VALU_DEP_4) | instskip(NEXT) | instid1(VALU_DEP_4)
	v_pk_fma_f16 v45, v63, v75, v38
	v_pk_fma_f16 v70, v64, v75, v39
	ds_load_2addr_b32 v[38:39], v12 offset0:130 offset1:131
	v_pk_fma_f16 v41, v65, v75, v41
	v_pk_fma_f16 v43, v66, v75, v43
	s_wait_dscnt 0x0
	v_pk_fma_f16 v51, v71, v38, v51
	v_pk_fma_f16 v54, v72, v38, v54
	;; [unrolled: 1-line block ×4, first 2 shown]
	s_delay_alu instid0(VALU_DEP_4) | instskip(NEXT) | instid1(VALU_DEP_4)
	v_pk_fma_f16 v51, v63, v39, v51
	v_pk_fma_f16 v54, v64, v39, v54
	s_delay_alu instid0(VALU_DEP_4) | instskip(NEXT) | instid1(VALU_DEP_4)
	v_pk_fma_f16 v57, v65, v39, v57
	v_pk_fma_f16 v60, v66, v39, v38
	ds_load_2addr_b32 v[38:39], v12 offset0:194 offset1:195
	s_wait_dscnt 0x0
	v_pk_fma_f16 v52, v71, v38, v52
	v_pk_fma_f16 v55, v72, v38, v55
	v_pk_fma_f16 v58, v67, v38, v58
	v_pk_fma_f16 v38, v68, v38, v61
	s_delay_alu instid0(VALU_DEP_4) | instskip(NEXT) | instid1(VALU_DEP_4)
	v_pk_fma_f16 v61, v63, v39, v52
	v_pk_fma_f16 v55, v64, v39, v55
	s_delay_alu instid0(VALU_DEP_4) | instskip(NEXT) | instid1(VALU_DEP_4)
	v_pk_fma_f16 v58, v65, v39, v58
	v_pk_fma_f16 v73, v66, v39, v38
	v_mov_b32_e32 v38, s21
	s_add_co_i32 s21, s1, 0x410
	ds_load_2addr_b32 v[38:39], v38 offset1:1
	s_wait_dscnt 0x0
	v_pk_fma_f16 v52, v71, v38, v53
	v_pk_fma_f16 v53, v72, v38, v56
	;; [unrolled: 1-line block ×4, first 2 shown]
	s_delay_alu instid0(VALU_DEP_4) | instskip(NEXT) | instid1(VALU_DEP_4)
	v_pk_fma_f16 v59, v63, v39, v52
	v_pk_fma_f16 v62, v64, v39, v53
	s_delay_alu instid0(VALU_DEP_4) | instskip(NEXT) | instid1(VALU_DEP_4)
	v_pk_fma_f16 v56, v65, v39, v56
	v_pk_fma_f16 v63, v66, v39, v38
	v_and_or_b32 v38, v0, s19, 0x64006400
	s_delay_alu instid0(VALU_DEP_1) | instskip(SKIP_1) | instid1(VALU_DEP_1)
	v_pk_add_f16 v13, v13, v38
	v_and_or_b32 v38, v0, s5, 0x64006400
	v_pk_fma_f16 v37, 0x3400, v38, v37 op_sel_hi:[0,1,1]
	v_and_or_b32 v38, v1, s19, 0x64006400
	s_delay_alu instid0(VALU_DEP_1) | instskip(SKIP_1) | instid1(VALU_DEP_1)
	v_pk_add_f16 v11, v11, v38
	v_and_or_b32 v38, v1, s5, 0x64006400
	v_pk_fma_f16 v36, 0x3400, v38, v36 op_sel_hi:[0,1,1]
	;; [unrolled: 5-line block ×4, first 2 shown]
	ds_load_2addr_b32 v[32:33], v12 offset0:4 offset1:5
	s_wait_dscnt 0x0
	v_pk_fma_f16 v38, v13, v32, v69
	v_pk_fma_f16 v39, v11, v32, v40
	v_pk_fma_f16 v42, v64, v32, v42
	v_pk_fma_f16 v32, v65, v32, v44
	s_delay_alu instid0(VALU_DEP_4) | instskip(NEXT) | instid1(VALU_DEP_4)
	v_pk_fma_f16 v66, v37, v33, v38
	v_pk_fma_f16 v40, v36, v33, v39
	s_delay_alu instid0(VALU_DEP_4) | instskip(NEXT) | instid1(VALU_DEP_4)
	v_pk_fma_f16 v39, v35, v33, v42
	v_pk_fma_f16 v38, v34, v33, v32
	ds_load_2addr_b32 v[32:33], v12 offset0:68 offset1:69
	s_wait_dscnt 0x0
	v_pk_fma_f16 v42, v13, v32, v45
	v_pk_fma_f16 v44, v11, v32, v70
	v_pk_fma_f16 v41, v64, v32, v41
	v_pk_fma_f16 v32, v65, v32, v43
	s_delay_alu instid0(VALU_DEP_4) | instskip(NEXT) | instid1(VALU_DEP_4)
	v_pk_fma_f16 v42, v37, v33, v42
	v_pk_fma_f16 v44, v36, v33, v44
	s_delay_alu instid0(VALU_DEP_4) | instskip(NEXT) | instid1(VALU_DEP_4)
	v_pk_fma_f16 v43, v35, v33, v41
	v_pk_fma_f16 v41, v34, v33, v32
	;; [unrolled: 12-line block ×4, first 2 shown]
	v_mov_b32_e32 v32, s21
	s_add_co_i32 s21, s1, 0x418
	s_add_co_i32 s1, s1, 32
	s_cmp_ge_i32 s15, s16
	ds_load_2addr_b32 v[32:33], v32 offset1:1
	s_wait_dscnt 0x0
	v_pk_fma_f16 v11, v11, v32, v62
	v_pk_fma_f16 v13, v13, v32, v59
	;; [unrolled: 1-line block ×4, first 2 shown]
	s_delay_alu instid0(VALU_DEP_4)
	v_pk_fma_f16 v58, v36, v33, v11
	v_and_or_b32 v11, v0, s13, 0x64006400
	v_and_or_b32 v0, v0, s20, 0x64006400
	v_pk_fma_f16 v57, v35, v33, v56
	v_pk_fma_f16 v56, v34, v33, v32
	;; [unrolled: 1-line block ×3, first 2 shown]
	v_pk_fma_f16 v50, 0x2c00, v11, v50 op_sel_hi:[0,1,1]
	v_and_or_b32 v11, v1, s13, 0x64006400
	v_and_or_b32 v1, v1, s20, 0x64006400
	v_pk_fma_f16 v32, 0x2400, v0, v49 op_sel_hi:[0,1,1]
	v_and_or_b32 v0, v2, s13, 0x64006400
	v_and_or_b32 v2, v2, s20, 0x64006400
	;; [unrolled: 3-line block ×3, first 2 shown]
	v_pk_fma_f16 v33, 0x2400, v1, v46 op_sel_hi:[0,1,1]
	v_pk_fma_f16 v49, 0x2c00, v0, v47 op_sel_hi:[0,1,1]
	ds_load_2addr_b32 v[0:1], v12 offset0:6 offset1:7
	v_pk_fma_f16 v34, 0x2400, v2, v3 op_sel_hi:[0,1,1]
	v_pk_fma_f16 v35, 0x2400, v10, v14 op_sel_hi:[0,1,1]
	v_mov_b32_e32 v14, s21
	v_pk_fma_f16 v63, 0x2c00, v11, v15 op_sel_hi:[0,1,1]
	ds_load_2addr_b32 v[2:3], v12 offset0:70 offset1:71
	ds_load_2addr_b32 v[10:11], v12 offset0:134 offset1:135
	ds_load_2addr_b32 v[14:15], v14 offset1:1
	ds_load_2addr_b32 v[12:13], v12 offset0:198 offset1:199
	s_wait_dscnt 0x4
	v_pk_fma_f16 v37, v50, v0, v66
	v_pk_fma_f16 v38, v63, v0, v38
	s_wait_dscnt 0x3
	v_pk_fma_f16 v36, v50, v2, v42
	s_wait_dscnt 0x2
	v_pk_fma_f16 v42, v50, v10, v60
	v_pk_fma_f16 v48, v62, v10, v52
	s_wait_dscnt 0x1
	v_pk_fma_f16 v47, v50, v14, v59
	s_wait_dscnt 0x0
	v_pk_fma_f16 v46, v50, v12, v61
	v_pk_fma_f16 v59, v62, v0, v40
	;; [unrolled: 1-line block ×34, first 2 shown]
	v_pack_b32_f16 v15, v14, v37
	v_perm_b32 v14, v37, v14, 0x7060302
	v_pack_b32_f16 v34, v36, v38
	v_perm_b32 v35, v38, v36, 0x7060302
	;; [unrolled: 2-line block ×10, first 2 shown]
	v_pk_add_f16 v14, v15, v14
	v_pk_add_f16 v15, v34, v35
	;; [unrolled: 1-line block ×10, first 2 shown]
	v_pk_fma_f16 v25, v14, v6, v25
	v_pk_fma_f16 v23, v15, v6, v23
	;; [unrolled: 1-line block ×10, first 2 shown]
	s_cbranch_scc1 .LBB31_18
.LBB31_16:                              ; =>This Inner Loop Header: Depth=1
	s_cmp_lg_u32 s15, s12
	s_cbranch_scc1 .LBB31_15
; %bb.17:                               ;   in Loop: Header=BB31_16 Depth=1
	s_add_co_i32 s17, s17, 1
	s_add_co_i32 s12, s12, s0
	s_mul_i32 s21, s17, s4
	s_delay_alu instid0(SALU_CYCLE_1) | instskip(SKIP_2) | instid1(SALU_CYCLE_1)
	s_ashr_i32 s22, s21, 31
	v_add_nc_u32_e32 v0, s21, v4
	s_lshr_b32 s22, s22, 28
	s_add_co_i32 s22, s21, s22
	s_delay_alu instid0(SALU_CYCLE_1) | instskip(NEXT) | instid1(SALU_CYCLE_1)
	s_ashr_i32 s22, s22, 4
	v_add_nc_u32_e32 v1, s22, v26
	global_load_b32 v2, v1, s[2:3] scale_offset
	s_wait_xcnt 0x0
	v_ashrrev_i32_e32 v1, 31, v0
	s_delay_alu instid0(VALU_DEP_1)
	v_lshl_add_u64 v[0:1], v[0:1], 1, s[8:9]
	global_load_b64 v[6:7], v[0:1], off
	s_wait_loadcnt 0x1
	s_wait_xcnt 0x0
	v_lshrrev_b32_e32 v0, v27, v2
	v_bfe_u32 v5, v2, v27, 2
	s_delay_alu instid0(VALU_DEP_2)
	v_bfe_u32 v29, v0, 2, 2
	v_bfe_u32 v30, v0, 4, 2
	;; [unrolled: 1-line block ×3, first 2 shown]
	s_branch .LBB31_15
.LBB31_18:
	v_mad_u32 v0, s14, s4, v4
	s_mov_b32 s0, 0
	s_delay_alu instid0(VALU_DEP_1) | instskip(SKIP_1) | instid1(VALU_DEP_1)
	v_ashrrev_i32_e32 v1, 31, v0
	s_wait_kmcnt 0x0
	v_lshl_add_u64 v[2:3], v[0:1], 1, s[10:11]
	global_load_b32 v5, v[2:3], off
.LBB31_19:                              ; =>This Inner Loop Header: Depth=1
	s_wait_loadcnt 0x0
	v_pk_add_f16 v4, v25, v5
	global_atomic_cmpswap_b32 v1, v[2:3], v[4:5], off th:TH_ATOMIC_RETURN scope:SCOPE_DEV
	s_wait_loadcnt 0x0
	v_cmp_eq_u32_e32 vcc_lo, v5, v1
	v_mov_b32_e32 v5, v1
	s_or_b32 s0, vcc_lo, s0
	s_delay_alu instid0(SALU_CYCLE_1)
	s_and_not1_b32 exec_lo, exec_lo, s0
	s_cbranch_execnz .LBB31_19
; %bb.20:
	s_or_b32 exec_lo, exec_lo, s0
	global_load_b32 v5, v[2:3], off offset:4
	s_mov_b32 s0, 0
.LBB31_21:                              ; =>This Inner Loop Header: Depth=1
	s_wait_loadcnt 0x0
	v_pk_add_f16 v4, v24, v5
	global_atomic_cmpswap_b32 v1, v[2:3], v[4:5], off offset:4 th:TH_ATOMIC_RETURN scope:SCOPE_DEV
	s_wait_loadcnt 0x0
	v_cmp_eq_u32_e32 vcc_lo, v5, v1
	v_mov_b32_e32 v5, v1
	s_or_b32 s0, vcc_lo, s0
	s_delay_alu instid0(SALU_CYCLE_1)
	s_and_not1_b32 exec_lo, exec_lo, s0
	s_cbranch_execnz .LBB31_21
; %bb.22:
	s_or_b32 exec_lo, exec_lo, s0
	v_add_nc_u32_e32 v0, s4, v0
	s_mov_b32 s0, 0
	s_delay_alu instid0(VALU_DEP_1) | instskip(NEXT) | instid1(VALU_DEP_1)
	v_ashrrev_i32_e32 v1, 31, v0
	v_lshl_add_u64 v[2:3], v[0:1], 1, s[10:11]
	global_load_b32 v5, v[2:3], off
.LBB31_23:                              ; =>This Inner Loop Header: Depth=1
	s_wait_loadcnt 0x0
	v_pk_add_f16 v4, v23, v5
	global_atomic_cmpswap_b32 v1, v[2:3], v[4:5], off th:TH_ATOMIC_RETURN scope:SCOPE_DEV
	s_wait_loadcnt 0x0
	v_cmp_eq_u32_e32 vcc_lo, v5, v1
	v_mov_b32_e32 v5, v1
	s_or_b32 s0, vcc_lo, s0
	s_delay_alu instid0(SALU_CYCLE_1)
	s_and_not1_b32 exec_lo, exec_lo, s0
	s_cbranch_execnz .LBB31_23
; %bb.24:
	s_or_b32 exec_lo, exec_lo, s0
	global_load_b32 v5, v[2:3], off offset:4
	s_mov_b32 s0, 0
.LBB31_25:                              ; =>This Inner Loop Header: Depth=1
	s_wait_loadcnt 0x0
	v_pk_add_f16 v4, v22, v5
	global_atomic_cmpswap_b32 v1, v[2:3], v[4:5], off offset:4 th:TH_ATOMIC_RETURN scope:SCOPE_DEV
	s_wait_loadcnt 0x0
	v_cmp_eq_u32_e32 vcc_lo, v5, v1
	v_mov_b32_e32 v5, v1
	s_or_b32 s0, vcc_lo, s0
	s_delay_alu instid0(SALU_CYCLE_1)
	s_and_not1_b32 exec_lo, exec_lo, s0
	s_cbranch_execnz .LBB31_25
; %bb.26:
	s_or_b32 exec_lo, exec_lo, s0
	v_add_nc_u32_e32 v0, s4, v0
	s_mov_b32 s0, 0
	s_delay_alu instid0(VALU_DEP_1) | instskip(NEXT) | instid1(VALU_DEP_1)
	v_ashrrev_i32_e32 v1, 31, v0
	;; [unrolled: 34-line block ×4, first 2 shown]
	v_lshl_add_u64 v[0:1], v[0:1], 1, s[10:11]
	global_load_b32 v3, v[0:1], off
.LBB31_35:                              ; =>This Inner Loop Header: Depth=1
	s_wait_loadcnt 0x0
	v_pk_add_f16 v2, v17, v3
	global_atomic_cmpswap_b32 v2, v[0:1], v[2:3], off th:TH_ATOMIC_RETURN scope:SCOPE_DEV
	s_wait_loadcnt 0x0
	v_cmp_eq_u32_e32 vcc_lo, v3, v2
	v_mov_b32_e32 v3, v2
	s_or_b32 s0, vcc_lo, s0
	s_delay_alu instid0(SALU_CYCLE_1)
	s_and_not1_b32 exec_lo, exec_lo, s0
	s_cbranch_execnz .LBB31_35
; %bb.36:
	s_or_b32 exec_lo, exec_lo, s0
	global_load_b32 v3, v[0:1], off offset:4
	s_mov_b32 s0, 0
.LBB31_37:                              ; =>This Inner Loop Header: Depth=1
	s_wait_loadcnt 0x0
	v_pk_add_f16 v2, v16, v3
	global_atomic_cmpswap_b32 v2, v[0:1], v[2:3], off offset:4 th:TH_ATOMIC_RETURN scope:SCOPE_DEV
	s_wait_loadcnt 0x0
	v_cmp_eq_u32_e32 vcc_lo, v3, v2
	v_mov_b32_e32 v3, v2
	s_or_b32 s0, vcc_lo, s0
	s_delay_alu instid0(SALU_CYCLE_1)
	s_and_not1_b32 exec_lo, exec_lo, s0
	s_cbranch_execnz .LBB31_37
.LBB31_38:
	s_endpgm
	.section	.rodata,"a",@progbits
	.p2align	6, 0x0
	.amdhsa_kernel _ZN4vllm4gptq33gemm_half_q_half_gptq_2bit_kernelILb1ELi5EEEvPK6__halfPKjS6_S4_PS2_iiiibPKi
		.amdhsa_group_segment_fixed_size 1280
		.amdhsa_private_segment_fixed_size 0
		.amdhsa_kernarg_size 72
		.amdhsa_user_sgpr_count 2
		.amdhsa_user_sgpr_dispatch_ptr 0
		.amdhsa_user_sgpr_queue_ptr 0
		.amdhsa_user_sgpr_kernarg_segment_ptr 1
		.amdhsa_user_sgpr_dispatch_id 0
		.amdhsa_user_sgpr_kernarg_preload_length 0
		.amdhsa_user_sgpr_kernarg_preload_offset 0
		.amdhsa_user_sgpr_private_segment_size 0
		.amdhsa_wavefront_size32 1
		.amdhsa_uses_dynamic_stack 0
		.amdhsa_enable_private_segment 0
		.amdhsa_system_sgpr_workgroup_id_x 1
		.amdhsa_system_sgpr_workgroup_id_y 1
		.amdhsa_system_sgpr_workgroup_id_z 1
		.amdhsa_system_sgpr_workgroup_info 0
		.amdhsa_system_vgpr_workitem_id 0
		.amdhsa_next_free_vgpr 76
		.amdhsa_next_free_sgpr 23
		.amdhsa_named_barrier_count 0
		.amdhsa_reserve_vcc 1
		.amdhsa_float_round_mode_32 0
		.amdhsa_float_round_mode_16_64 0
		.amdhsa_float_denorm_mode_32 3
		.amdhsa_float_denorm_mode_16_64 3
		.amdhsa_fp16_overflow 0
		.amdhsa_memory_ordered 1
		.amdhsa_forward_progress 1
		.amdhsa_inst_pref_size 44
		.amdhsa_round_robin_scheduling 0
		.amdhsa_exception_fp_ieee_invalid_op 0
		.amdhsa_exception_fp_denorm_src 0
		.amdhsa_exception_fp_ieee_div_zero 0
		.amdhsa_exception_fp_ieee_overflow 0
		.amdhsa_exception_fp_ieee_underflow 0
		.amdhsa_exception_fp_ieee_inexact 0
		.amdhsa_exception_int_div_zero 0
	.end_amdhsa_kernel
	.section	.text._ZN4vllm4gptq33gemm_half_q_half_gptq_2bit_kernelILb1ELi5EEEvPK6__halfPKjS6_S4_PS2_iiiibPKi,"axG",@progbits,_ZN4vllm4gptq33gemm_half_q_half_gptq_2bit_kernelILb1ELi5EEEvPK6__halfPKjS6_S4_PS2_iiiibPKi,comdat
.Lfunc_end31:
	.size	_ZN4vllm4gptq33gemm_half_q_half_gptq_2bit_kernelILb1ELi5EEEvPK6__halfPKjS6_S4_PS2_iiiibPKi, .Lfunc_end31-_ZN4vllm4gptq33gemm_half_q_half_gptq_2bit_kernelILb1ELi5EEEvPK6__halfPKjS6_S4_PS2_iiiibPKi
                                        ; -- End function
	.set _ZN4vllm4gptq33gemm_half_q_half_gptq_2bit_kernelILb1ELi5EEEvPK6__halfPKjS6_S4_PS2_iiiibPKi.num_vgpr, 76
	.set _ZN4vllm4gptq33gemm_half_q_half_gptq_2bit_kernelILb1ELi5EEEvPK6__halfPKjS6_S4_PS2_iiiibPKi.num_agpr, 0
	.set _ZN4vllm4gptq33gemm_half_q_half_gptq_2bit_kernelILb1ELi5EEEvPK6__halfPKjS6_S4_PS2_iiiibPKi.numbered_sgpr, 23
	.set _ZN4vllm4gptq33gemm_half_q_half_gptq_2bit_kernelILb1ELi5EEEvPK6__halfPKjS6_S4_PS2_iiiibPKi.num_named_barrier, 0
	.set _ZN4vllm4gptq33gemm_half_q_half_gptq_2bit_kernelILb1ELi5EEEvPK6__halfPKjS6_S4_PS2_iiiibPKi.private_seg_size, 0
	.set _ZN4vllm4gptq33gemm_half_q_half_gptq_2bit_kernelILb1ELi5EEEvPK6__halfPKjS6_S4_PS2_iiiibPKi.uses_vcc, 1
	.set _ZN4vllm4gptq33gemm_half_q_half_gptq_2bit_kernelILb1ELi5EEEvPK6__halfPKjS6_S4_PS2_iiiibPKi.uses_flat_scratch, 0
	.set _ZN4vllm4gptq33gemm_half_q_half_gptq_2bit_kernelILb1ELi5EEEvPK6__halfPKjS6_S4_PS2_iiiibPKi.has_dyn_sized_stack, 0
	.set _ZN4vllm4gptq33gemm_half_q_half_gptq_2bit_kernelILb1ELi5EEEvPK6__halfPKjS6_S4_PS2_iiiibPKi.has_recursion, 0
	.set _ZN4vllm4gptq33gemm_half_q_half_gptq_2bit_kernelILb1ELi5EEEvPK6__halfPKjS6_S4_PS2_iiiibPKi.has_indirect_call, 0
	.section	.AMDGPU.csdata,"",@progbits
; Kernel info:
; codeLenInByte = 5620
; TotalNumSgprs: 25
; NumVgprs: 76
; ScratchSize: 0
; MemoryBound: 0
; FloatMode: 240
; IeeeMode: 1
; LDSByteSize: 1280 bytes/workgroup (compile time only)
; SGPRBlocks: 0
; VGPRBlocks: 4
; NumSGPRsForWavesPerEU: 25
; NumVGPRsForWavesPerEU: 76
; NamedBarCnt: 0
; Occupancy: 12
; WaveLimiterHint : 0
; COMPUTE_PGM_RSRC2:SCRATCH_EN: 0
; COMPUTE_PGM_RSRC2:USER_SGPR: 2
; COMPUTE_PGM_RSRC2:TRAP_HANDLER: 0
; COMPUTE_PGM_RSRC2:TGID_X_EN: 1
; COMPUTE_PGM_RSRC2:TGID_Y_EN: 1
; COMPUTE_PGM_RSRC2:TGID_Z_EN: 1
; COMPUTE_PGM_RSRC2:TIDIG_COMP_CNT: 0
	.section	.text._ZN4vllm4gptq33gemm_half_q_half_gptq_3bit_kernelILb1ELi5EEEvPK6__halfPKjS6_S4_PS2_iiiibPKi,"axG",@progbits,_ZN4vllm4gptq33gemm_half_q_half_gptq_3bit_kernelILb1ELi5EEEvPK6__halfPKjS6_S4_PS2_iiiibPKi,comdat
	.protected	_ZN4vllm4gptq33gemm_half_q_half_gptq_3bit_kernelILb1ELi5EEEvPK6__halfPKjS6_S4_PS2_iiiibPKi ; -- Begin function _ZN4vllm4gptq33gemm_half_q_half_gptq_3bit_kernelILb1ELi5EEEvPK6__halfPKjS6_S4_PS2_iiiibPKi
	.globl	_ZN4vllm4gptq33gemm_half_q_half_gptq_3bit_kernelILb1ELi5EEEvPK6__halfPKjS6_S4_PS2_iiiibPKi
	.p2align	8
	.type	_ZN4vllm4gptq33gemm_half_q_half_gptq_3bit_kernelILb1ELi5EEEvPK6__halfPKjS6_S4_PS2_iiiibPKi,@function
_ZN4vllm4gptq33gemm_half_q_half_gptq_3bit_kernelILb1ELi5EEEvPK6__halfPKjS6_S4_PS2_iiiibPKi: ; @_ZN4vllm4gptq33gemm_half_q_half_gptq_3bit_kernelILb1ELi5EEEvPK6__halfPKjS6_S4_PS2_iiiibPKi
; %bb.0:
	s_clause 0x1
	s_load_b128 s[4:7], s[0:1], 0x2c
	s_load_b64 s[12:13], s[0:1], 0x10
	s_bfe_u32 s2, ttmp6, 0x40014
	s_lshr_b32 s3, ttmp7, 16
	s_add_co_i32 s2, s2, 1
	s_bfe_u32 s9, ttmp6, 0x40010
	s_mul_i32 s2, s3, s2
	s_bfe_u32 s8, ttmp6, 0x40008
	s_and_b32 s10, ttmp7, 0xffff
	s_add_co_i32 s9, s9, 1
	s_add_co_i32 s8, s8, s2
	s_mul_i32 s2, s10, s9
	s_bfe_u32 s9, ttmp6, 0x40004
	s_getreg_b32 s19, hwreg(HW_REG_IB_STS2, 6, 4)
	s_add_co_i32 s9, s9, s2
	s_cmp_eq_u32 s19, 0
	s_cselect_b32 s2, s3, s8
	s_cselect_b32 s16, s10, s9
	s_lshl_b32 s17, s2, 7
	s_wait_kmcnt 0x0
	v_cvt_f64_i32_e32 v[4:5], s5
	s_add_co_i32 s2, s17, 0x80
	s_mul_i32 s16, s16, 5
	v_cvt_f64_u32_e32 v[2:3], s2
	s_mov_b32 s10, exec_lo
	s_delay_alu instid0(VALU_DEP_1) | instskip(NEXT) | instid1(VALU_DEP_1)
	v_min_num_f64_e32 v[2:3], v[2:3], v[4:5]
	v_cvt_i32_f64_e32 v1, v[2:3]
	v_add_nc_u32_e32 v2, s17, v0
	s_delay_alu instid0(VALU_DEP_2) | instskip(NEXT) | instid1(VALU_DEP_2)
	v_readfirstlane_b32 s18, v1
	v_cmpx_lt_u32_e64 v2, v1
	s_cbranch_execz .LBB32_12
; %bb.1:
	s_clause 0x1
	s_load_b64 s[8:9], s[0:1], 0x40
	s_load_b64 s[2:3], s[0:1], 0x0
	v_mov_b32_e32 v3, 0
	s_delay_alu instid0(VALU_DEP_1)
	v_mov_b64_e32 v[6:7], v[2:3]
	s_wait_kmcnt 0x0
	v_lshl_add_u64 v[4:5], v[2:3], 2, s[8:9]
	s_cmp_lg_u64 s[8:9], 0
	s_cselect_b32 s11, -1, 0
	s_cmp_eq_u64 s[8:9], 0
	s_cbranch_scc1 .LBB32_3
; %bb.2:
	global_load_b32 v6, v[4:5], off
	s_wait_loadcnt 0x0
	v_ashrrev_i32_e32 v7, 31, v6
.LBB32_3:
	s_mul_i32 s8, s16, s5
	v_cndmask_b32_e64 v8, 0, 1, s11
	s_ashr_i32 s9, s8, 31
	v_lshlrev_b32_e32 v1, 1, v0
	s_lshl_b64 s[14:15], s[8:9], 1
	s_and_not1_b32 vcc_lo, exec_lo, s11
	s_add_nc_u64 s[14:15], s[2:3], s[14:15]
	s_delay_alu instid0(SALU_CYCLE_1)
	v_lshl_add_u64 v[6:7], v[6:7], 1, s[14:15]
	global_load_u16 v9, v[6:7], off
	s_wait_xcnt 0x0
	v_mov_b64_e32 v[6:7], v[2:3]
	s_wait_loadcnt 0x0
	ds_store_b16 v1, v9
	s_cbranch_vccnz .LBB32_5
; %bb.4:
	global_load_b32 v6, v[4:5], off
	s_wait_loadcnt 0x0
	v_ashrrev_i32_e32 v7, 31, v6
.LBB32_5:
	s_add_co_i32 s8, s8, s5
	v_cmp_ne_u32_e32 vcc_lo, 1, v8
	s_ashr_i32 s9, s8, 31
	s_delay_alu instid0(SALU_CYCLE_1) | instskip(SKIP_2) | instid1(SALU_CYCLE_1)
	s_lshl_b64 s[14:15], s[8:9], 1
	s_and_b32 vcc_lo, exec_lo, vcc_lo
	s_add_nc_u64 s[14:15], s[2:3], s[14:15]
	v_lshl_add_u64 v[6:7], v[6:7], 1, s[14:15]
	global_load_u16 v9, v[6:7], off
	s_wait_xcnt 0x0
	v_mov_b64_e32 v[6:7], v[2:3]
	s_wait_loadcnt 0x0
	ds_store_b16 v1, v9 offset:256
	s_cbranch_vccnz .LBB32_7
; %bb.6:
	global_load_b32 v6, v[4:5], off
	s_wait_loadcnt 0x0
	v_ashrrev_i32_e32 v7, 31, v6
.LBB32_7:
	s_add_co_i32 s8, s8, s5
	v_cmp_ne_u32_e32 vcc_lo, 1, v8
	s_ashr_i32 s9, s8, 31
	s_delay_alu instid0(SALU_CYCLE_1) | instskip(SKIP_2) | instid1(SALU_CYCLE_1)
	s_lshl_b64 s[14:15], s[8:9], 1
	s_and_b32 vcc_lo, exec_lo, vcc_lo
	s_add_nc_u64 s[14:15], s[2:3], s[14:15]
	v_lshl_add_u64 v[6:7], v[6:7], 1, s[14:15]
	global_load_u16 v9, v[6:7], off
	s_wait_xcnt 0x0
	v_mov_b64_e32 v[6:7], v[2:3]
	s_wait_loadcnt 0x0
	ds_store_b16 v1, v9 offset:512
	s_cbranch_vccnz .LBB32_9
; %bb.8:
	global_load_b32 v6, v[4:5], off
	s_wait_loadcnt 0x0
	v_ashrrev_i32_e32 v7, 31, v6
.LBB32_9:
	s_add_co_i32 s8, s8, s5
	v_cmp_ne_u32_e32 vcc_lo, 1, v8
	s_ashr_i32 s9, s8, 31
	s_delay_alu instid0(SALU_CYCLE_1) | instskip(SKIP_2) | instid1(SALU_CYCLE_1)
	s_lshl_b64 s[14:15], s[8:9], 1
	s_and_b32 vcc_lo, exec_lo, vcc_lo
	s_add_nc_u64 s[14:15], s[2:3], s[14:15]
	v_lshl_add_u64 v[6:7], v[6:7], 1, s[14:15]
	global_load_u16 v6, v[6:7], off
	s_wait_loadcnt 0x0
	ds_store_b16 v1, v6 offset:768
	s_cbranch_vccnz .LBB32_11
; %bb.10:
	global_load_b32 v2, v[4:5], off
	s_wait_loadcnt 0x0
	v_ashrrev_i32_e32 v3, 31, v2
.LBB32_11:
	s_add_co_i32 s8, s8, s5
	s_delay_alu instid0(SALU_CYCLE_1) | instskip(NEXT) | instid1(SALU_CYCLE_1)
	s_ashr_i32 s9, s8, 31
	s_lshl_b64 s[8:9], s[8:9], 1
	s_delay_alu instid0(SALU_CYCLE_1) | instskip(NEXT) | instid1(SALU_CYCLE_1)
	s_add_nc_u64 s[2:3], s[2:3], s[8:9]
	v_lshl_add_u64 v[2:3], v[2:3], 1, s[2:3]
	global_load_u16 v2, v[2:3], off
	s_wait_loadcnt 0x0
	ds_store_b16 v1, v2 offset:1024
.LBB32_12:
	s_or_b32 exec_lo, exec_lo, s10
	s_clause 0x1
	s_load_b64 s[14:15], s[0:1], 0x8
	s_load_b128 s[8:11], s[0:1], 0x18
	s_wait_xcnt 0x0
	s_bfe_u32 s0, ttmp6, 0x4000c
	s_and_b32 s1, ttmp6, 15
	s_add_co_i32 s0, s0, 1
	v_lshlrev_b32_e32 v0, 2, v0
	s_mul_i32 s0, ttmp9, s0
	s_delay_alu instid0(SALU_CYCLE_1) | instskip(SKIP_2) | instid1(SALU_CYCLE_1)
	s_add_co_i32 s1, s1, s0
	s_cmp_eq_u32 s19, 0
	s_cselect_b32 s0, ttmp9, s1
	v_lshl_add_u32 v12, s0, 9, v0
	s_mov_b32 s0, exec_lo
	s_delay_alu instid0(VALU_DEP_1)
	v_cmpx_gt_i32_e64 s4, v12
	s_cbranch_execz .LBB32_70
; %bb.13:
	s_abs_i32 s0, s6
	s_abs_i32 s3, s5
	s_cvt_f32_u32 s1, s0
	s_sub_co_i32 s2, 0, s0
	v_and_b32_e32 v2, 28, v0
	s_wait_dscnt 0x0
	v_rcp_iflag_f32_e32 v1, s1
	s_barrier_signal -1
	s_barrier_wait -1
	v_cmp_lt_u32_e32 vcc_lo, 4, v2
                                        ; implicit-def: $vgpr0
	s_delay_alu instid0(TRANS32_DEP_1) | instskip(SKIP_1) | instid1(SALU_CYCLE_3)
	v_readfirstlane_b32 s1, v1
	s_mul_f32 s1, s1, 0x4f7ffffe
	s_cvt_u32_f32 s1, s1
	s_delay_alu instid0(SALU_CYCLE_3) | instskip(NEXT) | instid1(SALU_CYCLE_1)
	s_mul_i32 s2, s2, s1
	s_mul_hi_u32 s2, s1, s2
	s_delay_alu instid0(SALU_CYCLE_1) | instskip(SKIP_4) | instid1(SALU_CYCLE_1)
	s_add_co_i32 s1, s1, s2
	s_xor_b32 s2, s5, s6
	s_mul_hi_u32 s1, s3, s1
	s_ashr_i32 s2, s2, 31
	s_mul_i32 s5, s1, s0
	s_sub_co_i32 s3, s3, s5
	s_add_co_i32 s5, s1, 1
	s_sub_co_i32 s6, s3, s0
	s_cmp_ge_u32 s3, s0
	s_cselect_b32 s1, s5, s1
	s_cselect_b32 s3, s6, s3
	s_add_co_i32 s5, s1, 1
	s_cmp_ge_u32 s3, s0
	s_cselect_b32 s0, s5, s1
	s_delay_alu instid0(SALU_CYCLE_1) | instskip(NEXT) | instid1(SALU_CYCLE_1)
	s_xor_b32 s0, s0, s2
	s_sub_co_i32 s3, s0, s2
	s_delay_alu instid0(SALU_CYCLE_1) | instskip(SKIP_1) | instid1(SALU_CYCLE_2)
	s_cvt_f32_u32 s0, s3
	s_sub_co_i32 s1, 0, s3
	v_rcp_iflag_f32_e32 v1, s0
	v_nop
	s_delay_alu instid0(TRANS32_DEP_1) | instskip(SKIP_1) | instid1(SALU_CYCLE_3)
	v_readfirstlane_b32 s0, v1
                                        ; implicit-def: $vgpr1
	s_mul_f32 s0, s0, 0x4f7ffffe
	s_cvt_u32_f32 s0, s0
	s_delay_alu instid0(SALU_CYCLE_3) | instskip(NEXT) | instid1(SALU_CYCLE_1)
	s_mul_i32 s1, s1, s0
	s_mul_hi_u32 s1, s0, s1
	s_delay_alu instid0(SALU_CYCLE_1) | instskip(NEXT) | instid1(SALU_CYCLE_1)
	s_add_co_i32 s0, s0, s1
	s_mul_hi_u32 s0, s17, s0
	s_delay_alu instid0(SALU_CYCLE_1) | instskip(SKIP_2) | instid1(SALU_CYCLE_1)
	s_mul_i32 s1, s0, s3
	s_add_co_i32 s2, s0, 1
	s_sub_co_i32 s1, s17, s1
	s_sub_co_i32 s5, s1, s3
	s_cmp_ge_u32 s1, s3
	s_cselect_b32 s0, s2, s0
	s_cselect_b32 s1, s5, s1
	s_add_co_i32 s2, s0, 1
	s_cmp_ge_u32 s1, s3
	s_cselect_b32 s19, s2, s0
	s_and_saveexec_b32 s0, vcc_lo
	s_delay_alu instid0(SALU_CYCLE_1)
	s_xor_b32 s1, exec_lo, s0
	s_cbranch_execz .LBB32_27
; %bb.14:
	s_mov_b32 s2, exec_lo
                                        ; implicit-def: $vgpr1
                                        ; implicit-def: $vgpr0
	v_cmpx_ne_u32_e32 8, v2
	s_xor_b32 s2, exec_lo, s2
	s_cbranch_execz .LBB32_24
; %bb.15:
	s_mov_b32 s5, exec_lo
                                        ; implicit-def: $vgpr1
                                        ; implicit-def: $vgpr0
	v_cmpx_lt_u32_e32 16, v2
	s_xor_b32 s5, exec_lo, s5
	s_cbranch_execz .LBB32_21
; %bb.16:
	v_lshl_add_u32 v0, v12, 1, v12
	s_mul_i32 s6, s19, s4
	s_delay_alu instid0(SALU_CYCLE_1) | instskip(NEXT) | instid1(SALU_CYCLE_1)
	s_ashr_i32 s0, s6, 31
	s_lshr_b32 s0, s0, 27
	s_delay_alu instid0(VALU_DEP_1) | instskip(SKIP_1) | instid1(SALU_CYCLE_1)
	v_ashrrev_i32_e32 v1, 31, v0
	s_add_co_i32 s0, s6, s0
	s_ashr_i32 s0, s0, 5
	s_delay_alu instid0(VALU_DEP_1) | instskip(NEXT) | instid1(VALU_DEP_1)
	v_lshrrev_b32_e32 v1, 27, v1
	v_add_nc_u32_e32 v0, v0, v1
                                        ; implicit-def: $vgpr1
	s_delay_alu instid0(VALU_DEP_1) | instskip(NEXT) | instid1(VALU_DEP_1)
	v_ashrrev_i32_e32 v0, 5, v0
	v_mad_u32 v0, s0, 3, v0
	v_cmp_ne_u32_e64 s0, 20, v2
	global_load_b32 v3, v0, s[12:13] scale_offset
	s_wait_xcnt 0x0
	s_and_saveexec_b32 s20, s0
	s_delay_alu instid0(SALU_CYCLE_1)
	s_xor_b32 s0, exec_lo, s20
	s_cbranch_execz .LBB32_18
; %bb.17:
	v_mad_u32_u24 v0, v2, 3, 0xffffffc0
	s_wait_loadcnt 0x0
	s_delay_alu instid0(VALU_DEP_1)
	v_lshrrev_b32_e32 v1, v0, v3
                                        ; implicit-def: $vgpr0
                                        ; implicit-def: $vgpr3
.LBB32_18:
	s_and_not1_saveexec_b32 s0, s0
	s_cbranch_execz .LBB32_20
; %bb.19:
	v_ashrrev_i32_e32 v1, 31, v0
	s_delay_alu instid0(VALU_DEP_1) | instskip(SKIP_3) | instid1(VALU_DEP_1)
	v_lshl_add_u64 v[0:1], v[0:1], 2, s[12:13]
	global_load_b32 v0, v[0:1], off offset:4
	s_wait_loadcnt 0x0
	v_alignbit_b32 v0, v0, v3, 28
	v_and_b32_e32 v1, 0xfff, v0
.LBB32_20:
	s_or_b32 exec_lo, exec_lo, s0
	v_mov_b32_e32 v0, s6
.LBB32_21:
	s_and_not1_saveexec_b32 s0, s5
	s_cbranch_execz .LBB32_23
; %bb.22:
	v_lshl_add_u32 v0, v12, 1, v12
	s_mul_i32 s5, s19, s4
	s_delay_alu instid0(SALU_CYCLE_1) | instskip(NEXT) | instid1(SALU_CYCLE_1)
	s_ashr_i32 s6, s5, 31
	s_lshr_b32 s6, s6, 27
	s_delay_alu instid0(VALU_DEP_1) | instskip(SKIP_1) | instid1(SALU_CYCLE_1)
	v_ashrrev_i32_e32 v1, 31, v0
	s_add_co_i32 s6, s5, s6
	s_ashr_i32 s6, s6, 5
	s_delay_alu instid0(VALU_DEP_1) | instskip(NEXT) | instid1(VALU_DEP_1)
	v_lshrrev_b32_e32 v1, 27, v1
	v_add_nc_u32_e32 v0, v0, v1
	v_mad_u32_u24 v1, v2, 3, 0xffffffe0
	s_delay_alu instid0(VALU_DEP_2) | instskip(NEXT) | instid1(VALU_DEP_1)
	v_ashrrev_i32_e32 v0, 5, v0
	v_mad_u32 v0, s6, 3, v0
	global_load_b32 v0, v0, s[12:13] scale_offset
	s_wait_loadcnt 0x0
	v_dual_mov_b32 v0, s5 :: v_dual_lshrrev_b32 v1, v1, v0
.LBB32_23:
	s_or_b32 exec_lo, exec_lo, s0
.LBB32_24:
	s_and_not1_saveexec_b32 s0, s2
	s_cbranch_execz .LBB32_26
; %bb.25:
	v_lshl_add_u32 v0, v12, 1, v12
	s_mul_i32 s2, s19, s4
	s_delay_alu instid0(SALU_CYCLE_1) | instskip(NEXT) | instid1(SALU_CYCLE_1)
	s_ashr_i32 s5, s2, 31
	s_lshr_b32 s5, s5, 27
	s_delay_alu instid0(VALU_DEP_1) | instskip(SKIP_1) | instid1(SALU_CYCLE_1)
	v_ashrrev_i32_e32 v1, 31, v0
	s_add_co_i32 s5, s2, s5
	s_ashr_i32 s5, s5, 5
	s_delay_alu instid0(VALU_DEP_1) | instskip(NEXT) | instid1(VALU_DEP_1)
	v_lshrrev_b32_e32 v1, 27, v1
	v_add_nc_u32_e32 v0, v0, v1
	s_delay_alu instid0(VALU_DEP_1) | instskip(NEXT) | instid1(VALU_DEP_1)
	v_ashrrev_i32_e32 v0, 5, v0
	v_mad_u32 v0, s5, 3, v0
	s_delay_alu instid0(VALU_DEP_1) | instskip(NEXT) | instid1(VALU_DEP_1)
	v_ashrrev_i32_e32 v1, 31, v0
	v_lshl_add_u64 v[0:1], v[0:1], 2, s[12:13]
	global_load_b64 v[0:1], v[0:1], off
	s_wait_loadcnt 0x0
	v_perm_b32 v0, v0, v1, 0x2010007
	s_delay_alu instid0(VALU_DEP_1)
	v_and_b32_e32 v1, 0xfff, v0
	v_mov_b32_e32 v0, s2
.LBB32_26:
	s_or_b32 exec_lo, exec_lo, s0
.LBB32_27:
	s_or_saveexec_b32 s0, s1
	s_wait_loadcnt 0x0
	v_lshl_add_u32 v3, v12, 1, v12
	v_mul_u32_u24_e32 v32, 3, v2
	s_delay_alu instid0(VALU_DEP_2)
	v_ashrrev_i32_e32 v4, 31, v3
	s_xor_b32 exec_lo, exec_lo, s0
	s_cbranch_execz .LBB32_29
; %bb.28:
	s_delay_alu instid0(VALU_DEP_1) | instskip(SKIP_1) | instid1(SALU_CYCLE_1)
	v_lshrrev_b32_e32 v0, 27, v4
	s_mul_i32 s1, s19, s4
	s_ashr_i32 s2, s1, 31
	s_delay_alu instid0(SALU_CYCLE_1) | instskip(NEXT) | instid1(VALU_DEP_1)
	s_lshr_b32 s2, s2, 27
	v_add_nc_u32_e32 v0, v3, v0
	s_add_co_i32 s2, s1, s2
	s_delay_alu instid0(SALU_CYCLE_1) | instskip(NEXT) | instid1(VALU_DEP_1)
	s_ashr_i32 s2, s2, 5
	v_ashrrev_i32_e32 v0, 5, v0
	s_delay_alu instid0(VALU_DEP_1)
	v_mad_u32 v0, s2, 3, v0
	global_load_b32 v0, v0, s[12:13] scale_offset
	s_wait_loadcnt 0x0
	v_dual_mov_b32 v0, s1 :: v_dual_lshrrev_b32 v1, v32, v0
.LBB32_29:
	s_or_b32 exec_lo, exec_lo, s0
	v_dual_mov_b32 v35, 0 :: v_dual_mov_b32 v34, 0
	v_dual_mov_b32 v33, 0 :: v_dual_mov_b32 v31, 0
	;; [unrolled: 1-line block ×5, first 2 shown]
	s_cmp_ge_i32 s17, s18
	s_mov_b32 s20, 0
	s_cbranch_scc1 .LBB32_50
; %bb.30:
	v_dual_add_nc_u32 v6, v0, v12 :: v_dual_ashrrev_i32 v13, 31, v12
	s_lshr_b32 s0, s17, 5
	s_add_co_i32 s21, s3, s17
	s_mul_i32 s0, s0, s4
	s_delay_alu instid0(VALU_DEP_1)
	v_dual_ashrrev_i32 v7, 31, v6 :: v_dual_lshrrev_b32 v0, 27, v4
	s_mul_i32 s22, s0, 3
	v_bfe_u32 v40, v1, 9, 3
	s_ashr_i32 s23, s22, 31
	s_wait_kmcnt 0x0
	v_lshl_add_u64 v[6:7], v[6:7], 1, s[8:9]
	s_bitcmp1_b32 s7, 0
	v_dual_add_nc_u32 v0, v3, v0 :: v_dual_bitop2_b32 v43, 7, v1 bitop3:0x40
	s_cselect_b32 s0, -1, 0
	global_load_b64 v[16:17], v[6:7], off
	s_lshl_b64 s[6:7], s[22:23], 2
	s_xor_b32 s0, s0, -1
	s_add_nc_u64 s[6:7], s[14:15], s[6:7]
	v_cndmask_b32_e64 v36, 0, 1, s0
	v_bfe_u32 v41, v1, 6, 3
	v_bfe_u32 v42, v1, 3, 3
	v_cmp_ne_u32_e64 s0, 8, v2
	v_cmp_lt_u32_e64 s1, 16, v2
	v_cmp_ne_u32_e64 s2, 20, v2
	v_ashrrev_i32_e32 v37, 5, v0
	v_mad_u32_u24 v38, v2, 3, 0xffffffc0
	v_mad_u32_u24 v39, v2, 3, 0xffffffe0
	v_lshl_add_u64 v[14:15], v[12:13], 2, s[6:7]
	v_dual_mov_b32 v13, 0 :: v_dual_mov_b32 v26, 0
	v_dual_mov_b32 v27, 0 :: v_dual_mov_b32 v28, 0
	;; [unrolled: 1-line block ×5, first 2 shown]
	s_ashr_i32 s5, s4, 31
	s_mov_b32 s22, 0x70007
	s_mul_u64 s[6:7], s[4:5], 12
	s_lshl_b64 s[14:15], s[4:5], 2
	s_mov_b32 s5, 0x10001
	s_mov_b32 s23, 0x380038
	;; [unrolled: 1-line block ×3, first 2 shown]
	s_branch .LBB32_33
.LBB32_31:                              ;   in Loop: Header=BB32_33 Depth=1
	s_or_b32 exec_lo, exec_lo, s26
	s_delay_alu instid0(VALU_DEP_1) | instskip(SKIP_3) | instid1(VALU_DEP_4)
	v_dual_add_nc_u32 v0, s25, v12 :: v_dual_bitop2_b32 v43, 7, v2 bitop3:0x40
	v_bfe_u32 v42, v2, 3, 3
	v_bfe_u32 v41, v2, 6, 3
	;; [unrolled: 1-line block ×3, first 2 shown]
	v_ashrrev_i32_e32 v1, 31, v0
	s_add_co_i32 s21, s21, s3
	s_delay_alu instid0(VALU_DEP_1)
	v_lshl_add_u64 v[0:1], v[0:1], 1, s[8:9]
	s_wait_loadcnt 0x1
	global_load_b64 v[16:17], v[0:1], off
.LBB32_32:                              ;   in Loop: Header=BB32_33 Depth=1
	global_load_b128 v[8:11], v[14:15], off
	s_wait_xcnt 0x1
	v_add_nc_u64_e32 v[0:1], s[14:15], v[14:15]
	v_dual_add_nc_u32 v21, v43, v36 :: v_dual_add_nc_u32 v20, v42, v36
	v_dual_add_nc_u32 v19, v41, v36 :: v_dual_add_nc_u32 v18, v40, v36
	s_add_co_i32 s25, s20, 0x400
	s_delay_alu instid0(VALU_DEP_2)
	v_cvt_f32_u32_e32 v22, v21
	global_load_b128 v[4:7], v[0:1], off
	s_wait_xcnt 0x0
	v_add_nc_u64_e32 v[0:1], s[14:15], v[0:1]
	v_mad_u32_u24 v54, v21, s5, 0xe400e400
	v_cvt_f32_u32_e32 v21, v20
	v_mad_u32_u24 v53, v20, s5, 0xe400e400
	v_cvt_f32_u32_e32 v20, v19
	v_mov_b32_e32 v44, s20
	v_mad_u32_u24 v79, v19, s5, 0xe400e400
	s_wait_loadcnt 0x3
	global_load_b128 v[0:3], v[0:1], off
	v_cvt_f32_u32_e32 v19, v18
	v_cvt_f16_f32_e32 v45, v22
	v_cvt_f16_f32_e32 v46, v21
	;; [unrolled: 1-line block ×3, first 2 shown]
	v_mad_u32_u24 v92, v18, s5, 0xe400e400
	v_cvt_f16_f32_e32 v48, v19
	v_sub_f16_e32 v22, 0xd800, v45
	v_sub_f16_e32 v23, 0xd800, v46
	;; [unrolled: 1-line block ×3, first 2 shown]
	v_add_nc_u64_e32 v[14:15], s[6:7], v[14:15]
	v_sub_f16_e32 v25, 0xd800, v48
	v_and_b32_e32 v22, 0xffff, v22
	v_and_b32_e32 v23, 0xffff, v23
	;; [unrolled: 1-line block ×3, first 2 shown]
	s_add_co_i32 s17, s17, 32
	v_and_b32_e32 v25, 0xffff, v25
	v_mul_u32_u24_e32 v55, 0x10001, v22
	v_mul_u32_u24_e32 v49, 0x10001, v23
	;; [unrolled: 1-line block ×3, first 2 shown]
	s_delay_alu instid0(VALU_DEP_4)
	v_mul_u32_u24_e32 v56, 0x10001, v25
	s_wait_loadcnt 0x2
	v_lshrrev_b32_e32 v64, 6, v8
	ds_load_2addr_b32 v[20:21], v44 offset1:1
	ds_load_2addr_b32 v[18:19], v44 offset0:64 offset1:65
	ds_load_2addr_b32 v[100:101], v44 offset0:128 offset1:129
	v_and_or_b32 v22, v8, s22, 0x64006400
	v_and_or_b32 v23, v8, s23, 0x64006400
	v_dual_lshrrev_b32 v61, 15, v8 :: v_dual_lshrrev_b32 v65, 6, v9
	v_and_or_b32 v8, v9, s22, 0x64006400
	v_and_or_b32 v24, v9, s23, 0x64006400
	v_dual_lshrrev_b32 v58, 15, v9 :: v_dual_lshrrev_b32 v67, 6, v10
	;; [unrolled: 3-line block ×3, first 2 shown]
	v_and_or_b32 v10, v11, s22, 0x64006400
	v_and_or_b32 v52, v11, s23, 0x64006400
	v_pk_add_f16 v22, v54, v22
	v_pk_add_f16 v25, v53, v8
	;; [unrolled: 1-line block ×4, first 2 shown]
	s_wait_loadcnt 0x1
	v_dual_lshrrev_b32 v59, 15, v11 :: v_dual_lshrrev_b32 v80, 6, v4
	v_pk_fma_f16 v23, 0x3000, v23, v55 op_sel_hi:[0,1,1]
	v_pk_fma_f16 v24, 0x3000, v24, v49 op_sel_hi:[0,1,1]
	;; [unrolled: 1-line block ×4, first 2 shown]
	v_and_or_b32 v77, v4, s22, 0x64006400
	v_and_or_b32 v73, v4, s23, 0x64006400
	v_dual_lshrrev_b32 v71, 14, v4 :: v_dual_lshrrev_b32 v74, 6, v5
	v_and_or_b32 v66, v5, s22, 0x64006400
	v_and_or_b32 v72, v5, s23, 0x64006400
	v_dual_lshrrev_b32 v81, 14, v5 :: v_dual_lshrrev_b32 v75, 6, v6
	;; [unrolled: 3-line block ×3, first 2 shown]
	v_and_or_b32 v93, v7, s22, 0x64006400
	v_and_or_b32 v57, v7, s23, 0x64006400
	s_wait_loadcnt 0x0
	v_dual_lshrrev_b32 v96, 14, v7 :: v_dual_lshrrev_b32 v70, 6, v0
	s_wait_dscnt 0x2
	v_pk_fma_f16 v4, v22, v20, 0
	v_pk_fma_f16 v5, v25, v20, 0
	v_pk_fma_f16 v6, v87, v20, 0
	v_pk_fma_f16 v7, v10, v20, 0
	s_wait_dscnt 0x1
	v_pk_fma_f16 v8, v22, v18, 0
	v_pk_fma_f16 v9, v25, v18, 0
	v_pk_fma_f16 v20, v87, v18, 0
	v_pk_fma_f16 v18, v10, v18, 0
	;; [unrolled: 5-line block ×3, first 2 shown]
	v_pk_fma_f16 v109, v24, v19, v9
	v_pk_fma_f16 v20, v85, v19, v20
	;; [unrolled: 1-line block ×3, first 2 shown]
	v_and_or_b32 v18, v69, s22, 0x64006400
	v_and_or_b32 v19, v69, s23, 0x64006400
	v_pk_fma_f16 v105, v23, v21, v4
	v_pk_fma_f16 v107, v85, v21, v6
	;; [unrolled: 1-line block ×6, first 2 shown]
	v_pk_add_f16 v5, v92, v18
	v_pk_fma_f16 v51, 0x3000, v19, v56 op_sel_hi:[0,1,1]
	ds_load_2addr_b32 v[18:19], v44 offset0:2 offset1:3
	v_and_or_b32 v78, v64, s22, 0x64006400
	v_and_or_b32 v99, v65, s22, 0x64006400
	;; [unrolled: 1-line block ×6, first 2 shown]
	v_pk_fma_f16 v21, v11, v21, v7
	v_pk_fma_f16 v111, v24, v101, v4
	v_pk_add_f16 v9, v54, v78
	v_pk_add_f16 v7, v53, v99
	;; [unrolled: 1-line block ×3, first 2 shown]
	v_pk_fma_f16 v101, v11, v101, v6
	v_pk_fma_f16 v8, 0x3000, v88, v55 op_sel_hi:[0,1,1]
	v_pk_fma_f16 v6, 0x3000, v102, v49 op_sel_hi:[0,1,1]
	;; [unrolled: 1-line block ×3, first 2 shown]
	v_dual_lshrrev_b32 v98, 13, v0 :: v_dual_lshrrev_b32 v76, 6, v1
	v_and_or_b32 v82, v0, s23, 0x64006400
	v_dual_lshrrev_b32 v97, 13, v1 :: v_dual_lshrrev_b32 v89, 6, v2
	s_wait_dscnt 0x0
	v_pk_fma_f16 v78, v9, v18, v105
	v_pk_fma_f16 v88, v7, v18, v106
	;; [unrolled: 1-line block ×4, first 2 shown]
	v_dual_lshrrev_b32 v94, 13, v2 :: v_dual_lshrrev_b32 v90, 6, v3
	v_pk_fma_f16 v103, v8, v19, v78
	v_pk_fma_f16 v104, v6, v19, v88
	;; [unrolled: 1-line block ×4, first 2 shown]
	ds_load_2addr_b32 v[18:19], v44 offset0:66 offset1:67
	v_and_or_b32 v63, v0, s22, 0x64006400
	v_and_or_b32 v0, v1, s22, 0x64006400
	;; [unrolled: 1-line block ×7, first 2 shown]
	v_lshrrev_b32_e32 v3, 13, v3
	s_delay_alu instid0(VALU_DEP_3) | instskip(NEXT) | instid1(VALU_DEP_2)
	v_pk_add_f16 v86, v92, v86
	v_and_b32_e32 v3, 0x40004, v3
	s_wait_dscnt 0x0
	v_pk_fma_f16 v21, v9, v18, v108
	v_pk_fma_f16 v78, v7, v18, v109
	;; [unrolled: 1-line block ×4, first 2 shown]
	s_delay_alu instid0(VALU_DEP_4) | instskip(NEXT) | instid1(VALU_DEP_4)
	v_pk_fma_f16 v107, v8, v19, v21
	v_pk_fma_f16 v108, v6, v19, v78
	s_delay_alu instid0(VALU_DEP_4) | instskip(NEXT) | instid1(VALU_DEP_4)
	v_pk_fma_f16 v109, v52, v19, v20
	v_pk_fma_f16 v110, v51, v19, v18
	ds_load_2addr_b32 v[18:19], v44 offset0:130 offset1:131
	s_wait_dscnt 0x0
	v_pk_fma_f16 v20, v9, v18, v100
	v_pk_fma_f16 v21, v7, v18, v111
	;; [unrolled: 1-line block ×4, first 2 shown]
	v_and_or_b32 v111, v80, s22, 0x64006400
	v_pk_fma_f16 v99, v8, v19, v20
	v_sub_f16_e32 v20, 0xcc00, v47
	v_pk_fma_f16 v100, v6, v19, v21
	v_pk_fma_f16 v102, v51, v19, v18
	v_sub_f16_e32 v18, 0xcc00, v45
	v_sub_f16_e32 v21, 0xcc00, v48
	v_and_b32_e32 v20, 0xffff, v20
	v_pk_fma_f16 v101, v52, v19, v78
	v_sub_f16_e32 v19, 0xcc00, v46
	v_and_b32_e32 v18, 0xffff, v18
	v_and_b32_e32 v21, 0xffff, v21
	v_mul_u32_u24_e32 v45, 0x10001, v20
	v_and_or_b32 v20, v64, s24, 0x64006400
	v_and_or_b32 v46, v67, s24, 0x64006400
	v_mul_u32_u24_e32 v18, 0x10001, v18
	v_mul_u32_u24_e32 v47, 0x10001, v21
	v_and_or_b32 v21, v65, s24, 0x64006400
	v_and_or_b32 v48, v69, s24, 0x64006400
	v_and_b32_e32 v65, 0x20002, v95
	v_pk_fma_f16 v88, 0x2400, v20, v18 op_sel_hi:[0,1,1]
	v_and_b32_e32 v20, 0x20002, v71
	v_pk_fma_f16 v71, 0x2400, v46, v45 op_sel_hi:[0,1,1]
	v_pk_fma_f16 v64, 0x2400, v48, v47 op_sel_hi:[0,1,1]
	v_and_or_b32 v48, v80, s23, 0x64006400
	v_and_or_b32 v95, 0x10001, v60, v65
	;; [unrolled: 1-line block ×3, first 2 shown]
	v_and_b32_e32 v61, 0x20002, v81
	v_and_b32_e32 v65, 0x40004, v98
	v_and_or_b32 v67, v80, s24, 0x64006400
	v_pk_fma_f16 v80, 0x3000, v48, v55 op_sel_hi:[0,1,1]
	v_and_b32_e32 v19, 0xffff, v19
	v_and_or_b32 v61, 0x10001, v58, v61
	v_and_b32_e32 v58, 0x20002, v96
	v_or3_b32 v96, v46, v65, 0x64006400
	v_and_or_b32 v46, v70, s24, 0x64006400
	v_pk_fma_f16 v81, 0x3000, v72, v49 op_sel_hi:[0,1,1]
	v_pk_fma_f16 v72, 0x3000, v82, v55 op_sel_hi:[0,1,1]
	v_and_or_b32 v48, 0x10001, v59, v58
	v_and_or_b32 v58, v70, s23, 0x64006400
	v_and_b32_e32 v59, 0x40004, v97
	v_pk_fma_f16 v82, 0x2400, v67, v18 op_sel_hi:[0,1,1]
	v_mul_u32_u24_e32 v19, 0x10001, v19
	v_and_or_b32 v60, v74, s24, 0x64006400
	v_pk_fma_f16 v65, 0x3000, v58, v55 op_sel_hi:[0,1,1]
	v_pk_fma_f16 v58, 0x2400, v46, v18 op_sel_hi:[0,1,1]
	v_and_or_b32 v18, v76, s23, 0x64006400
	v_or3_b32 v112, v61, v59, 0x64006400
	v_pk_fma_f16 v78, 0x2400, v21, v19 op_sel_hi:[0,1,1]
	v_pk_fma_f16 v21, 0x3000, v73, v55 op_sel_hi:[0,1,1]
	v_and_or_b32 v69, v74, s23, 0x64006400
	v_pk_fma_f16 v61, 0x3000, v18, v49 op_sel_hi:[0,1,1]
	v_and_or_b32 v18, v76, s24, 0x64006400
	v_and_or_b32 v55, v75, s23, 0x64006400
	v_and_b32_e32 v46, 0x40004, v94
	v_pk_fma_f16 v73, 0x2400, v60, v19 op_sel_hi:[0,1,1]
	v_pk_add_f16 v20, v54, v77
	v_pk_fma_f16 v60, 0x2400, v18, v19 op_sel_hi:[0,1,1]
	v_and_or_b32 v18, v89, s23, 0x64006400
	v_and_or_b32 v97, v75, s24, 0x64006400
	v_pk_fma_f16 v77, 0x3000, v69, v49 op_sel_hi:[0,1,1]
	v_pk_fma_f16 v69, 0x3000, v91, v49 op_sel_hi:[0,1,1]
	;; [unrolled: 1-line block ×4, first 2 shown]
	v_or3_b32 v19, v95, v46, 0x64006400
	v_and_or_b32 v62, v89, s24, 0x64006400
	v_pk_fma_f16 v49, 0x3000, v84, v50 op_sel_hi:[0,1,1]
	v_pk_fma_f16 v46, 0x3000, v18, v50 op_sel_hi:[0,1,1]
	v_and_or_b32 v50, v83, s23, 0x64006400
	v_pk_fma_f16 v55, 0x2400, v97, v45 op_sel_hi:[0,1,1]
	v_pk_fma_f16 v45, 0x2400, v62, v45 op_sel_hi:[0,1,1]
	v_and_or_b32 v84, v83, s24, 0x64006400
	v_or3_b32 v18, v48, v3, 0x64006400
	v_and_or_b32 v3, v90, s23, 0x64006400
	v_pk_fma_f16 v62, 0x3000, v57, v56 op_sel_hi:[0,1,1]
	v_pk_fma_f16 v57, 0x3000, v50, v56 op_sel_hi:[0,1,1]
	;; [unrolled: 1-line block ×3, first 2 shown]
	v_and_or_b32 v2, v90, s24, 0x64006400
	v_pk_fma_f16 v48, 0x3000, v3, v56 op_sel_hi:[0,1,1]
	v_pk_fma_f16 v56, 0x2400, v84, v47 op_sel_hi:[0,1,1]
	v_and_or_b32 v70, v70, s22, 0x64006400
	v_pk_add_f16 v91, v54, v111
	v_pk_fma_f16 v47, 0x2400, v2, v47 op_sel_hi:[0,1,1]
	ds_load_2addr_b32 v[2:3], v44 offset0:4 offset1:5
	v_pk_add_f16 v84, v54, v63
	v_pk_add_f16 v70, v54, v70
	;; [unrolled: 1-line block ×3, first 2 shown]
	v_and_or_b32 v54, v74, s22, 0x64006400
	v_pk_add_f16 v98, v53, v66
	v_and_or_b32 v66, v75, s22, 0x64006400
	v_pk_add_f16 v75, v79, v68
	;; [unrolled: 2-line block ×4, first 2 shown]
	v_pk_add_f16 v89, v53, v0
	v_pk_add_f16 v66, v79, v1
	ds_load_2addr_b32 v[0:1], v44 offset0:68 offset1:69
	v_pk_add_f16 v76, v53, v54
	v_pk_add_f16 v54, v79, v68
	;; [unrolled: 1-line block ×5, first 2 shown]
	s_wait_dscnt 0x1
	v_pk_fma_f16 v19, v88, v2, v103
	v_pk_fma_f16 v93, v78, v2, v104
	;; [unrolled: 1-line block ×4, first 2 shown]
	ds_load_2addr_b32 v[104:105], v44 offset0:6 offset1:7
	v_pk_fma_f16 v96, v20, v3, v19
	v_pk_fma_f16 v103, v98, v3, v93
	;; [unrolled: 1-line block ×4, first 2 shown]
	ds_load_2addr_b32 v[2:3], v44 offset0:132 offset1:133
	v_and_or_b32 v90, v90, s22, 0x64006400
	s_wait_dscnt 0x2
	v_pk_fma_f16 v19, v88, v0, v107
	v_pk_fma_f16 v93, v78, v0, v108
	;; [unrolled: 1-line block ×4, first 2 shown]
	v_pk_add_f16 v90, v92, v90
	v_pk_fma_f16 v19, v20, v1, v19
	v_pk_fma_f16 v93, v98, v1, v93
	;; [unrolled: 1-line block ×4, first 2 shown]
	s_wait_dscnt 0x0
	v_pk_fma_f16 v0, v88, v2, v99
	v_pk_fma_f16 v1, v78, v2, v100
	;; [unrolled: 1-line block ×4, first 2 shown]
	s_delay_alu instid0(VALU_DEP_4) | instskip(NEXT) | instid1(VALU_DEP_4)
	v_pk_fma_f16 v100, v20, v3, v0
	v_pk_fma_f16 v101, v98, v3, v1
	ds_load_2addr_b32 v[0:1], v44 offset0:70 offset1:71
	v_pk_fma_f16 v102, v79, v3, v2
	v_and_or_b32 v2, v83, s22, 0x64006400
	v_pk_fma_f16 v99, v75, v3, v99
	s_delay_alu instid0(VALU_DEP_2)
	v_pk_add_f16 v83, v92, v2
	v_pk_add_f16 v92, v92, v18
	s_wait_dscnt 0x0
	v_pk_fma_f16 v19, v21, v0, v19
	v_pk_fma_f16 v93, v81, v0, v93
	;; [unrolled: 1-line block ×4, first 2 shown]
	s_delay_alu instid0(VALU_DEP_4) | instskip(NEXT) | instid1(VALU_DEP_4)
	v_pk_fma_f16 v19, v91, v1, v19
	v_pk_fma_f16 v93, v97, v1, v93
	s_delay_alu instid0(VALU_DEP_4) | instskip(NEXT) | instid1(VALU_DEP_4)
	v_pk_fma_f16 v94, v74, v1, v94
	v_pk_fma_f16 v95, v83, v1, v0
	ds_load_2addr_b32 v[0:1], v44 offset0:8 offset1:9
	v_pk_fma_f16 v2, v21, v104, v96
	v_pk_fma_f16 v3, v81, v104, v103
	;; [unrolled: 1-line block ×4, first 2 shown]
	s_delay_alu instid0(VALU_DEP_4) | instskip(NEXT) | instid1(VALU_DEP_4)
	v_pk_fma_f16 v104, v91, v105, v2
	v_pk_fma_f16 v106, v97, v105, v3
	ds_load_2addr_b32 v[2:3], v44 offset0:134 offset1:135
	v_pk_fma_f16 v96, v74, v105, v96
	v_pk_fma_f16 v103, v83, v105, v103
	s_wait_dscnt 0x1
	v_pk_fma_f16 v104, v80, v0, v104
	v_pk_fma_f16 v105, v77, v0, v106
	v_pk_fma_f16 v96, v59, v0, v96
	v_pk_fma_f16 v0, v57, v0, v103
	s_delay_alu instid0(VALU_DEP_4) | instskip(NEXT) | instid1(VALU_DEP_4)
	v_pk_fma_f16 v103, v82, v1, v104
	v_pk_fma_f16 v104, v73, v1, v105
	s_delay_alu instid0(VALU_DEP_4)
	v_pk_fma_f16 v96, v55, v1, v96
	s_wait_dscnt 0x0
	v_pk_fma_f16 v100, v21, v2, v100
	v_pk_fma_f16 v101, v81, v2, v101
	;; [unrolled: 1-line block ×9, first 2 shown]
	ds_load_2addr_b32 v[2:3], v44 offset0:72 offset1:73
	ds_load_2addr_b32 v[0:1], v44 offset0:136 offset1:137
	s_wait_dscnt 0x1
	v_pk_fma_f16 v19, v80, v2, v19
	v_pk_fma_f16 v93, v77, v2, v93
	;; [unrolled: 1-line block ×4, first 2 shown]
	s_wait_dscnt 0x0
	v_pk_fma_f16 v100, v80, v0, v100
	v_pk_fma_f16 v19, v82, v3, v19
	;; [unrolled: 1-line block ×5, first 2 shown]
	ds_load_2addr_b32 v[2:3], v44 offset0:10 offset1:11
	v_pk_fma_f16 v101, v77, v0, v101
	v_pk_fma_f16 v99, v59, v0, v99
	;; [unrolled: 1-line block ×4, first 2 shown]
	s_delay_alu instid0(VALU_DEP_4) | instskip(NEXT) | instid1(VALU_DEP_4)
	v_pk_fma_f16 v107, v73, v1, v101
	v_pk_fma_f16 v99, v55, v1, v99
	s_delay_alu instid0(VALU_DEP_4)
	v_pk_fma_f16 v108, v56, v1, v0
	ds_load_2addr_b32 v[0:1], v44 offset0:74 offset1:75
	s_wait_dscnt 0x1
	v_pk_fma_f16 v101, v84, v2, v103
	v_pk_fma_f16 v102, v89, v2, v104
	v_pk_fma_f16 v96, v66, v2, v96
	v_pk_fma_f16 v2, v86, v2, v105
	s_delay_alu instid0(VALU_DEP_4) | instskip(NEXT) | instid1(VALU_DEP_4)
	v_pk_fma_f16 v101, v72, v3, v101
	v_pk_fma_f16 v102, v69, v3, v102
	s_delay_alu instid0(VALU_DEP_4) | instskip(NEXT) | instid1(VALU_DEP_4)
	v_pk_fma_f16 v96, v49, v3, v96
	v_pk_fma_f16 v103, v50, v3, v2
	ds_load_2addr_b32 v[2:3], v44 offset0:12 offset1:13
	s_wait_dscnt 0x1
	v_pk_fma_f16 v19, v84, v0, v19
	v_pk_fma_f16 v93, v89, v0, v93
	v_pk_fma_f16 v94, v66, v0, v94
	v_pk_fma_f16 v0, v86, v0, v95
	s_delay_alu instid0(VALU_DEP_4) | instskip(NEXT) | instid1(VALU_DEP_4)
	v_pk_fma_f16 v19, v72, v1, v19
	v_pk_fma_f16 v93, v69, v1, v93
	s_delay_alu instid0(VALU_DEP_4) | instskip(NEXT) | instid1(VALU_DEP_4)
	v_pk_fma_f16 v94, v49, v1, v94
	;; [unrolled: 12-line block ×5, first 2 shown]
	v_pk_fma_f16 v94, v92, v3, v2
	ds_load_2addr_b32 v[2:3], v44 offset0:138 offset1:139
	s_wait_dscnt 0x1
	v_pk_fma_f16 v18, v58, v0, v19
	v_pk_fma_f16 v19, v60, v0, v95
	;; [unrolled: 1-line block ×4, first 2 shown]
	s_delay_alu instid0(VALU_DEP_4) | instskip(NEXT) | instid1(VALU_DEP_4)
	v_pk_fma_f16 v105, v63, v1, v18
	v_pk_fma_f16 v106, v68, v1, v19
	ds_load_2addr_b32 v[18:19], v44 offset0:140 offset1:141
	v_pk_fma_f16 v95, v53, v1, v95
	v_pk_fma_f16 v96, v92, v1, v0
	s_wait_dscnt 0x1
	v_pk_fma_f16 v0, v84, v2, v100
	v_pk_fma_f16 v1, v89, v2, v107
	;; [unrolled: 1-line block ×4, first 2 shown]
	s_delay_alu instid0(VALU_DEP_4) | instskip(NEXT) | instid1(VALU_DEP_4)
	v_pk_fma_f16 v0, v72, v3, v0
	v_pk_fma_f16 v100, v69, v3, v1
	s_delay_alu instid0(VALU_DEP_4) | instskip(NEXT) | instid1(VALU_DEP_4)
	v_pk_fma_f16 v99, v49, v3, v99
	v_pk_fma_f16 v2, v50, v3, v2
	s_wait_dscnt 0x0
	v_pk_fma_f16 v3, v70, v18, v0
	ds_load_2addr_b32 v[0:1], v44 offset0:142 offset1:143
	v_pk_fma_f16 v100, v76, v18, v100
	v_pk_fma_f16 v99, v54, v18, v99
	;; [unrolled: 1-line block ×4, first 2 shown]
	s_delay_alu instid0(VALU_DEP_4) | instskip(NEXT) | instid1(VALU_DEP_4)
	v_pk_fma_f16 v100, v61, v19, v100
	v_pk_fma_f16 v99, v46, v19, v99
	s_delay_alu instid0(VALU_DEP_4)
	v_pk_fma_f16 v19, v48, v19, v2
	ds_load_2addr_b32 v[2:3], v44 offset0:192 offset1:193
	s_wait_dscnt 0x1
	v_pk_fma_f16 v18, v58, v0, v18
	v_pk_fma_f16 v100, v60, v0, v100
	;; [unrolled: 1-line block ×4, first 2 shown]
	s_delay_alu instid0(VALU_DEP_4) | instskip(NEXT) | instid1(VALU_DEP_4)
	v_pk_fma_f16 v103, v63, v1, v18
	v_pk_fma_f16 v104, v68, v1, v100
	s_delay_alu instid0(VALU_DEP_4) | instskip(NEXT) | instid1(VALU_DEP_4)
	v_pk_fma_f16 v99, v53, v1, v99
	v_pk_fma_f16 v100, v92, v1, v0
	s_wait_dscnt 0x0
	v_pk_fma_f16 v0, v22, v2, 0
	v_pk_fma_f16 v1, v25, v2, 0
	;; [unrolled: 1-line block ×3, first 2 shown]
	s_delay_alu instid0(VALU_DEP_3) | instskip(SKIP_1) | instid1(VALU_DEP_4)
	v_pk_fma_f16 v19, v23, v3, v0
	v_pk_fma_f16 v0, v10, v2, 0
	;; [unrolled: 1-line block ×3, first 2 shown]
	s_delay_alu instid0(VALU_DEP_4) | instskip(NEXT) | instid1(VALU_DEP_3)
	v_pk_fma_f16 v18, v85, v3, v18
	v_pk_fma_f16 v2, v11, v3, v0
	ds_load_2addr_b32 v[0:1], v44 offset0:194 offset1:195
	s_wait_dscnt 0x0
	v_pk_fma_f16 v3, v9, v0, v19
	v_pk_fma_f16 v19, v7, v0, v107
	;; [unrolled: 1-line block ×4, first 2 shown]
	s_delay_alu instid0(VALU_DEP_4) | instskip(NEXT) | instid1(VALU_DEP_4)
	v_pk_fma_f16 v2, v8, v1, v3
	v_pk_fma_f16 v3, v6, v1, v19
	s_delay_alu instid0(VALU_DEP_4) | instskip(NEXT) | instid1(VALU_DEP_4)
	v_pk_fma_f16 v18, v52, v1, v18
	v_pk_fma_f16 v19, v51, v1, v0
	ds_load_2addr_b32 v[0:1], v44 offset0:196 offset1:197
	s_wait_dscnt 0x0
	v_pk_fma_f16 v2, v88, v0, v2
	v_pk_fma_f16 v3, v78, v0, v3
	;; [unrolled: 1-line block ×4, first 2 shown]
	s_delay_alu instid0(VALU_DEP_4) | instskip(NEXT) | instid1(VALU_DEP_4)
	v_pk_fma_f16 v19, v20, v1, v2
	v_pk_fma_f16 v107, v98, v1, v3
	s_delay_alu instid0(VALU_DEP_4) | instskip(NEXT) | instid1(VALU_DEP_4)
	v_pk_fma_f16 v108, v75, v1, v18
	v_pk_fma_f16 v18, v79, v1, v0
	v_mov_b32_e32 v0, s25
	s_add_co_i32 s25, s20, 0x408
	ds_load_2addr_b32 v[0:1], v0 offset1:1
	s_wait_dscnt 0x0
	v_pk_fma_f16 v2, v22, v0, 0
	v_pk_fma_f16 v22, v87, v0, 0
	s_delay_alu instid0(VALU_DEP_2) | instskip(NEXT) | instid1(VALU_DEP_2)
	v_pk_fma_f16 v3, v23, v1, v2
	v_pk_fma_f16 v85, v85, v1, v22
	ds_load_2addr_b32 v[22:23], v44 offset0:198 offset1:199
	v_pk_fma_f16 v2, v25, v0, 0
	v_pk_fma_f16 v0, v10, v0, 0
	s_delay_alu instid0(VALU_DEP_2) | instskip(NEXT) | instid1(VALU_DEP_2)
	v_pk_fma_f16 v2, v24, v1, v2
	v_pk_fma_f16 v87, v11, v1, v0
	ds_load_2addr_b32 v[0:1], v44 offset0:200 offset1:201
	ds_load_2addr_b32 v[24:25], v44 offset0:202 offset1:203
	s_wait_dscnt 0x2
	v_pk_fma_f16 v10, v21, v22, v19
	v_pk_fma_f16 v11, v81, v22, v107
	;; [unrolled: 1-line block ×4, first 2 shown]
	v_mov_b32_e32 v22, s25
	v_pk_fma_f16 v10, v91, v23, v10
	v_pk_fma_f16 v11, v97, v23, v11
	;; [unrolled: 1-line block ×4, first 2 shown]
	s_add_co_i32 s25, s20, 0x410
	s_wait_dscnt 0x1
	v_pk_fma_f16 v10, v80, v0, v10
	v_pk_fma_f16 v11, v77, v0, v11
	;; [unrolled: 1-line block ×4, first 2 shown]
	v_mov_b32_e32 v18, s25
	ds_load_2addr_b32 v[22:23], v22 offset1:1
	s_add_co_i32 s25, s20, 0x418
	v_pk_fma_f16 v108, v55, v1, v19
	v_pk_fma_f16 v10, v82, v1, v10
	ds_load_2addr_b32 v[18:19], v18 offset1:1
	v_pk_fma_f16 v107, v73, v1, v11
	v_pk_fma_f16 v109, v56, v1, v0
	v_mov_b32_e32 v1, s25
	s_add_co_i32 s25, s20, 0x420
	s_wait_dscnt 0x1
	v_pk_fma_f16 v0, v9, v22, v3
	v_pk_fma_f16 v2, v7, v22, v2
	v_mov_b32_e32 v7, s25
	v_pk_fma_f16 v3, v89, v24, v107
	s_add_co_i32 s25, s20, 0x428
	v_pk_fma_f16 v0, v8, v23, v0
	ds_load_2addr_b32 v[8:9], v1 offset1:1
	v_pk_fma_f16 v2, v6, v23, v2
	ds_load_2addr_b32 v[6:7], v7 offset1:1
	v_pk_fma_f16 v3, v69, v25, v3
	s_wait_dscnt 0x2
	v_pk_fma_f16 v0, v88, v18, v0
	v_pk_fma_f16 v1, v84, v24, v10
	;; [unrolled: 1-line block ×3, first 2 shown]
	ds_load_2addr_b32 v[10:11], v44 offset0:206 offset1:207
	v_mov_b32_e32 v78, s25
	v_pk_fma_f16 v0, v20, v19, v0
	s_add_co_i32 s25, s20, 0x430
	v_pk_fma_f16 v1, v72, v25, v1
	s_wait_dscnt 0x2
	s_delay_alu instid0(VALU_DEP_2)
	v_pk_fma_f16 v0, v21, v8, v0
	ds_load_2addr_b32 v[20:21], v44 offset0:204 offset1:205
	v_pk_fma_f16 v44, v66, v24, v108
	v_pk_fma_f16 v24, v86, v24, v109
	;; [unrolled: 1-line block ×4, first 2 shown]
	s_delay_alu instid0(VALU_DEP_4) | instskip(NEXT) | instid1(VALU_DEP_4)
	v_pk_fma_f16 v44, v49, v25, v44
	v_pk_fma_f16 v24, v50, v25, v24
	s_wait_dscnt 0x2
	v_pk_fma_f16 v98, v80, v6, v0
	v_pk_fma_f16 v81, v81, v8, v91
	v_mov_b32_e32 v91, s25
	s_add_co_i32 s25, s20, 0x438
	s_add_co_i32 s20, s20, 64
	v_pk_fma_f16 v82, v82, v7, v98
	v_pk_fma_f16 v81, v97, v9, v81
	s_cmp_ge_i32 s17, s18
	s_wait_dscnt 0x0
	v_pk_fma_f16 v3, v76, v20, v3
	v_pk_fma_f16 v1, v70, v20, v1
	;; [unrolled: 1-line block ×6, first 2 shown]
	ds_load_2addr_b32 v[2:3], v78 offset1:1
	v_pk_fma_f16 v1, v65, v21, v1
	v_pk_fma_f16 v44, v46, v21, v44
	;; [unrolled: 1-line block ×9, first 2 shown]
	v_mov_b32_e32 v88, s25
	v_pk_fma_f16 v78, v63, v11, v1
	ds_load_2addr_b32 v[0:1], v91 offset1:1
	v_pk_fma_f16 v44, v53, v11, v44
	s_wait_dscnt 0x1
	v_pk_fma_f16 v81, v84, v2, v82
	v_pk_fma_f16 v82, v4, v22, v85
	;; [unrolled: 1-line block ×3, first 2 shown]
	ds_load_2addr_b32 v[4:5], v88 offset1:1
	v_pk_fma_f16 v25, v52, v23, v82
	v_pk_fma_f16 v22, v51, v23, v22
	;; [unrolled: 1-line block ×4, first 2 shown]
	s_delay_alu instid0(VALU_DEP_4) | instskip(NEXT) | instid1(VALU_DEP_4)
	v_pk_fma_f16 v24, v71, v18, v25
	v_pk_fma_f16 v18, v64, v18, v22
	s_wait_dscnt 0x1
	v_pk_fma_f16 v22, v70, v0, v23
	v_pk_fma_f16 v23, v69, v3, v51
	;; [unrolled: 1-line block ×4, first 2 shown]
	s_delay_alu instid0(VALU_DEP_4) | instskip(NEXT) | instid1(VALU_DEP_4)
	v_pk_fma_f16 v19, v65, v1, v22
	v_pk_fma_f16 v22, v76, v0, v23
	s_delay_alu instid0(VALU_DEP_4) | instskip(NEXT) | instid1(VALU_DEP_4)
	v_pk_fma_f16 v20, v67, v8, v21
	v_pk_fma_f16 v18, v62, v8, v18
	;; [unrolled: 1-line block ×3, first 2 shown]
	s_wait_dscnt 0x0
	v_pk_fma_f16 v19, v58, v4, v19
	v_pk_fma_f16 v21, v61, v1, v22
	;; [unrolled: 1-line block ×4, first 2 shown]
	v_pack_b32_f16 v20, v105, v106
	v_pk_fma_f16 v9, v63, v5, v19
	v_pk_fma_f16 v18, v60, v4, v21
	;; [unrolled: 1-line block ×4, first 2 shown]
	v_pack_b32_f16 v19, v101, v102
	v_perm_b32 v11, v102, v101, 0x7060302
	v_perm_b32 v21, v106, v105, 0x7060302
	v_pk_fma_f16 v10, v55, v7, v10
	v_pk_fma_f16 v6, v56, v7, v6
	;; [unrolled: 1-line block ×3, first 2 shown]
	v_pk_add_f16 v11, v19, v11
	v_perm_b32 v19, v104, v103, 0x7060302
	v_pk_fma_f16 v10, v66, v2, v10
	v_pk_fma_f16 v2, v86, v2, v6
	v_pack_b32_f16 v6, v103, v104
	v_pk_fma_f16 v35, v11, v16, v35
	v_pack_b32_f16 v11, v9, v7
	v_pk_fma_f16 v10, v49, v3, v10
	v_pk_fma_f16 v2, v50, v3, v2
	v_pk_add_f16 v3, v6, v19
	v_pack_b32_f16 v6, v78, v80
	v_perm_b32 v7, v7, v9, 0x7060302
	v_pk_fma_f16 v10, v54, v0, v10
	v_pk_fma_f16 v0, v90, v0, v2
	v_perm_b32 v2, v80, v78, 0x7060302
	v_pk_fma_f16 v30, v3, v16, v30
	v_pk_add_f16 v18, v20, v21
	v_pk_fma_f16 v9, v46, v1, v10
	v_pk_fma_f16 v0, v48, v1, v0
	v_pk_add_f16 v1, v6, v2
	v_pk_add_f16 v2, v11, v7
	v_perm_b32 v6, v94, v93, 0x7060302
	v_pk_fma_f16 v3, v45, v4, v9
	v_pk_fma_f16 v0, v47, v4, v0
	v_pack_b32_f16 v4, v93, v94
	v_pk_fma_f16 v28, v1, v16, v28
	v_pk_fma_f16 v26, v2, v16, v26
	;; [unrolled: 1-line block ×4, first 2 shown]
	v_pk_add_f16 v2, v4, v6
	v_pack_b32_f16 v3, v95, v96
	v_perm_b32 v4, v96, v95, 0x7060302
	v_pack_b32_f16 v5, v99, v100
	v_perm_b32 v6, v100, v99, 0x7060302
	;; [unrolled: 2-line block ×4, first 2 shown]
	v_pk_add_f16 v1, v3, v4
	v_pk_add_f16 v3, v5, v6
	;; [unrolled: 1-line block ×3, first 2 shown]
	v_pk_fma_f16 v33, v18, v16, v33
	v_pk_add_f16 v0, v9, v0
	v_pk_fma_f16 v34, v2, v17, v34
	v_pk_fma_f16 v31, v1, v17, v31
	;; [unrolled: 1-line block ×5, first 2 shown]
	s_cbranch_scc1 .LBB32_50
.LBB32_33:                              ; =>This Inner Loop Header: Depth=1
	s_cmp_lg_u32 s17, s21
	s_cbranch_scc1 .LBB32_32
; %bb.34:                               ;   in Loop: Header=BB32_33 Depth=1
	s_add_co_i32 s19, s19, 1
                                        ; implicit-def: $vgpr2
	s_delay_alu instid0(SALU_CYCLE_1) | instskip(NEXT) | instid1(SALU_CYCLE_1)
	s_mul_i32 s25, s19, s4
	s_ashr_i32 s26, s25, 31
	s_delay_alu instid0(SALU_CYCLE_1) | instskip(NEXT) | instid1(SALU_CYCLE_1)
	s_lshr_b32 s26, s26, 27
	s_add_co_i32 s26, s25, s26
	s_delay_alu instid0(SALU_CYCLE_1) | instskip(NEXT) | instid1(SALU_CYCLE_1)
	s_ashr_i32 s26, s26, 5
	v_mad_u32 v0, s26, 3, v37
	global_load_b32 v3, v0, s[12:13] scale_offset
	s_wait_xcnt 0x0
	s_and_saveexec_b32 s26, vcc_lo
	s_delay_alu instid0(SALU_CYCLE_1)
	s_xor_b32 s26, exec_lo, s26
	s_cbranch_execz .LBB32_48
; %bb.35:                               ;   in Loop: Header=BB32_33 Depth=1
	v_ashrrev_i32_e32 v1, 31, v0
                                        ; implicit-def: $vgpr2
	s_delay_alu instid0(VALU_DEP_1) | instskip(SKIP_1) | instid1(SALU_CYCLE_1)
	v_lshl_add_u64 v[0:1], v[0:1], 2, s[12:13]
	s_and_saveexec_b32 s27, s0
	s_xor_b32 s27, exec_lo, s27
	s_cbranch_execz .LBB32_45
; %bb.36:                               ;   in Loop: Header=BB32_33 Depth=1
                                        ; implicit-def: $vgpr2
	s_and_saveexec_b32 s28, s1
	s_delay_alu instid0(SALU_CYCLE_1)
	s_xor_b32 s28, exec_lo, s28
	s_cbranch_execz .LBB32_42
; %bb.37:                               ;   in Loop: Header=BB32_33 Depth=1
                                        ; implicit-def: $vgpr2
	s_and_saveexec_b32 s29, s2
	s_delay_alu instid0(SALU_CYCLE_1)
	s_xor_b32 s29, exec_lo, s29
	s_cbranch_execz .LBB32_39
; %bb.38:                               ;   in Loop: Header=BB32_33 Depth=1
	s_wait_loadcnt 0x0
	v_lshrrev_b32_e32 v2, v38, v3
                                        ; implicit-def: $vgpr0_vgpr1
                                        ; implicit-def: $vgpr3
.LBB32_39:                              ;   in Loop: Header=BB32_33 Depth=1
	s_and_not1_saveexec_b32 s29, s29
	s_cbranch_execz .LBB32_41
; %bb.40:                               ;   in Loop: Header=BB32_33 Depth=1
	global_load_b32 v0, v[0:1], off offset:4
	s_wait_loadcnt 0x0
	v_alignbit_b32 v0, v0, v3, 28
	s_delay_alu instid0(VALU_DEP_1)
	v_and_b32_e32 v2, 0xfff, v0
.LBB32_41:                              ;   in Loop: Header=BB32_33 Depth=1
	s_or_b32 exec_lo, exec_lo, s29
                                        ; implicit-def: $vgpr3
.LBB32_42:                              ;   in Loop: Header=BB32_33 Depth=1
	s_and_not1_saveexec_b32 s28, s28
	s_cbranch_execz .LBB32_44
; %bb.43:                               ;   in Loop: Header=BB32_33 Depth=1
	s_wait_loadcnt 0x0
	v_lshrrev_b32_e32 v2, v39, v3
.LBB32_44:                              ;   in Loop: Header=BB32_33 Depth=1
	s_or_b32 exec_lo, exec_lo, s28
                                        ; implicit-def: $vgpr0_vgpr1
                                        ; implicit-def: $vgpr3
.LBB32_45:                              ;   in Loop: Header=BB32_33 Depth=1
	s_and_not1_saveexec_b32 s27, s27
	s_cbranch_execz .LBB32_47
; %bb.46:                               ;   in Loop: Header=BB32_33 Depth=1
	global_load_b32 v0, v[0:1], off offset:4
	s_wait_loadcnt 0x0
	v_perm_b32 v0, v3, v0, 0x2010007
	s_delay_alu instid0(VALU_DEP_1)
	v_and_b32_e32 v2, 0xfff, v0
.LBB32_47:                              ;   in Loop: Header=BB32_33 Depth=1
	s_or_b32 exec_lo, exec_lo, s27
                                        ; implicit-def: $vgpr3
.LBB32_48:                              ;   in Loop: Header=BB32_33 Depth=1
	s_and_not1_saveexec_b32 s26, s26
	s_cbranch_execz .LBB32_31
; %bb.49:                               ;   in Loop: Header=BB32_33 Depth=1
	s_wait_loadcnt 0x0
	v_lshrrev_b32_e32 v2, v32, v3
	s_branch .LBB32_31
.LBB32_50:
	v_mad_u32 v0, s16, s4, v12
	s_mov_b32 s0, 0
	s_delay_alu instid0(VALU_DEP_1) | instskip(SKIP_1) | instid1(VALU_DEP_1)
	v_ashrrev_i32_e32 v1, 31, v0
	s_wait_kmcnt 0x0
	v_lshl_add_u64 v[2:3], v[0:1], 1, s[10:11]
	global_load_b32 v5, v[2:3], off
.LBB32_51:                              ; =>This Inner Loop Header: Depth=1
	s_wait_loadcnt 0x0
	v_pk_add_f16 v4, v35, v5
	global_atomic_cmpswap_b32 v1, v[2:3], v[4:5], off th:TH_ATOMIC_RETURN scope:SCOPE_DEV
	s_wait_loadcnt 0x0
	v_cmp_eq_u32_e32 vcc_lo, v5, v1
	v_mov_b32_e32 v5, v1
	s_or_b32 s0, vcc_lo, s0
	s_delay_alu instid0(SALU_CYCLE_1)
	s_and_not1_b32 exec_lo, exec_lo, s0
	s_cbranch_execnz .LBB32_51
; %bb.52:
	s_or_b32 exec_lo, exec_lo, s0
	global_load_b32 v5, v[2:3], off offset:4
	s_mov_b32 s0, 0
.LBB32_53:                              ; =>This Inner Loop Header: Depth=1
	s_wait_loadcnt 0x0
	v_pk_add_f16 v4, v34, v5
	global_atomic_cmpswap_b32 v1, v[2:3], v[4:5], off offset:4 th:TH_ATOMIC_RETURN scope:SCOPE_DEV
	s_wait_loadcnt 0x0
	v_cmp_eq_u32_e32 vcc_lo, v5, v1
	v_mov_b32_e32 v5, v1
	s_or_b32 s0, vcc_lo, s0
	s_delay_alu instid0(SALU_CYCLE_1)
	s_and_not1_b32 exec_lo, exec_lo, s0
	s_cbranch_execnz .LBB32_53
; %bb.54:
	s_or_b32 exec_lo, exec_lo, s0
	v_add_nc_u32_e32 v0, s4, v0
	s_mov_b32 s0, 0
	s_delay_alu instid0(VALU_DEP_1) | instskip(NEXT) | instid1(VALU_DEP_1)
	v_ashrrev_i32_e32 v1, 31, v0
	v_lshl_add_u64 v[2:3], v[0:1], 1, s[10:11]
	global_load_b32 v5, v[2:3], off
.LBB32_55:                              ; =>This Inner Loop Header: Depth=1
	s_wait_loadcnt 0x0
	v_pk_add_f16 v4, v33, v5
	global_atomic_cmpswap_b32 v1, v[2:3], v[4:5], off th:TH_ATOMIC_RETURN scope:SCOPE_DEV
	s_wait_loadcnt 0x0
	v_cmp_eq_u32_e32 vcc_lo, v5, v1
	v_mov_b32_e32 v5, v1
	s_or_b32 s0, vcc_lo, s0
	s_delay_alu instid0(SALU_CYCLE_1)
	s_and_not1_b32 exec_lo, exec_lo, s0
	s_cbranch_execnz .LBB32_55
; %bb.56:
	s_or_b32 exec_lo, exec_lo, s0
	global_load_b32 v5, v[2:3], off offset:4
	s_mov_b32 s0, 0
.LBB32_57:                              ; =>This Inner Loop Header: Depth=1
	s_wait_loadcnt 0x0
	v_pk_add_f16 v4, v31, v5
	global_atomic_cmpswap_b32 v1, v[2:3], v[4:5], off offset:4 th:TH_ATOMIC_RETURN scope:SCOPE_DEV
	s_wait_loadcnt 0x0
	v_cmp_eq_u32_e32 vcc_lo, v5, v1
	v_mov_b32_e32 v5, v1
	s_or_b32 s0, vcc_lo, s0
	s_delay_alu instid0(SALU_CYCLE_1)
	s_and_not1_b32 exec_lo, exec_lo, s0
	s_cbranch_execnz .LBB32_57
; %bb.58:
	s_or_b32 exec_lo, exec_lo, s0
	v_add_nc_u32_e32 v0, s4, v0
	s_mov_b32 s0, 0
	s_delay_alu instid0(VALU_DEP_1) | instskip(NEXT) | instid1(VALU_DEP_1)
	v_ashrrev_i32_e32 v1, 31, v0
	;; [unrolled: 34-line block ×4, first 2 shown]
	v_lshl_add_u64 v[0:1], v[0:1], 1, s[10:11]
	global_load_b32 v3, v[0:1], off
.LBB32_67:                              ; =>This Inner Loop Header: Depth=1
	s_wait_loadcnt 0x0
	v_pk_add_f16 v2, v26, v3
	global_atomic_cmpswap_b32 v2, v[0:1], v[2:3], off th:TH_ATOMIC_RETURN scope:SCOPE_DEV
	s_wait_loadcnt 0x0
	v_cmp_eq_u32_e32 vcc_lo, v3, v2
	v_mov_b32_e32 v3, v2
	s_or_b32 s0, vcc_lo, s0
	s_delay_alu instid0(SALU_CYCLE_1)
	s_and_not1_b32 exec_lo, exec_lo, s0
	s_cbranch_execnz .LBB32_67
; %bb.68:
	s_or_b32 exec_lo, exec_lo, s0
	global_load_b32 v3, v[0:1], off offset:4
	s_mov_b32 s0, 0
.LBB32_69:                              ; =>This Inner Loop Header: Depth=1
	s_wait_loadcnt 0x0
	v_pk_add_f16 v2, v13, v3
	global_atomic_cmpswap_b32 v2, v[0:1], v[2:3], off offset:4 th:TH_ATOMIC_RETURN scope:SCOPE_DEV
	s_wait_loadcnt 0x0
	v_cmp_eq_u32_e32 vcc_lo, v3, v2
	v_mov_b32_e32 v3, v2
	s_or_b32 s0, vcc_lo, s0
	s_delay_alu instid0(SALU_CYCLE_1)
	s_and_not1_b32 exec_lo, exec_lo, s0
	s_cbranch_execnz .LBB32_69
.LBB32_70:
	s_endpgm
	.section	.rodata,"a",@progbits
	.p2align	6, 0x0
	.amdhsa_kernel _ZN4vllm4gptq33gemm_half_q_half_gptq_3bit_kernelILb1ELi5EEEvPK6__halfPKjS6_S4_PS2_iiiibPKi
		.amdhsa_group_segment_fixed_size 1280
		.amdhsa_private_segment_fixed_size 0
		.amdhsa_kernarg_size 72
		.amdhsa_user_sgpr_count 2
		.amdhsa_user_sgpr_dispatch_ptr 0
		.amdhsa_user_sgpr_queue_ptr 0
		.amdhsa_user_sgpr_kernarg_segment_ptr 1
		.amdhsa_user_sgpr_dispatch_id 0
		.amdhsa_user_sgpr_kernarg_preload_length 0
		.amdhsa_user_sgpr_kernarg_preload_offset 0
		.amdhsa_user_sgpr_private_segment_size 0
		.amdhsa_wavefront_size32 1
		.amdhsa_uses_dynamic_stack 0
		.amdhsa_enable_private_segment 0
		.amdhsa_system_sgpr_workgroup_id_x 1
		.amdhsa_system_sgpr_workgroup_id_y 1
		.amdhsa_system_sgpr_workgroup_id_z 1
		.amdhsa_system_sgpr_workgroup_info 0
		.amdhsa_system_vgpr_workitem_id 0
		.amdhsa_next_free_vgpr 113
		.amdhsa_next_free_sgpr 30
		.amdhsa_named_barrier_count 0
		.amdhsa_reserve_vcc 1
		.amdhsa_float_round_mode_32 0
		.amdhsa_float_round_mode_16_64 0
		.amdhsa_float_denorm_mode_32 3
		.amdhsa_float_denorm_mode_16_64 3
		.amdhsa_fp16_overflow 0
		.amdhsa_memory_ordered 1
		.amdhsa_forward_progress 1
		.amdhsa_inst_pref_size 70
		.amdhsa_round_robin_scheduling 0
		.amdhsa_exception_fp_ieee_invalid_op 0
		.amdhsa_exception_fp_denorm_src 0
		.amdhsa_exception_fp_ieee_div_zero 0
		.amdhsa_exception_fp_ieee_overflow 0
		.amdhsa_exception_fp_ieee_underflow 0
		.amdhsa_exception_fp_ieee_inexact 0
		.amdhsa_exception_int_div_zero 0
	.end_amdhsa_kernel
	.section	.text._ZN4vllm4gptq33gemm_half_q_half_gptq_3bit_kernelILb1ELi5EEEvPK6__halfPKjS6_S4_PS2_iiiibPKi,"axG",@progbits,_ZN4vllm4gptq33gemm_half_q_half_gptq_3bit_kernelILb1ELi5EEEvPK6__halfPKjS6_S4_PS2_iiiibPKi,comdat
.Lfunc_end32:
	.size	_ZN4vllm4gptq33gemm_half_q_half_gptq_3bit_kernelILb1ELi5EEEvPK6__halfPKjS6_S4_PS2_iiiibPKi, .Lfunc_end32-_ZN4vllm4gptq33gemm_half_q_half_gptq_3bit_kernelILb1ELi5EEEvPK6__halfPKjS6_S4_PS2_iiiibPKi
                                        ; -- End function
	.set _ZN4vllm4gptq33gemm_half_q_half_gptq_3bit_kernelILb1ELi5EEEvPK6__halfPKjS6_S4_PS2_iiiibPKi.num_vgpr, 113
	.set _ZN4vllm4gptq33gemm_half_q_half_gptq_3bit_kernelILb1ELi5EEEvPK6__halfPKjS6_S4_PS2_iiiibPKi.num_agpr, 0
	.set _ZN4vllm4gptq33gemm_half_q_half_gptq_3bit_kernelILb1ELi5EEEvPK6__halfPKjS6_S4_PS2_iiiibPKi.numbered_sgpr, 30
	.set _ZN4vllm4gptq33gemm_half_q_half_gptq_3bit_kernelILb1ELi5EEEvPK6__halfPKjS6_S4_PS2_iiiibPKi.num_named_barrier, 0
	.set _ZN4vllm4gptq33gemm_half_q_half_gptq_3bit_kernelILb1ELi5EEEvPK6__halfPKjS6_S4_PS2_iiiibPKi.private_seg_size, 0
	.set _ZN4vllm4gptq33gemm_half_q_half_gptq_3bit_kernelILb1ELi5EEEvPK6__halfPKjS6_S4_PS2_iiiibPKi.uses_vcc, 1
	.set _ZN4vllm4gptq33gemm_half_q_half_gptq_3bit_kernelILb1ELi5EEEvPK6__halfPKjS6_S4_PS2_iiiibPKi.uses_flat_scratch, 0
	.set _ZN4vllm4gptq33gemm_half_q_half_gptq_3bit_kernelILb1ELi5EEEvPK6__halfPKjS6_S4_PS2_iiiibPKi.has_dyn_sized_stack, 0
	.set _ZN4vllm4gptq33gemm_half_q_half_gptq_3bit_kernelILb1ELi5EEEvPK6__halfPKjS6_S4_PS2_iiiibPKi.has_recursion, 0
	.set _ZN4vllm4gptq33gemm_half_q_half_gptq_3bit_kernelILb1ELi5EEEvPK6__halfPKjS6_S4_PS2_iiiibPKi.has_indirect_call, 0
	.section	.AMDGPU.csdata,"",@progbits
; Kernel info:
; codeLenInByte = 8912
; TotalNumSgprs: 32
; NumVgprs: 113
; ScratchSize: 0
; MemoryBound: 0
; FloatMode: 240
; IeeeMode: 1
; LDSByteSize: 1280 bytes/workgroup (compile time only)
; SGPRBlocks: 0
; VGPRBlocks: 7
; NumSGPRsForWavesPerEU: 32
; NumVGPRsForWavesPerEU: 113
; NamedBarCnt: 0
; Occupancy: 8
; WaveLimiterHint : 0
; COMPUTE_PGM_RSRC2:SCRATCH_EN: 0
; COMPUTE_PGM_RSRC2:USER_SGPR: 2
; COMPUTE_PGM_RSRC2:TRAP_HANDLER: 0
; COMPUTE_PGM_RSRC2:TGID_X_EN: 1
; COMPUTE_PGM_RSRC2:TGID_Y_EN: 1
; COMPUTE_PGM_RSRC2:TGID_Z_EN: 1
; COMPUTE_PGM_RSRC2:TIDIG_COMP_CNT: 0
	.section	.text._ZN4vllm4gptq33gemm_half_q_half_gptq_4bit_kernelILb1ELi5EEEvPK6__halfPKjS6_S4_PS2_iiiibPKi,"axG",@progbits,_ZN4vllm4gptq33gemm_half_q_half_gptq_4bit_kernelILb1ELi5EEEvPK6__halfPKjS6_S4_PS2_iiiibPKi,comdat
	.protected	_ZN4vllm4gptq33gemm_half_q_half_gptq_4bit_kernelILb1ELi5EEEvPK6__halfPKjS6_S4_PS2_iiiibPKi ; -- Begin function _ZN4vllm4gptq33gemm_half_q_half_gptq_4bit_kernelILb1ELi5EEEvPK6__halfPKjS6_S4_PS2_iiiibPKi
	.globl	_ZN4vllm4gptq33gemm_half_q_half_gptq_4bit_kernelILb1ELi5EEEvPK6__halfPKjS6_S4_PS2_iiiibPKi
	.p2align	8
	.type	_ZN4vllm4gptq33gemm_half_q_half_gptq_4bit_kernelILb1ELi5EEEvPK6__halfPKjS6_S4_PS2_iiiibPKi,@function
_ZN4vllm4gptq33gemm_half_q_half_gptq_4bit_kernelILb1ELi5EEEvPK6__halfPKjS6_S4_PS2_iiiibPKi: ; @_ZN4vllm4gptq33gemm_half_q_half_gptq_4bit_kernelILb1ELi5EEEvPK6__halfPKjS6_S4_PS2_iiiibPKi
; %bb.0:
	s_load_b128 s[4:7], s[0:1], 0x2c
	s_bfe_u32 s2, ttmp6, 0x40014
	s_lshr_b32 s3, ttmp7, 16
	s_add_co_i32 s2, s2, 1
	s_bfe_u32 s9, ttmp6, 0x40010
	s_mul_i32 s2, s3, s2
	s_bfe_u32 s8, ttmp6, 0x40008
	s_and_b32 s10, ttmp7, 0xffff
	s_add_co_i32 s9, s9, 1
	s_add_co_i32 s8, s8, s2
	s_mul_i32 s2, s10, s9
	s_bfe_u32 s9, ttmp6, 0x40004
	s_getreg_b32 s17, hwreg(HW_REG_IB_STS2, 6, 4)
	s_add_co_i32 s9, s9, s2
	s_cmp_eq_u32 s17, 0
	s_mov_b32 s12, exec_lo
	s_cselect_b32 s2, s3, s8
	s_cselect_b32 s14, s10, s9
	s_lshl_b32 s15, s2, 7
	s_mul_i32 s14, s14, 5
	s_add_co_i32 s2, s15, 0x80
	s_delay_alu instid0(SALU_CYCLE_1) | instskip(SKIP_3) | instid1(VALU_DEP_1)
	v_cvt_f64_u32_e32 v[2:3], s2
	s_load_b64 s[2:3], s[0:1], 0x10
	s_wait_kmcnt 0x0
	v_cvt_f64_i32_e32 v[4:5], s5
	v_min_num_f64_e32 v[2:3], v[2:3], v[4:5]
	s_delay_alu instid0(VALU_DEP_1) | instskip(SKIP_1) | instid1(VALU_DEP_2)
	v_cvt_i32_f64_e32 v1, v[2:3]
	v_add_nc_u32_e32 v2, s15, v0
	v_readfirstlane_b32 s16, v1
	s_delay_alu instid0(VALU_DEP_2)
	v_cmpx_lt_u32_e64 v2, v1
	s_cbranch_execz .LBB33_12
; %bb.1:
	s_clause 0x1
	s_load_b64 s[10:11], s[0:1], 0x40
	s_load_b64 s[8:9], s[0:1], 0x0
	v_mov_b32_e32 v3, 0
	s_delay_alu instid0(VALU_DEP_1)
	v_mov_b64_e32 v[6:7], v[2:3]
	s_wait_kmcnt 0x0
	v_lshl_add_u64 v[4:5], v[2:3], 2, s[10:11]
	s_cmp_lg_u64 s[10:11], 0
	s_cselect_b32 s13, -1, 0
	s_cmp_eq_u64 s[10:11], 0
	s_cbranch_scc1 .LBB33_3
; %bb.2:
	global_load_b32 v6, v[4:5], off
	s_wait_loadcnt 0x0
	v_ashrrev_i32_e32 v7, 31, v6
.LBB33_3:
	s_mul_i32 s10, s14, s5
	v_cndmask_b32_e64 v8, 0, 1, s13
	s_ashr_i32 s11, s10, 31
	v_lshlrev_b32_e32 v1, 1, v0
	s_lshl_b64 s[18:19], s[10:11], 1
	s_and_not1_b32 vcc_lo, exec_lo, s13
	s_add_nc_u64 s[18:19], s[8:9], s[18:19]
	s_delay_alu instid0(SALU_CYCLE_1)
	v_lshl_add_u64 v[6:7], v[6:7], 1, s[18:19]
	global_load_u16 v9, v[6:7], off
	s_wait_xcnt 0x0
	v_mov_b64_e32 v[6:7], v[2:3]
	s_wait_loadcnt 0x0
	ds_store_b16 v1, v9
	s_cbranch_vccnz .LBB33_5
; %bb.4:
	global_load_b32 v6, v[4:5], off
	s_wait_loadcnt 0x0
	v_ashrrev_i32_e32 v7, 31, v6
.LBB33_5:
	s_add_co_i32 s10, s10, s5
	v_cmp_ne_u32_e32 vcc_lo, 1, v8
	s_ashr_i32 s11, s10, 31
	s_delay_alu instid0(SALU_CYCLE_1) | instskip(SKIP_2) | instid1(SALU_CYCLE_1)
	s_lshl_b64 s[18:19], s[10:11], 1
	s_and_b32 vcc_lo, exec_lo, vcc_lo
	s_add_nc_u64 s[18:19], s[8:9], s[18:19]
	v_lshl_add_u64 v[6:7], v[6:7], 1, s[18:19]
	global_load_u16 v9, v[6:7], off
	s_wait_xcnt 0x0
	v_mov_b64_e32 v[6:7], v[2:3]
	s_wait_loadcnt 0x0
	ds_store_b16 v1, v9 offset:256
	s_cbranch_vccnz .LBB33_7
; %bb.6:
	global_load_b32 v6, v[4:5], off
	s_wait_loadcnt 0x0
	v_ashrrev_i32_e32 v7, 31, v6
.LBB33_7:
	s_add_co_i32 s10, s10, s5
	v_cmp_ne_u32_e32 vcc_lo, 1, v8
	s_ashr_i32 s11, s10, 31
	s_delay_alu instid0(SALU_CYCLE_1) | instskip(SKIP_2) | instid1(SALU_CYCLE_1)
	s_lshl_b64 s[18:19], s[10:11], 1
	s_and_b32 vcc_lo, exec_lo, vcc_lo
	s_add_nc_u64 s[18:19], s[8:9], s[18:19]
	v_lshl_add_u64 v[6:7], v[6:7], 1, s[18:19]
	global_load_u16 v9, v[6:7], off
	s_wait_xcnt 0x0
	v_mov_b64_e32 v[6:7], v[2:3]
	s_wait_loadcnt 0x0
	ds_store_b16 v1, v9 offset:512
	s_cbranch_vccnz .LBB33_9
; %bb.8:
	global_load_b32 v6, v[4:5], off
	s_wait_loadcnt 0x0
	v_ashrrev_i32_e32 v7, 31, v6
.LBB33_9:
	s_add_co_i32 s10, s10, s5
	v_cmp_ne_u32_e32 vcc_lo, 1, v8
	s_ashr_i32 s11, s10, 31
	s_delay_alu instid0(SALU_CYCLE_1) | instskip(SKIP_2) | instid1(SALU_CYCLE_1)
	s_lshl_b64 s[18:19], s[10:11], 1
	s_and_b32 vcc_lo, exec_lo, vcc_lo
	s_add_nc_u64 s[18:19], s[8:9], s[18:19]
	v_lshl_add_u64 v[6:7], v[6:7], 1, s[18:19]
	global_load_u16 v6, v[6:7], off
	s_wait_loadcnt 0x0
	ds_store_b16 v1, v6 offset:768
	s_cbranch_vccnz .LBB33_11
; %bb.10:
	global_load_b32 v2, v[4:5], off
	s_wait_loadcnt 0x0
	v_ashrrev_i32_e32 v3, 31, v2
.LBB33_11:
	s_add_co_i32 s10, s10, s5
	s_delay_alu instid0(SALU_CYCLE_1) | instskip(NEXT) | instid1(SALU_CYCLE_1)
	s_ashr_i32 s11, s10, 31
	s_lshl_b64 s[10:11], s[10:11], 1
	s_delay_alu instid0(SALU_CYCLE_1) | instskip(NEXT) | instid1(SALU_CYCLE_1)
	s_add_nc_u64 s[8:9], s[8:9], s[10:11]
	v_lshl_add_u64 v[2:3], v[2:3], 1, s[8:9]
	global_load_u16 v2, v[2:3], off
	s_wait_loadcnt 0x0
	ds_store_b16 v1, v2 offset:1024
.LBB33_12:
	s_or_b32 exec_lo, exec_lo, s12
	s_clause 0x1
	s_load_b64 s[12:13], s[0:1], 0x8
	s_load_b128 s[8:11], s[0:1], 0x18
	s_wait_xcnt 0x0
	s_bfe_u32 s0, ttmp6, 0x4000c
	s_and_b32 s1, ttmp6, 15
	s_add_co_i32 s0, s0, 1
	v_lshlrev_b32_e32 v1, 2, v0
	s_mul_i32 s0, ttmp9, s0
	s_delay_alu instid0(SALU_CYCLE_1)
	s_add_co_i32 s1, s1, s0
	s_cmp_eq_u32 s17, 0
	s_cselect_b32 s0, ttmp9, s1
	s_mov_b32 s1, 0
	v_lshl_add_u32 v2, s0, 9, v1
	s_mov_b32 s0, exec_lo
	s_delay_alu instid0(VALU_DEP_1)
	v_cmpx_gt_i32_e64 s4, v2
	s_cbranch_execz .LBB33_38
; %bb.13:
	s_abs_i32 s17, s6
	v_mov_b32_e32 v5, 0
	s_cvt_f32_u32 s0, s17
	s_cmp_ge_i32 s15, s16
	s_wait_dscnt 0x0
	s_barrier_signal -1
	v_rcp_iflag_f32_e32 v1, s0
	v_dual_mov_b32 v4, v5 :: v_dual_mov_b32 v32, v5
	v_dual_mov_b32 v11, v5 :: v_dual_mov_b32 v31, v5
	v_dual_mov_b32 v30, v5 :: v_dual_mov_b32 v34, v5
	v_dual_mov_b32 v33, v5 :: v_dual_mov_b32 v35, v5
	s_delay_alu instid0(TRANS32_DEP_1)
	v_readfirstlane_b32 s0, v1
	v_dual_mov_b32 v36, v5 :: v_dual_mov_b32 v38, v5
	v_dual_mov_b32 v37, v5 :: v_dual_mov_b32 v40, v5
	;; [unrolled: 1-line block ×5, first 2 shown]
	v_mov_b32_e32 v46, v5
	s_barrier_wait -1
	s_cbranch_scc1 .LBB33_18
; %bb.14:
	s_mul_f32 s0, s0, 0x4f7ffffe
	v_dual_ashrrev_i32 v3, 31, v2 :: v_dual_lshlrev_b32 v0, 4, v0
	s_delay_alu instid0(SALU_CYCLE_2) | instskip(SKIP_1) | instid1(VALU_DEP_1)
	s_cvt_u32_f32 s18, s0
	s_sub_co_i32 s0, 0, s17
	v_and_b32_e32 v48, 16, v0
	s_delay_alu instid0(SALU_CYCLE_1)
	s_mul_i32 s19, s0, s18
	s_abs_i32 s0, s5
	s_mul_hi_u32 s20, s18, s19
	s_mov_b32 s19, s1
	s_add_co_i32 s18, s18, s20
	s_ashr_i32 s5, s5, 31
	s_mul_u64 s[18:19], s[0:1], s[18:19]
	s_ashr_i32 s1, s6, 31
	s_mul_i32 s6, s19, s17
	s_xor_b32 s1, s5, s1
	s_sub_co_i32 s0, s0, s6
	s_add_co_i32 s5, s19, 1
	s_sub_co_i32 s6, s0, s17
	s_cmp_ge_u32 s0, s17
	s_mov_b32 s20, 0x10001
	s_cselect_b32 s5, s5, s19
	s_cselect_b32 s0, s6, s0
	s_add_co_i32 s6, s5, 1
	s_cmp_ge_u32 s0, s17
	s_mov_b32 s19, 0
	s_cselect_b32 s0, s6, s5
	s_delay_alu instid0(SALU_CYCLE_1) | instskip(NEXT) | instid1(SALU_CYCLE_1)
	s_xor_b32 s0, s0, s1
	s_sub_co_i32 s17, s0, s1
	s_bitcmp1_b32 s7, 0
	s_cvt_f32_u32 s0, s17
	s_cselect_b32 s1, -1, 0
	s_sub_co_i32 s5, 0, s17
	s_xor_b32 s1, s1, -1
	v_rcp_iflag_f32_e32 v1, s0
	v_cndmask_b32_e64 v49, 0, 1, s1
	s_delay_alu instid0(TRANS32_DEP_1) | instskip(SKIP_1) | instid1(SALU_CYCLE_3)
	v_readfirstlane_b32 s0, v1
	s_mul_f32 s0, s0, 0x4f7ffffe
	s_cvt_u32_f32 s0, s0
	s_delay_alu instid0(SALU_CYCLE_3) | instskip(NEXT) | instid1(SALU_CYCLE_1)
	s_mul_i32 s5, s5, s0
	s_mul_hi_u32 s5, s0, s5
	s_delay_alu instid0(SALU_CYCLE_1) | instskip(NEXT) | instid1(SALU_CYCLE_1)
	s_add_co_i32 s0, s0, s5
	s_mul_hi_u32 s0, s15, s0
	s_delay_alu instid0(SALU_CYCLE_1) | instskip(SKIP_2) | instid1(SALU_CYCLE_1)
	s_mul_i32 s5, s0, s17
	s_add_co_i32 s6, s0, 1
	s_sub_co_i32 s5, s15, s5
	s_sub_co_i32 s7, s5, s17
	s_cmp_ge_u32 s5, s17
	s_cselect_b32 s0, s6, s0
	s_cselect_b32 s5, s7, s5
	s_add_co_i32 s6, s0, 1
	s_cmp_ge_u32 s5, s17
	s_cselect_b32 s18, s6, s0
	s_add_co_i32 s21, s17, s15
	s_mul_i32 s0, s18, s4
	s_delay_alu instid0(SALU_CYCLE_1) | instskip(SKIP_1) | instid1(SALU_CYCLE_1)
	v_dual_lshrrev_b32 v1, 29, v3 :: v_dual_add_nc_u32 v4, s0, v2
	s_ashr_i32 s5, s0, 31
	s_lshr_b32 s5, s5, 29
	s_delay_alu instid0(VALU_DEP_1)
	v_add_nc_u32_e32 v1, v2, v1
	s_add_co_i32 s5, s0, s5
	v_ashrrev_i32_e32 v5, 31, v4
	s_ashr_i32 s5, s5, 3
	s_lshr_b32 s0, s15, 3
	v_ashrrev_i32_e32 v43, 3, v1
	s_mul_i32 s6, s4, s0
	s_wait_kmcnt 0x0
	v_lshl_add_u64 v[4:5], v[4:5], 1, s[8:9]
	s_ashr_i32 s7, s6, 31
	v_add_nc_u32_e32 v1, s5, v43
	s_lshl_b64 s[6:7], s[6:7], 2
	global_load_b64 v[6:7], v[4:5], off
	s_wait_xcnt 0x0
	v_mov_b32_e32 v4, 0
	s_add_nc_u64 s[6:7], s[12:13], s[6:7]
	global_load_b32 v1, v1, s[2:3] scale_offset
	s_ashr_i32 s5, s4, 31
	s_mov_b32 s12, 0xf000f0
	s_lshl_b64 s[0:1], s[4:5], 4
	v_dual_mov_b32 v5, v4 :: v_dual_mov_b32 v46, v4
	v_dual_mov_b32 v47, v4 :: v_dual_mov_b32 v44, v4
	;; [unrolled: 1-line block ×9, first 2 shown]
	v_mov_b32_e32 v32, v4
	s_wait_loadcnt 0x1
	v_cvt_f32_f16_e32 v50, v6
	v_dual_lshrrev_b32 v16, 16, v6 :: v_dual_lshrrev_b32 v17, 16, v7
	s_wait_loadcnt 0x0
	v_lshrrev_b32_e32 v0, v0, v1
	v_cvt_f32_f16_e32 v6, v7
	s_delay_alu instid0(VALU_DEP_3) | instskip(SKIP_1) | instid1(VALU_DEP_4)
	v_cvt_f32_f16_e32 v51, v16
	v_cvt_f32_f16_e32 v7, v17
	v_lshrrev_b32_e32 v1, 12, v0
	s_delay_alu instid0(VALU_DEP_1) | instskip(SKIP_2) | instid1(VALU_DEP_3)
	v_dual_lshrrev_b32 v8, 8, v0 :: v_dual_bitop2_b32 v10, 15, v1 bitop3:0x40
	v_dual_lshrrev_b32 v9, 4, v0 :: v_dual_bitop2_b32 v12, 15, v0 bitop3:0x40
	v_lshl_add_u64 v[0:1], v[2:3], 2, s[6:7]
	v_dual_add_nc_u32 v3, v10, v49 :: v_dual_bitop2_b32 v8, 15, v8 bitop3:0x40
	s_delay_alu instid0(VALU_DEP_3) | instskip(NEXT) | instid1(VALU_DEP_4)
	v_and_b32_e32 v9, 15, v9
	v_add_nc_u32_e32 v10, v12, v49
	s_lshl_b64 s[6:7], s[4:5], 2
	s_delay_alu instid0(VALU_DEP_3) | instskip(NEXT) | instid1(VALU_DEP_3)
	v_cvt_f32_ubyte0_e32 v12, v3
	v_dual_add_nc_u32 v8, v8, v49 :: v_dual_add_nc_u32 v9, v9, v49
	s_delay_alu instid0(VALU_DEP_3) | instskip(SKIP_2) | instid1(VALU_DEP_4)
	v_cvt_f32_ubyte0_e32 v14, v10
	v_mad_u32_u24 v52, v10, s20, 0xe400e400
	v_mad_u32_u24 v55, v3, s20, 0xe400e400
	v_cvt_f32_ubyte0_e32 v13, v8
	v_cvt_f32_ubyte0_e32 v15, v9
	v_mad_u32_u24 v53, v8, s20, 0xe400e400
	v_mad_u32_u24 v54, v9, s20, 0xe400e400
	s_mov_b32 s5, 0xf000f
	v_cvt_pk_f16_f32 v12, v13, v12
	v_cvt_pk_f16_f32 v13, v14, v15
	s_delay_alu instid0(VALU_DEP_2) | instskip(NEXT) | instid1(VALU_DEP_2)
	v_pk_add_f16 v12, 0xd400, v12 op_sel_hi:[0,1] neg_lo:[0,1] neg_hi:[0,1]
	v_pk_add_f16 v10, 0xd400, v13 op_sel_hi:[0,1] neg_lo:[0,1] neg_hi:[0,1]
	s_delay_alu instid0(VALU_DEP_2) | instskip(NEXT) | instid1(VALU_DEP_2)
	v_and_b32_e32 v3, 0xffff, v12
	v_dual_lshrrev_b32 v8, 16, v12 :: v_dual_lshrrev_b32 v13, 16, v10
	v_and_b32_e32 v12, 0xffff, v10
	s_delay_alu instid0(VALU_DEP_3) | instskip(NEXT) | instid1(VALU_DEP_3)
	v_mul_u32_u24_e32 v10, 0x10001, v3
	v_mul_u32_u24_e32 v9, 0x10001, v8
	s_delay_alu instid0(VALU_DEP_4) | instskip(NEXT) | instid1(VALU_DEP_4)
	v_mul_u32_u24_e32 v3, 0x10001, v13
	v_mul_u32_u24_e32 v8, 0x10001, v12
	s_branch .LBB33_16
.LBB33_15:                              ;   in Loop: Header=BB33_16 Depth=1
	global_load_b128 v[12:15], v[0:1], off
	s_add_co_i32 s13, s19, 0x400
	s_add_co_i32 s15, s15, 32
	v_mov_b32_e32 v26, s19
	s_wait_loadcnt 0x0
	v_and_or_b32 v16, v12, s5, 0x64006400
	v_and_or_b32 v17, v12, s12, 0x64006400
	v_lshrrev_b32_e32 v12, 8, v12
	s_delay_alu instid0(VALU_DEP_3) | instskip(SKIP_1) | instid1(VALU_DEP_3)
	v_pk_add_f16 v19, v52, v16
	v_and_or_b32 v16, v13, s12, 0x64006400
	v_and_or_b32 v18, v12, s5, 0x64006400
	;; [unrolled: 1-line block ×3, first 2 shown]
	v_pk_fma_f16 v20, 0x2c00, v17, v8 op_sel_hi:[0,1,1]
	s_delay_alu instid0(VALU_DEP_4) | instskip(NEXT) | instid1(VALU_DEP_4)
	v_pk_fma_f16 v24, 0x2c00, v16, v3 op_sel_hi:[0,1,1]
	v_pk_add_f16 v21, v52, v18
	s_delay_alu instid0(VALU_DEP_4) | instskip(SKIP_2) | instid1(VALU_DEP_2)
	v_pk_fma_f16 v22, 0x2c00, v12, v8 op_sel_hi:[0,1,1]
	v_and_or_b32 v12, v13, s5, 0x64006400
	v_lshrrev_b32_e32 v13, 8, v13
	v_pk_add_f16 v23, v54, v12
	s_delay_alu instid0(VALU_DEP_2) | instskip(SKIP_2) | instid1(VALU_DEP_3)
	v_and_or_b32 v17, v13, s5, 0x64006400
	v_and_or_b32 v13, v13, s12, 0x64006400
	;; [unrolled: 1-line block ×3, first 2 shown]
	v_pk_add_f16 v25, v54, v17
	s_delay_alu instid0(VALU_DEP_3) | instskip(SKIP_4) | instid1(VALU_DEP_4)
	v_pk_fma_f16 v27, 0x2c00, v13, v3 op_sel_hi:[0,1,1]
	v_and_or_b32 v13, v14, s12, 0x64006400
	v_lshrrev_b32_e32 v14, 8, v14
	v_pk_add_f16 v28, v53, v12
	v_and_or_b32 v12, v15, s5, 0x64006400
	v_pk_fma_f16 v29, 0x2c00, v13, v10 op_sel_hi:[0,1,1]
	v_and_or_b32 v13, v15, s12, 0x64006400
	v_and_or_b32 v16, v14, s5, 0x64006400
	s_delay_alu instid0(VALU_DEP_4) | instskip(SKIP_1) | instid1(VALU_DEP_4)
	v_pk_add_f16 v58, v55, v12
	v_and_or_b32 v14, v14, s12, 0x64006400
	v_pk_fma_f16 v59, 0x2c00, v13, v9 op_sel_hi:[0,1,1]
	ds_load_2addr_b32 v[12:13], v26 offset1:1
	v_pk_add_f16 v56, v53, v16
	v_pk_fma_f16 v57, 0x2c00, v14, v10 op_sel_hi:[0,1,1]
	v_lshrrev_b32_e32 v14, 8, v15
	s_delay_alu instid0(VALU_DEP_1) | instskip(SKIP_1) | instid1(VALU_DEP_2)
	v_and_or_b32 v15, v14, s5, 0x64006400
	v_and_or_b32 v14, v14, s12, 0x64006400
	v_pk_add_f16 v60, v55, v15
	s_delay_alu instid0(VALU_DEP_2) | instskip(SKIP_2) | instid1(VALU_DEP_1)
	v_pk_fma_f16 v61, 0x2c00, v14, v9 op_sel_hi:[0,1,1]
	s_wait_dscnt 0x0
	v_pk_fma_f16 v14, v19, v12, 0
	v_pk_fma_f16 v16, v20, v13, v14
	ds_load_2addr_b32 v[14:15], v26 offset0:2 offset1:3
	s_wait_dscnt 0x0
	v_pk_fma_f16 v16, v21, v14, v16
	s_delay_alu instid0(VALU_DEP_1) | instskip(NEXT) | instid1(VALU_DEP_1)
	v_pk_fma_f16 v16, v22, v15, v16
	v_cvt_f32_f16_e32 v17, v16
	v_lshrrev_b32_e32 v16, 16, v16
	s_delay_alu instid0(VALU_DEP_1) | instskip(NEXT) | instid1(VALU_DEP_1)
	v_cvt_f32_f16_e32 v16, v16
	v_add_f32_e32 v16, v16, v17
	s_delay_alu instid0(VALU_DEP_1) | instskip(SKIP_1) | instid1(VALU_DEP_1)
	v_fmac_f32_e32 v46, v16, v50
	v_pk_fma_f16 v16, v23, v12, 0
	v_pk_fma_f16 v16, v24, v13, v16
	s_delay_alu instid0(VALU_DEP_1) | instskip(NEXT) | instid1(VALU_DEP_1)
	v_pk_fma_f16 v16, v25, v14, v16
	v_pk_fma_f16 v16, v27, v15, v16
	s_delay_alu instid0(VALU_DEP_1) | instskip(SKIP_1) | instid1(VALU_DEP_1)
	v_cvt_f32_f16_e32 v17, v16
	v_lshrrev_b32_e32 v16, 16, v16
	v_cvt_f32_f16_e32 v16, v16
	s_delay_alu instid0(VALU_DEP_1) | instskip(NEXT) | instid1(VALU_DEP_1)
	v_add_f32_e32 v16, v16, v17
	v_fmac_f32_e32 v47, v16, v51
	v_pk_fma_f16 v16, v28, v12, 0
	v_pk_fma_f16 v12, v58, v12, 0
	s_delay_alu instid0(VALU_DEP_2) | instskip(NEXT) | instid1(VALU_DEP_2)
	v_pk_fma_f16 v16, v29, v13, v16
	v_pk_fma_f16 v12, v59, v13, v12
	s_delay_alu instid0(VALU_DEP_2) | instskip(NEXT) | instid1(VALU_DEP_2)
	v_pk_fma_f16 v16, v56, v14, v16
	v_pk_fma_f16 v12, v60, v14, v12
	s_delay_alu instid0(VALU_DEP_2) | instskip(NEXT) | instid1(VALU_DEP_2)
	v_pk_fma_f16 v16, v57, v15, v16
	v_pk_fma_f16 v12, v61, v15, v12
	s_delay_alu instid0(VALU_DEP_2) | instskip(NEXT) | instid1(VALU_DEP_2)
	v_cvt_f32_f16_e32 v17, v16
	v_cvt_f32_f16_e32 v13, v12
	v_lshrrev_b32_e32 v12, 16, v12
	v_lshrrev_b32_e32 v16, 16, v16
	s_delay_alu instid0(VALU_DEP_2) | instskip(NEXT) | instid1(VALU_DEP_2)
	v_cvt_f32_f16_e32 v12, v12
	v_cvt_f32_f16_e32 v16, v16
	s_delay_alu instid0(VALU_DEP_2) | instskip(NEXT) | instid1(VALU_DEP_2)
	v_add_f32_e32 v12, v12, v13
	v_add_f32_e32 v16, v16, v17
	s_delay_alu instid0(VALU_DEP_2) | instskip(SKIP_4) | instid1(VALU_DEP_1)
	v_fmac_f32_e32 v45, v12, v7
	ds_load_2addr_b32 v[12:13], v26 offset0:64 offset1:65
	v_fmac_f32_e32 v44, v16, v6
	s_wait_dscnt 0x0
	v_pk_fma_f16 v14, v19, v12, 0
	v_pk_fma_f16 v16, v20, v13, v14
	ds_load_2addr_b32 v[14:15], v26 offset0:66 offset1:67
	s_wait_dscnt 0x0
	v_pk_fma_f16 v16, v21, v14, v16
	s_delay_alu instid0(VALU_DEP_1) | instskip(NEXT) | instid1(VALU_DEP_1)
	v_pk_fma_f16 v16, v22, v15, v16
	v_cvt_f32_f16_e32 v17, v16
	v_lshrrev_b32_e32 v16, 16, v16
	s_delay_alu instid0(VALU_DEP_1) | instskip(NEXT) | instid1(VALU_DEP_1)
	v_cvt_f32_f16_e32 v16, v16
	v_add_f32_e32 v16, v16, v17
	s_delay_alu instid0(VALU_DEP_1) | instskip(SKIP_1) | instid1(VALU_DEP_1)
	v_fmac_f32_e32 v41, v16, v50
	v_pk_fma_f16 v16, v23, v12, 0
	v_pk_fma_f16 v16, v24, v13, v16
	s_delay_alu instid0(VALU_DEP_1) | instskip(NEXT) | instid1(VALU_DEP_1)
	v_pk_fma_f16 v16, v25, v14, v16
	v_pk_fma_f16 v16, v27, v15, v16
	s_delay_alu instid0(VALU_DEP_1) | instskip(SKIP_1) | instid1(VALU_DEP_1)
	v_cvt_f32_f16_e32 v17, v16
	v_lshrrev_b32_e32 v16, 16, v16
	v_cvt_f32_f16_e32 v16, v16
	s_delay_alu instid0(VALU_DEP_1) | instskip(NEXT) | instid1(VALU_DEP_1)
	v_add_f32_e32 v16, v16, v17
	v_fmac_f32_e32 v42, v16, v51
	v_pk_fma_f16 v16, v28, v12, 0
	v_pk_fma_f16 v12, v58, v12, 0
	s_delay_alu instid0(VALU_DEP_2) | instskip(NEXT) | instid1(VALU_DEP_2)
	v_pk_fma_f16 v16, v29, v13, v16
	v_pk_fma_f16 v12, v59, v13, v12
	s_delay_alu instid0(VALU_DEP_2) | instskip(NEXT) | instid1(VALU_DEP_2)
	v_pk_fma_f16 v16, v56, v14, v16
	v_pk_fma_f16 v12, v60, v14, v12
	s_delay_alu instid0(VALU_DEP_2) | instskip(NEXT) | instid1(VALU_DEP_2)
	v_pk_fma_f16 v16, v57, v15, v16
	v_pk_fma_f16 v12, v61, v15, v12
	s_delay_alu instid0(VALU_DEP_2) | instskip(NEXT) | instid1(VALU_DEP_2)
	v_cvt_f32_f16_e32 v17, v16
	v_cvt_f32_f16_e32 v13, v12
	v_lshrrev_b32_e32 v12, 16, v12
	v_lshrrev_b32_e32 v16, 16, v16
	s_delay_alu instid0(VALU_DEP_2) | instskip(NEXT) | instid1(VALU_DEP_2)
	v_cvt_f32_f16_e32 v12, v12
	v_cvt_f32_f16_e32 v16, v16
	s_delay_alu instid0(VALU_DEP_2) | instskip(NEXT) | instid1(VALU_DEP_2)
	v_add_f32_e32 v12, v12, v13
	v_add_f32_e32 v16, v16, v17
	s_delay_alu instid0(VALU_DEP_2) | instskip(SKIP_4) | instid1(VALU_DEP_1)
	v_fmac_f32_e32 v40, v12, v7
	ds_load_2addr_b32 v[12:13], v26 offset0:128 offset1:129
	v_fmac_f32_e32 v39, v16, v6
	;; [unrolled: 53-line block ×3, first 2 shown]
	s_wait_dscnt 0x0
	v_pk_fma_f16 v14, v19, v12, 0
	v_pk_fma_f16 v16, v20, v13, v14
	ds_load_2addr_b32 v[14:15], v26 offset0:194 offset1:195
	s_wait_dscnt 0x0
	v_pk_fma_f16 v16, v21, v14, v16
	s_delay_alu instid0(VALU_DEP_1) | instskip(NEXT) | instid1(VALU_DEP_1)
	v_pk_fma_f16 v16, v22, v15, v16
	v_cvt_f32_f16_e32 v17, v16
	v_lshrrev_b32_e32 v16, 16, v16
	s_delay_alu instid0(VALU_DEP_1) | instskip(NEXT) | instid1(VALU_DEP_1)
	v_cvt_f32_f16_e32 v16, v16
	v_add_f32_e32 v16, v16, v17
	s_delay_alu instid0(VALU_DEP_1) | instskip(SKIP_1) | instid1(VALU_DEP_1)
	v_fmac_f32_e32 v33, v16, v50
	v_pk_fma_f16 v16, v23, v12, 0
	v_pk_fma_f16 v16, v24, v13, v16
	s_delay_alu instid0(VALU_DEP_1) | instskip(NEXT) | instid1(VALU_DEP_1)
	v_pk_fma_f16 v16, v25, v14, v16
	v_pk_fma_f16 v16, v27, v15, v16
	s_delay_alu instid0(VALU_DEP_1) | instskip(SKIP_1) | instid1(VALU_DEP_1)
	v_cvt_f32_f16_e32 v17, v16
	v_lshrrev_b32_e32 v16, 16, v16
	v_cvt_f32_f16_e32 v16, v16
	s_delay_alu instid0(VALU_DEP_1) | instskip(NEXT) | instid1(VALU_DEP_1)
	v_add_f32_e32 v16, v16, v17
	v_fmac_f32_e32 v34, v16, v51
	v_pk_fma_f16 v16, v28, v12, 0
	v_pk_fma_f16 v12, v58, v12, 0
	s_delay_alu instid0(VALU_DEP_2) | instskip(NEXT) | instid1(VALU_DEP_2)
	v_pk_fma_f16 v16, v29, v13, v16
	v_pk_fma_f16 v12, v59, v13, v12
	s_delay_alu instid0(VALU_DEP_2) | instskip(NEXT) | instid1(VALU_DEP_2)
	;; [unrolled: 3-line block ×4, first 2 shown]
	v_cvt_f32_f16_e32 v17, v16
	v_cvt_f32_f16_e32 v13, v12
	v_lshrrev_b32_e32 v12, 16, v12
	v_lshrrev_b32_e32 v16, 16, v16
	s_delay_alu instid0(VALU_DEP_2) | instskip(NEXT) | instid1(VALU_DEP_2)
	v_cvt_f32_f16_e32 v12, v12
	v_cvt_f32_f16_e32 v16, v16
	s_delay_alu instid0(VALU_DEP_2) | instskip(NEXT) | instid1(VALU_DEP_2)
	v_add_f32_e32 v12, v12, v13
	v_add_f32_e32 v16, v16, v17
	s_delay_alu instid0(VALU_DEP_2) | instskip(NEXT) | instid1(VALU_DEP_2)
	v_dual_fmac_f32 v31, v12, v7 :: v_dual_mov_b32 v12, s13
	v_fmac_f32_e32 v30, v16, v6
	s_add_co_i32 s13, s19, 0x408
	s_delay_alu instid0(SALU_CYCLE_1)
	v_mov_b32_e32 v13, s13
	ds_load_2addr_b32 v[16:17], v12 offset1:1
	s_add_co_i32 s13, s19, 0x410
	s_wait_dscnt 0x0
	v_pk_fma_f16 v12, v19, v16, 0
	ds_load_2addr_b32 v[18:19], v13 offset1:1
	v_pk_fma_f16 v12, v20, v17, v12
	s_wait_dscnt 0x0
	s_delay_alu instid0(VALU_DEP_1) | instskip(SKIP_2) | instid1(VALU_DEP_3)
	v_pk_fma_f16 v12, v21, v18, v12
	v_add_nc_u64_e32 v[20:21], s[6:7], v[0:1]
	v_add_nc_u64_e32 v[0:1], s[0:1], v[0:1]
	v_pk_fma_f16 v12, v22, v19, v12
	s_delay_alu instid0(VALU_DEP_1) | instskip(SKIP_1) | instid1(VALU_DEP_1)
	v_cvt_f32_f16_e32 v13, v12
	v_lshrrev_b32_e32 v12, 16, v12
	v_cvt_f32_f16_e32 v12, v12
	s_delay_alu instid0(VALU_DEP_1) | instskip(NEXT) | instid1(VALU_DEP_1)
	v_add_f32_e32 v12, v12, v13
	v_fmac_f32_e32 v11, v12, v50
	v_pk_fma_f16 v12, v23, v16, 0
	s_delay_alu instid0(VALU_DEP_1) | instskip(NEXT) | instid1(VALU_DEP_1)
	v_pk_fma_f16 v12, v24, v17, v12
	v_pk_fma_f16 v12, v25, v18, v12
	s_delay_alu instid0(VALU_DEP_1) | instskip(NEXT) | instid1(VALU_DEP_1)
	v_pk_fma_f16 v12, v27, v19, v12
	v_cvt_f32_f16_e32 v13, v12
	v_lshrrev_b32_e32 v12, 16, v12
	s_delay_alu instid0(VALU_DEP_1) | instskip(NEXT) | instid1(VALU_DEP_1)
	v_cvt_f32_f16_e32 v12, v12
	v_add_f32_e32 v12, v12, v13
	s_delay_alu instid0(VALU_DEP_1) | instskip(SKIP_1) | instid1(VALU_DEP_1)
	v_fmac_f32_e32 v32, v12, v51
	v_pk_fma_f16 v12, v28, v16, 0
	v_pk_fma_f16 v12, v29, v17, v12
	s_delay_alu instid0(VALU_DEP_1) | instskip(NEXT) | instid1(VALU_DEP_1)
	v_pk_fma_f16 v12, v56, v18, v12
	v_pk_fma_f16 v13, v57, v19, v12
	s_delay_alu instid0(VALU_DEP_1) | instskip(SKIP_1) | instid1(VALU_DEP_1)
	v_cvt_f32_f16_e32 v12, v13
	v_lshrrev_b32_e32 v13, 16, v13
	v_cvt_f32_f16_e32 v14, v13
	v_pk_fma_f16 v13, v58, v16, 0
	s_delay_alu instid0(VALU_DEP_1) | instskip(NEXT) | instid1(VALU_DEP_1)
	v_pk_fma_f16 v13, v59, v17, v13
	v_pk_fma_f16 v13, v60, v18, v13
	s_delay_alu instid0(VALU_DEP_1) | instskip(SKIP_3) | instid1(VALU_DEP_2)
	v_pk_fma_f16 v13, v61, v19, v13
	global_load_b128 v[16:19], v[20:21], off
	v_lshrrev_b32_e32 v15, 16, v13
	v_cvt_f32_f16_e32 v13, v13
	v_cvt_f32_f16_e32 v15, v15
	s_delay_alu instid0(VALU_DEP_1) | instskip(NEXT) | instid1(VALU_DEP_1)
	v_pk_add_f32 v[12:13], v[12:13], v[14:15]
	v_pk_fma_f32 v[4:5], v[12:13], v[6:7], v[4:5]
	s_wait_loadcnt 0x0
	v_and_or_b32 v22, v16, s5, 0x64006400
	v_and_or_b32 v23, v16, s12, 0x64006400
	v_lshrrev_b32_e32 v16, 8, v16
	s_delay_alu instid0(VALU_DEP_3) | instskip(SKIP_1) | instid1(VALU_DEP_3)
	v_pk_add_f16 v25, v52, v22
	v_and_or_b32 v22, v17, s12, 0x64006400
	v_and_or_b32 v24, v16, s5, 0x64006400
	v_and_or_b32 v16, v16, s12, 0x64006400
	v_pk_fma_f16 v27, 0x2c00, v23, v8 op_sel_hi:[0,1,1]
	s_delay_alu instid0(VALU_DEP_4) | instskip(NEXT) | instid1(VALU_DEP_4)
	v_pk_fma_f16 v57, 0x2c00, v22, v3 op_sel_hi:[0,1,1]
	v_pk_add_f16 v28, v52, v24
	s_delay_alu instid0(VALU_DEP_4) | instskip(SKIP_2) | instid1(VALU_DEP_2)
	v_pk_fma_f16 v29, 0x2c00, v16, v8 op_sel_hi:[0,1,1]
	v_and_or_b32 v16, v17, s5, 0x64006400
	v_lshrrev_b32_e32 v17, 8, v17
	v_pk_add_f16 v56, v54, v16
	s_delay_alu instid0(VALU_DEP_2) | instskip(SKIP_2) | instid1(VALU_DEP_3)
	v_and_or_b32 v23, v17, s5, 0x64006400
	v_and_or_b32 v17, v17, s12, 0x64006400
	;; [unrolled: 1-line block ×3, first 2 shown]
	v_pk_add_f16 v58, v54, v23
	s_delay_alu instid0(VALU_DEP_3) | instskip(SKIP_1) | instid1(VALU_DEP_4)
	v_pk_fma_f16 v59, 0x2c00, v17, v3 op_sel_hi:[0,1,1]
	v_and_or_b32 v17, v18, s12, 0x64006400
	v_pk_add_f16 v60, v53, v16
	v_and_or_b32 v16, v19, s5, 0x64006400
	v_lshrrev_b32_e32 v18, 8, v18
	s_delay_alu instid0(VALU_DEP_4) | instskip(SKIP_1) | instid1(VALU_DEP_4)
	v_pk_fma_f16 v61, 0x2c00, v17, v10 op_sel_hi:[0,1,1]
	v_and_or_b32 v17, v19, s12, 0x64006400
	v_pk_add_f16 v64, v55, v16
	s_delay_alu instid0(VALU_DEP_4) | instskip(SKIP_1) | instid1(VALU_DEP_4)
	v_and_or_b32 v22, v18, s5, 0x64006400
	v_and_or_b32 v18, v18, s12, 0x64006400
	v_pk_fma_f16 v65, 0x2c00, v17, v9 op_sel_hi:[0,1,1]
	ds_load_2addr_b32 v[16:17], v26 offset0:4 offset1:5
	v_pk_add_f16 v62, v53, v22
	v_pk_fma_f16 v63, 0x2c00, v18, v10 op_sel_hi:[0,1,1]
	v_lshrrev_b32_e32 v18, 8, v19
	s_delay_alu instid0(VALU_DEP_1) | instskip(SKIP_1) | instid1(VALU_DEP_2)
	v_and_or_b32 v19, v18, s5, 0x64006400
	v_and_or_b32 v18, v18, s12, 0x64006400
	v_pk_add_f16 v66, v55, v19
	s_delay_alu instid0(VALU_DEP_2) | instskip(SKIP_2) | instid1(VALU_DEP_1)
	v_pk_fma_f16 v67, 0x2c00, v18, v9 op_sel_hi:[0,1,1]
	s_wait_dscnt 0x0
	v_pk_fma_f16 v18, v25, v16, 0
	v_pk_fma_f16 v22, v27, v17, v18
	ds_load_2addr_b32 v[18:19], v26 offset0:6 offset1:7
	s_wait_dscnt 0x0
	v_pk_fma_f16 v22, v28, v18, v22
	s_delay_alu instid0(VALU_DEP_1) | instskip(NEXT) | instid1(VALU_DEP_1)
	v_pk_fma_f16 v22, v29, v19, v22
	v_cvt_f32_f16_e32 v23, v22
	v_lshrrev_b32_e32 v22, 16, v22
	s_delay_alu instid0(VALU_DEP_1) | instskip(NEXT) | instid1(VALU_DEP_1)
	v_cvt_f32_f16_e32 v22, v22
	v_add_f32_e32 v22, v22, v23
	s_delay_alu instid0(VALU_DEP_1) | instskip(SKIP_1) | instid1(VALU_DEP_1)
	v_fmac_f32_e32 v46, v22, v50
	v_pk_fma_f16 v22, v56, v16, 0
	v_pk_fma_f16 v22, v57, v17, v22
	s_delay_alu instid0(VALU_DEP_1) | instskip(NEXT) | instid1(VALU_DEP_1)
	v_pk_fma_f16 v22, v58, v18, v22
	v_pk_fma_f16 v22, v59, v19, v22
	s_delay_alu instid0(VALU_DEP_1) | instskip(SKIP_1) | instid1(VALU_DEP_1)
	v_cvt_f32_f16_e32 v23, v22
	v_lshrrev_b32_e32 v22, 16, v22
	v_cvt_f32_f16_e32 v22, v22
	s_delay_alu instid0(VALU_DEP_1) | instskip(NEXT) | instid1(VALU_DEP_1)
	v_add_f32_e32 v22, v22, v23
	v_fmac_f32_e32 v47, v22, v51
	v_pk_fma_f16 v22, v60, v16, 0
	v_pk_fma_f16 v16, v64, v16, 0
	s_delay_alu instid0(VALU_DEP_2) | instskip(NEXT) | instid1(VALU_DEP_2)
	v_pk_fma_f16 v22, v61, v17, v22
	v_pk_fma_f16 v16, v65, v17, v16
	s_delay_alu instid0(VALU_DEP_2) | instskip(NEXT) | instid1(VALU_DEP_2)
	;; [unrolled: 3-line block ×3, first 2 shown]
	v_pk_fma_f16 v22, v63, v19, v22
	v_pk_fma_f16 v16, v67, v19, v16
	s_delay_alu instid0(VALU_DEP_2) | instskip(SKIP_1) | instid1(VALU_DEP_3)
	v_cvt_f32_f16_e32 v23, v22
	v_lshrrev_b32_e32 v22, 16, v22
	v_cvt_f32_f16_e32 v17, v16
	v_lshrrev_b32_e32 v16, 16, v16
	s_delay_alu instid0(VALU_DEP_3) | instskip(NEXT) | instid1(VALU_DEP_2)
	v_cvt_f32_f16_e32 v22, v22
	v_cvt_f32_f16_e32 v16, v16
	s_delay_alu instid0(VALU_DEP_1) | instskip(NEXT) | instid1(VALU_DEP_1)
	v_dual_add_f32 v22, v22, v23 :: v_dual_add_f32 v16, v16, v17
	v_dual_fmac_f32 v44, v22, v6 :: v_dual_fmac_f32 v45, v16, v7
	ds_load_2addr_b32 v[16:17], v26 offset0:68 offset1:69
	s_wait_dscnt 0x0
	v_pk_fma_f16 v18, v25, v16, 0
	s_delay_alu instid0(VALU_DEP_1) | instskip(SKIP_3) | instid1(VALU_DEP_1)
	v_pk_fma_f16 v22, v27, v17, v18
	ds_load_2addr_b32 v[18:19], v26 offset0:70 offset1:71
	s_wait_dscnt 0x0
	v_pk_fma_f16 v22, v28, v18, v22
	v_pk_fma_f16 v22, v29, v19, v22
	s_delay_alu instid0(VALU_DEP_1) | instskip(SKIP_1) | instid1(VALU_DEP_1)
	v_cvt_f32_f16_e32 v23, v22
	v_lshrrev_b32_e32 v22, 16, v22
	v_cvt_f32_f16_e32 v22, v22
	s_delay_alu instid0(VALU_DEP_1) | instskip(NEXT) | instid1(VALU_DEP_1)
	v_add_f32_e32 v22, v22, v23
	v_fmac_f32_e32 v41, v22, v50
	v_pk_fma_f16 v22, v56, v16, 0
	s_delay_alu instid0(VALU_DEP_1) | instskip(NEXT) | instid1(VALU_DEP_1)
	v_pk_fma_f16 v22, v57, v17, v22
	v_pk_fma_f16 v22, v58, v18, v22
	s_delay_alu instid0(VALU_DEP_1) | instskip(NEXT) | instid1(VALU_DEP_1)
	v_pk_fma_f16 v22, v59, v19, v22
	v_cvt_f32_f16_e32 v23, v22
	v_lshrrev_b32_e32 v22, 16, v22
	s_delay_alu instid0(VALU_DEP_1) | instskip(NEXT) | instid1(VALU_DEP_1)
	v_cvt_f32_f16_e32 v22, v22
	v_add_f32_e32 v22, v22, v23
	s_delay_alu instid0(VALU_DEP_1) | instskip(SKIP_2) | instid1(VALU_DEP_2)
	v_fmac_f32_e32 v42, v22, v51
	v_pk_fma_f16 v22, v60, v16, 0
	v_pk_fma_f16 v16, v64, v16, 0
	;; [unrolled: 1-line block ×3, first 2 shown]
	s_delay_alu instid0(VALU_DEP_2) | instskip(NEXT) | instid1(VALU_DEP_2)
	v_pk_fma_f16 v16, v65, v17, v16
	v_pk_fma_f16 v22, v62, v18, v22
	s_delay_alu instid0(VALU_DEP_2) | instskip(NEXT) | instid1(VALU_DEP_2)
	v_pk_fma_f16 v16, v66, v18, v16
	v_pk_fma_f16 v22, v63, v19, v22
	s_delay_alu instid0(VALU_DEP_2) | instskip(NEXT) | instid1(VALU_DEP_2)
	v_pk_fma_f16 v16, v67, v19, v16
	v_cvt_f32_f16_e32 v23, v22
	s_delay_alu instid0(VALU_DEP_2) | instskip(SKIP_1) | instid1(VALU_DEP_1)
	v_cvt_f32_f16_e32 v17, v16
	v_dual_lshrrev_b32 v16, 16, v16 :: v_dual_lshrrev_b32 v22, 16, v22
	v_cvt_f32_f16_e32 v16, v16
	s_delay_alu instid0(VALU_DEP_2) | instskip(NEXT) | instid1(VALU_DEP_1)
	v_cvt_f32_f16_e32 v22, v22
	v_dual_add_f32 v16, v16, v17 :: v_dual_add_f32 v22, v22, v23
	s_delay_alu instid0(VALU_DEP_1) | instskip(SKIP_4) | instid1(VALU_DEP_1)
	v_fmac_f32_e32 v40, v16, v7
	ds_load_2addr_b32 v[16:17], v26 offset0:132 offset1:133
	v_fmac_f32_e32 v39, v22, v6
	s_wait_dscnt 0x0
	v_pk_fma_f16 v18, v25, v16, 0
	v_pk_fma_f16 v22, v27, v17, v18
	ds_load_2addr_b32 v[18:19], v26 offset0:134 offset1:135
	s_wait_dscnt 0x0
	v_pk_fma_f16 v22, v28, v18, v22
	s_delay_alu instid0(VALU_DEP_1) | instskip(NEXT) | instid1(VALU_DEP_1)
	v_pk_fma_f16 v22, v29, v19, v22
	v_cvt_f32_f16_e32 v23, v22
	v_lshrrev_b32_e32 v22, 16, v22
	s_delay_alu instid0(VALU_DEP_1) | instskip(NEXT) | instid1(VALU_DEP_1)
	v_cvt_f32_f16_e32 v22, v22
	v_add_f32_e32 v22, v22, v23
	s_delay_alu instid0(VALU_DEP_1) | instskip(SKIP_1) | instid1(VALU_DEP_1)
	v_fmac_f32_e32 v37, v22, v50
	v_pk_fma_f16 v22, v56, v16, 0
	v_pk_fma_f16 v22, v57, v17, v22
	s_delay_alu instid0(VALU_DEP_1) | instskip(NEXT) | instid1(VALU_DEP_1)
	v_pk_fma_f16 v22, v58, v18, v22
	v_pk_fma_f16 v22, v59, v19, v22
	s_delay_alu instid0(VALU_DEP_1) | instskip(SKIP_1) | instid1(VALU_DEP_1)
	v_cvt_f32_f16_e32 v23, v22
	v_lshrrev_b32_e32 v22, 16, v22
	v_cvt_f32_f16_e32 v22, v22
	s_delay_alu instid0(VALU_DEP_1) | instskip(NEXT) | instid1(VALU_DEP_1)
	v_add_f32_e32 v22, v22, v23
	v_fmac_f32_e32 v38, v22, v51
	v_pk_fma_f16 v22, v60, v16, 0
	v_pk_fma_f16 v16, v64, v16, 0
	s_delay_alu instid0(VALU_DEP_2) | instskip(NEXT) | instid1(VALU_DEP_2)
	v_pk_fma_f16 v22, v61, v17, v22
	v_pk_fma_f16 v16, v65, v17, v16
	s_delay_alu instid0(VALU_DEP_2) | instskip(NEXT) | instid1(VALU_DEP_2)
	;; [unrolled: 3-line block ×4, first 2 shown]
	v_cvt_f32_f16_e32 v23, v22
	v_cvt_f32_f16_e32 v17, v16
	v_dual_lshrrev_b32 v16, 16, v16 :: v_dual_lshrrev_b32 v22, 16, v22
	s_delay_alu instid0(VALU_DEP_1) | instskip(NEXT) | instid1(VALU_DEP_2)
	v_cvt_f32_f16_e32 v16, v16
	v_cvt_f32_f16_e32 v22, v22
	s_delay_alu instid0(VALU_DEP_1) | instskip(NEXT) | instid1(VALU_DEP_1)
	v_dual_add_f32 v16, v16, v17 :: v_dual_add_f32 v22, v22, v23
	v_fmac_f32_e32 v35, v16, v7
	ds_load_2addr_b32 v[16:17], v26 offset0:196 offset1:197
	v_fmac_f32_e32 v36, v22, v6
	s_wait_dscnt 0x0
	v_pk_fma_f16 v18, v25, v16, 0
	s_delay_alu instid0(VALU_DEP_1) | instskip(SKIP_3) | instid1(VALU_DEP_1)
	v_pk_fma_f16 v22, v27, v17, v18
	ds_load_2addr_b32 v[18:19], v26 offset0:198 offset1:199
	s_wait_dscnt 0x0
	v_pk_fma_f16 v22, v28, v18, v22
	v_pk_fma_f16 v22, v29, v19, v22
	s_delay_alu instid0(VALU_DEP_1) | instskip(SKIP_1) | instid1(VALU_DEP_1)
	v_cvt_f32_f16_e32 v23, v22
	v_lshrrev_b32_e32 v22, 16, v22
	v_cvt_f32_f16_e32 v22, v22
	s_delay_alu instid0(VALU_DEP_1) | instskip(NEXT) | instid1(VALU_DEP_1)
	v_add_f32_e32 v22, v22, v23
	v_fmac_f32_e32 v33, v22, v50
	v_pk_fma_f16 v22, v56, v16, 0
	s_delay_alu instid0(VALU_DEP_1) | instskip(NEXT) | instid1(VALU_DEP_1)
	v_pk_fma_f16 v22, v57, v17, v22
	v_pk_fma_f16 v22, v58, v18, v22
	s_delay_alu instid0(VALU_DEP_1) | instskip(NEXT) | instid1(VALU_DEP_1)
	v_pk_fma_f16 v22, v59, v19, v22
	v_cvt_f32_f16_e32 v23, v22
	v_lshrrev_b32_e32 v22, 16, v22
	s_delay_alu instid0(VALU_DEP_1) | instskip(NEXT) | instid1(VALU_DEP_1)
	v_cvt_f32_f16_e32 v22, v22
	v_add_f32_e32 v22, v22, v23
	s_delay_alu instid0(VALU_DEP_1) | instskip(SKIP_2) | instid1(VALU_DEP_2)
	v_fmac_f32_e32 v34, v22, v51
	v_pk_fma_f16 v22, v60, v16, 0
	v_pk_fma_f16 v16, v64, v16, 0
	v_pk_fma_f16 v22, v61, v17, v22
	s_delay_alu instid0(VALU_DEP_2) | instskip(NEXT) | instid1(VALU_DEP_2)
	v_pk_fma_f16 v16, v65, v17, v16
	v_pk_fma_f16 v22, v62, v18, v22
	s_delay_alu instid0(VALU_DEP_2) | instskip(NEXT) | instid1(VALU_DEP_2)
	v_pk_fma_f16 v16, v66, v18, v16
	v_pk_fma_f16 v22, v63, v19, v22
	s_delay_alu instid0(VALU_DEP_2) | instskip(NEXT) | instid1(VALU_DEP_2)
	v_pk_fma_f16 v16, v67, v19, v16
	v_cvt_f32_f16_e32 v23, v22
	s_delay_alu instid0(VALU_DEP_2) | instskip(SKIP_1) | instid1(VALU_DEP_1)
	v_cvt_f32_f16_e32 v17, v16
	v_dual_lshrrev_b32 v16, 16, v16 :: v_dual_lshrrev_b32 v22, 16, v22
	v_cvt_f32_f16_e32 v16, v16
	s_delay_alu instid0(VALU_DEP_2) | instskip(NEXT) | instid1(VALU_DEP_2)
	v_cvt_f32_f16_e32 v22, v22
	v_add_f32_e32 v16, v16, v17
	s_delay_alu instid0(VALU_DEP_1)
	v_dual_fmac_f32 v31, v16, v7 :: v_dual_mov_b32 v16, s13
	s_add_co_i32 s13, s19, 0x418
	s_delay_alu instid0(VALU_DEP_3) | instid1(SALU_CYCLE_1)
	v_dual_add_f32 v22, v22, v23 :: v_dual_mov_b32 v17, s13
	s_add_co_i32 s13, s19, 0x420
	s_delay_alu instid0(VALU_DEP_1)
	v_fmac_f32_e32 v30, v22, v6
	ds_load_2addr_b32 v[22:23], v16 offset1:1
	s_wait_dscnt 0x0
	v_pk_fma_f16 v16, v25, v22, 0
	ds_load_2addr_b32 v[24:25], v17 offset1:1
	v_pk_fma_f16 v16, v27, v23, v16
	s_wait_dscnt 0x0
	s_delay_alu instid0(VALU_DEP_1) | instskip(NEXT) | instid1(VALU_DEP_1)
	v_pk_fma_f16 v16, v28, v24, v16
	v_pk_fma_f16 v16, v29, v25, v16
	s_delay_alu instid0(VALU_DEP_1) | instskip(SKIP_1) | instid1(VALU_DEP_1)
	v_cvt_f32_f16_e32 v17, v16
	v_lshrrev_b32_e32 v16, 16, v16
	v_cvt_f32_f16_e32 v16, v16
	s_delay_alu instid0(VALU_DEP_1) | instskip(NEXT) | instid1(VALU_DEP_1)
	v_add_f32_e32 v16, v16, v17
	v_fmac_f32_e32 v11, v16, v50
	v_pk_fma_f16 v16, v56, v22, 0
	s_delay_alu instid0(VALU_DEP_1) | instskip(NEXT) | instid1(VALU_DEP_1)
	v_pk_fma_f16 v16, v57, v23, v16
	v_pk_fma_f16 v16, v58, v24, v16
	s_delay_alu instid0(VALU_DEP_1) | instskip(NEXT) | instid1(VALU_DEP_1)
	v_pk_fma_f16 v16, v59, v25, v16
	v_cvt_f32_f16_e32 v17, v16
	v_lshrrev_b32_e32 v16, 16, v16
	s_delay_alu instid0(VALU_DEP_1) | instskip(NEXT) | instid1(VALU_DEP_1)
	v_cvt_f32_f16_e32 v16, v16
	v_add_f32_e32 v16, v16, v17
	s_delay_alu instid0(VALU_DEP_1) | instskip(SKIP_1) | instid1(VALU_DEP_1)
	v_fmac_f32_e32 v32, v16, v51
	v_pk_fma_f16 v16, v60, v22, 0
	v_pk_fma_f16 v16, v61, v23, v16
	s_delay_alu instid0(VALU_DEP_1) | instskip(NEXT) | instid1(VALU_DEP_1)
	v_pk_fma_f16 v16, v62, v24, v16
	v_pk_fma_f16 v17, v63, v25, v16
	s_delay_alu instid0(VALU_DEP_1) | instskip(SKIP_1) | instid1(VALU_DEP_1)
	v_cvt_f32_f16_e32 v16, v17
	v_lshrrev_b32_e32 v17, 16, v17
	v_cvt_f32_f16_e32 v18, v17
	v_pk_fma_f16 v17, v64, v22, 0
	s_delay_alu instid0(VALU_DEP_1) | instskip(NEXT) | instid1(VALU_DEP_1)
	v_pk_fma_f16 v17, v65, v23, v17
	v_pk_fma_f16 v17, v66, v24, v17
	s_delay_alu instid0(VALU_DEP_1) | instskip(SKIP_1) | instid1(VALU_DEP_2)
	v_pk_fma_f16 v17, v67, v25, v17
	v_add_nc_u64_e32 v[24:25], s[6:7], v[20:21]
	v_lshrrev_b32_e32 v19, 16, v17
	v_cvt_f32_f16_e32 v17, v17
	global_load_b128 v[60:63], v[24:25], off
	s_wait_xcnt 0x0
	v_add_nc_u64_e32 v[24:25], s[6:7], v[24:25]
	v_cvt_f32_f16_e32 v19, v19
	s_delay_alu instid0(VALU_DEP_1) | instskip(NEXT) | instid1(VALU_DEP_1)
	v_pk_add_f32 v[12:13], v[16:17], v[18:19]
	v_pk_fma_f32 v[4:5], v[12:13], v[6:7], v[4:5]
	s_wait_loadcnt 0x0
	v_lshrrev_b32_e32 v22, 8, v60
	v_and_or_b32 v20, v60, s5, 0x64006400
	v_and_or_b32 v21, v60, s12, 0x64006400
	v_dual_lshrrev_b32 v29, 8, v61 :: v_dual_lshrrev_b32 v59, 8, v62
	s_delay_alu instid0(VALU_DEP_4)
	v_and_or_b32 v27, v22, s5, 0x64006400
	v_and_or_b32 v28, v22, s12, 0x64006400
	v_pk_add_f16 v23, v52, v20
	v_pk_fma_f16 v22, 0x2c00, v21, v8 op_sel_hi:[0,1,1]
	v_and_or_b32 v56, v29, s5, 0x64006400
	v_pk_add_f16 v20, v52, v27
	v_pk_fma_f16 v21, 0x2c00, v28, v8 op_sel_hi:[0,1,1]
	v_and_or_b32 v27, v61, s5, 0x64006400
	v_and_or_b32 v28, v61, s12, 0x64006400
	;; [unrolled: 1-line block ×5, first 2 shown]
	v_lshrrev_b32_e32 v64, 8, v63
	v_pk_add_f16 v29, v54, v56
	v_pk_fma_f16 v56, 0x2c00, v57, v3 op_sel_hi:[0,1,1]
	v_and_or_b32 v57, v62, s5, 0x64006400
	v_and_or_b32 v58, v62, s12, 0x64006400
	v_pk_add_f16 v59, v53, v60
	v_pk_fma_f16 v60, 0x2c00, v61, v10 op_sel_hi:[0,1,1]
	v_and_or_b32 v61, v63, s5, 0x64006400
	v_and_or_b32 v62, v63, s12, 0x64006400
	;; [unrolled: 1-line block ×4, first 2 shown]
	v_pk_add_f16 v27, v54, v27
	v_pk_fma_f16 v28, 0x2c00, v28, v3 op_sel_hi:[0,1,1]
	v_pk_fma_f16 v66, 0x2c00, v62, v9 op_sel_hi:[0,1,1]
	v_pk_add_f16 v67, v55, v63
	ds_load_2addr_b32 v[62:63], v26 offset0:8 offset1:9
	v_pk_fma_f16 v68, 0x2c00, v64, v9 op_sel_hi:[0,1,1]
	v_pk_add_f16 v57, v53, v57
	v_pk_add_f16 v61, v55, v61
	v_pk_fma_f16 v58, 0x2c00, v58, v10 op_sel_hi:[0,1,1]
	s_wait_dscnt 0x0
	v_pk_fma_f16 v64, v23, v62, 0
	s_delay_alu instid0(VALU_DEP_1) | instskip(SKIP_3) | instid1(VALU_DEP_1)
	v_pk_fma_f16 v69, v22, v63, v64
	ds_load_2addr_b32 v[64:65], v26 offset0:10 offset1:11
	s_wait_dscnt 0x0
	v_pk_fma_f16 v69, v20, v64, v69
	v_pk_fma_f16 v69, v21, v65, v69
	s_delay_alu instid0(VALU_DEP_1) | instskip(SKIP_1) | instid1(VALU_DEP_1)
	v_cvt_f32_f16_e32 v70, v69
	v_lshrrev_b32_e32 v69, 16, v69
	v_cvt_f32_f16_e32 v69, v69
	s_delay_alu instid0(VALU_DEP_1) | instskip(NEXT) | instid1(VALU_DEP_1)
	v_add_f32_e32 v69, v69, v70
	v_fmac_f32_e32 v46, v69, v50
	v_pk_fma_f16 v69, v27, v62, 0
	s_delay_alu instid0(VALU_DEP_1) | instskip(NEXT) | instid1(VALU_DEP_1)
	v_pk_fma_f16 v69, v28, v63, v69
	v_pk_fma_f16 v69, v29, v64, v69
	s_delay_alu instid0(VALU_DEP_1) | instskip(NEXT) | instid1(VALU_DEP_1)
	v_pk_fma_f16 v69, v56, v65, v69
	v_cvt_f32_f16_e32 v70, v69
	v_lshrrev_b32_e32 v69, 16, v69
	s_delay_alu instid0(VALU_DEP_1) | instskip(NEXT) | instid1(VALU_DEP_1)
	v_cvt_f32_f16_e32 v69, v69
	v_add_f32_e32 v69, v69, v70
	s_delay_alu instid0(VALU_DEP_1) | instskip(SKIP_2) | instid1(VALU_DEP_2)
	v_fmac_f32_e32 v47, v69, v51
	v_pk_fma_f16 v69, v57, v62, 0
	v_pk_fma_f16 v62, v61, v62, 0
	;; [unrolled: 1-line block ×3, first 2 shown]
	s_delay_alu instid0(VALU_DEP_2) | instskip(NEXT) | instid1(VALU_DEP_2)
	v_pk_fma_f16 v62, v66, v63, v62
	v_pk_fma_f16 v69, v59, v64, v69
	s_delay_alu instid0(VALU_DEP_2) | instskip(NEXT) | instid1(VALU_DEP_2)
	v_pk_fma_f16 v62, v67, v64, v62
	v_pk_fma_f16 v69, v60, v65, v69
	s_delay_alu instid0(VALU_DEP_2) | instskip(NEXT) | instid1(VALU_DEP_2)
	v_pk_fma_f16 v62, v68, v65, v62
	v_cvt_f32_f16_e32 v70, v69
	s_delay_alu instid0(VALU_DEP_2) | instskip(SKIP_1) | instid1(VALU_DEP_1)
	v_cvt_f32_f16_e32 v63, v62
	v_dual_lshrrev_b32 v62, 16, v62 :: v_dual_lshrrev_b32 v69, 16, v69
	v_cvt_f32_f16_e32 v62, v62
	s_delay_alu instid0(VALU_DEP_2) | instskip(NEXT) | instid1(VALU_DEP_1)
	v_cvt_f32_f16_e32 v69, v69
	v_dual_add_f32 v62, v62, v63 :: v_dual_add_f32 v69, v69, v70
	s_delay_alu instid0(VALU_DEP_1) | instskip(SKIP_4) | instid1(VALU_DEP_1)
	v_fmac_f32_e32 v45, v62, v7
	ds_load_2addr_b32 v[62:63], v26 offset0:72 offset1:73
	v_fmac_f32_e32 v44, v69, v6
	s_wait_dscnt 0x0
	v_pk_fma_f16 v64, v23, v62, 0
	v_pk_fma_f16 v69, v22, v63, v64
	ds_load_2addr_b32 v[64:65], v26 offset0:74 offset1:75
	s_wait_dscnt 0x0
	v_pk_fma_f16 v69, v20, v64, v69
	s_delay_alu instid0(VALU_DEP_1) | instskip(NEXT) | instid1(VALU_DEP_1)
	v_pk_fma_f16 v69, v21, v65, v69
	v_cvt_f32_f16_e32 v70, v69
	v_lshrrev_b32_e32 v69, 16, v69
	s_delay_alu instid0(VALU_DEP_1) | instskip(NEXT) | instid1(VALU_DEP_1)
	v_cvt_f32_f16_e32 v69, v69
	v_add_f32_e32 v69, v69, v70
	s_delay_alu instid0(VALU_DEP_1) | instskip(SKIP_1) | instid1(VALU_DEP_1)
	v_fmac_f32_e32 v41, v69, v50
	v_pk_fma_f16 v69, v27, v62, 0
	v_pk_fma_f16 v69, v28, v63, v69
	s_delay_alu instid0(VALU_DEP_1) | instskip(NEXT) | instid1(VALU_DEP_1)
	v_pk_fma_f16 v69, v29, v64, v69
	v_pk_fma_f16 v69, v56, v65, v69
	s_delay_alu instid0(VALU_DEP_1) | instskip(SKIP_1) | instid1(VALU_DEP_1)
	v_cvt_f32_f16_e32 v70, v69
	v_lshrrev_b32_e32 v69, 16, v69
	v_cvt_f32_f16_e32 v69, v69
	s_delay_alu instid0(VALU_DEP_1) | instskip(NEXT) | instid1(VALU_DEP_1)
	v_add_f32_e32 v69, v69, v70
	v_fmac_f32_e32 v42, v69, v51
	v_pk_fma_f16 v69, v57, v62, 0
	v_pk_fma_f16 v62, v61, v62, 0
	s_delay_alu instid0(VALU_DEP_2) | instskip(NEXT) | instid1(VALU_DEP_2)
	v_pk_fma_f16 v69, v58, v63, v69
	v_pk_fma_f16 v62, v66, v63, v62
	s_delay_alu instid0(VALU_DEP_2) | instskip(NEXT) | instid1(VALU_DEP_2)
	;; [unrolled: 3-line block ×3, first 2 shown]
	v_pk_fma_f16 v69, v60, v65, v69
	v_pk_fma_f16 v62, v68, v65, v62
	s_delay_alu instid0(VALU_DEP_2) | instskip(SKIP_1) | instid1(VALU_DEP_3)
	v_cvt_f32_f16_e32 v70, v69
	v_lshrrev_b32_e32 v69, 16, v69
	v_cvt_f32_f16_e32 v63, v62
	v_lshrrev_b32_e32 v62, 16, v62
	s_delay_alu instid0(VALU_DEP_3) | instskip(NEXT) | instid1(VALU_DEP_2)
	v_cvt_f32_f16_e32 v69, v69
	v_cvt_f32_f16_e32 v62, v62
	s_delay_alu instid0(VALU_DEP_1) | instskip(NEXT) | instid1(VALU_DEP_1)
	v_dual_add_f32 v69, v69, v70 :: v_dual_add_f32 v62, v62, v63
	v_dual_fmac_f32 v39, v69, v6 :: v_dual_fmac_f32 v40, v62, v7
	ds_load_2addr_b32 v[62:63], v26 offset0:136 offset1:137
	s_wait_dscnt 0x0
	v_pk_fma_f16 v64, v23, v62, 0
	s_delay_alu instid0(VALU_DEP_1) | instskip(SKIP_3) | instid1(VALU_DEP_1)
	v_pk_fma_f16 v69, v22, v63, v64
	ds_load_2addr_b32 v[64:65], v26 offset0:138 offset1:139
	s_wait_dscnt 0x0
	v_pk_fma_f16 v69, v20, v64, v69
	v_pk_fma_f16 v69, v21, v65, v69
	s_delay_alu instid0(VALU_DEP_1) | instskip(SKIP_1) | instid1(VALU_DEP_1)
	v_cvt_f32_f16_e32 v70, v69
	v_lshrrev_b32_e32 v69, 16, v69
	v_cvt_f32_f16_e32 v69, v69
	s_delay_alu instid0(VALU_DEP_1) | instskip(NEXT) | instid1(VALU_DEP_1)
	v_add_f32_e32 v69, v69, v70
	v_fmac_f32_e32 v37, v69, v50
	v_pk_fma_f16 v69, v27, v62, 0
	s_delay_alu instid0(VALU_DEP_1) | instskip(NEXT) | instid1(VALU_DEP_1)
	v_pk_fma_f16 v69, v28, v63, v69
	v_pk_fma_f16 v69, v29, v64, v69
	s_delay_alu instid0(VALU_DEP_1) | instskip(NEXT) | instid1(VALU_DEP_1)
	v_pk_fma_f16 v69, v56, v65, v69
	v_cvt_f32_f16_e32 v70, v69
	v_lshrrev_b32_e32 v69, 16, v69
	s_delay_alu instid0(VALU_DEP_1) | instskip(NEXT) | instid1(VALU_DEP_1)
	v_cvt_f32_f16_e32 v69, v69
	v_add_f32_e32 v69, v69, v70
	s_delay_alu instid0(VALU_DEP_1) | instskip(SKIP_2) | instid1(VALU_DEP_2)
	v_fmac_f32_e32 v38, v69, v51
	v_pk_fma_f16 v69, v57, v62, 0
	v_pk_fma_f16 v62, v61, v62, 0
	;; [unrolled: 1-line block ×3, first 2 shown]
	s_delay_alu instid0(VALU_DEP_2) | instskip(NEXT) | instid1(VALU_DEP_2)
	v_pk_fma_f16 v62, v66, v63, v62
	v_pk_fma_f16 v69, v59, v64, v69
	s_delay_alu instid0(VALU_DEP_2) | instskip(NEXT) | instid1(VALU_DEP_2)
	v_pk_fma_f16 v62, v67, v64, v62
	v_pk_fma_f16 v69, v60, v65, v69
	s_delay_alu instid0(VALU_DEP_2) | instskip(NEXT) | instid1(VALU_DEP_2)
	v_pk_fma_f16 v62, v68, v65, v62
	v_cvt_f32_f16_e32 v70, v69
	s_delay_alu instid0(VALU_DEP_2) | instskip(SKIP_1) | instid1(VALU_DEP_1)
	v_cvt_f32_f16_e32 v63, v62
	v_dual_lshrrev_b32 v62, 16, v62 :: v_dual_lshrrev_b32 v69, 16, v69
	v_cvt_f32_f16_e32 v62, v62
	s_delay_alu instid0(VALU_DEP_2) | instskip(NEXT) | instid1(VALU_DEP_1)
	v_cvt_f32_f16_e32 v69, v69
	v_dual_add_f32 v62, v62, v63 :: v_dual_add_f32 v69, v69, v70
	s_delay_alu instid0(VALU_DEP_1) | instskip(SKIP_4) | instid1(VALU_DEP_1)
	v_fmac_f32_e32 v35, v62, v7
	ds_load_2addr_b32 v[62:63], v26 offset0:200 offset1:201
	v_fmac_f32_e32 v36, v69, v6
	s_wait_dscnt 0x0
	v_pk_fma_f16 v64, v23, v62, 0
	v_pk_fma_f16 v69, v22, v63, v64
	ds_load_2addr_b32 v[64:65], v26 offset0:202 offset1:203
	s_wait_dscnt 0x0
	v_pk_fma_f16 v69, v20, v64, v69
	s_delay_alu instid0(VALU_DEP_1) | instskip(NEXT) | instid1(VALU_DEP_1)
	v_pk_fma_f16 v69, v21, v65, v69
	v_cvt_f32_f16_e32 v70, v69
	v_lshrrev_b32_e32 v69, 16, v69
	s_delay_alu instid0(VALU_DEP_1) | instskip(NEXT) | instid1(VALU_DEP_1)
	v_cvt_f32_f16_e32 v69, v69
	v_add_f32_e32 v69, v69, v70
	s_delay_alu instid0(VALU_DEP_1) | instskip(SKIP_1) | instid1(VALU_DEP_1)
	v_fmac_f32_e32 v33, v69, v50
	v_pk_fma_f16 v69, v27, v62, 0
	v_pk_fma_f16 v69, v28, v63, v69
	s_delay_alu instid0(VALU_DEP_1) | instskip(NEXT) | instid1(VALU_DEP_1)
	v_pk_fma_f16 v69, v29, v64, v69
	v_pk_fma_f16 v69, v56, v65, v69
	s_delay_alu instid0(VALU_DEP_1) | instskip(SKIP_1) | instid1(VALU_DEP_1)
	v_cvt_f32_f16_e32 v70, v69
	v_lshrrev_b32_e32 v69, 16, v69
	v_cvt_f32_f16_e32 v69, v69
	s_delay_alu instid0(VALU_DEP_1) | instskip(NEXT) | instid1(VALU_DEP_1)
	v_add_f32_e32 v69, v69, v70
	v_fmac_f32_e32 v34, v69, v51
	v_pk_fma_f16 v69, v57, v62, 0
	v_pk_fma_f16 v62, v61, v62, 0
	s_delay_alu instid0(VALU_DEP_2) | instskip(NEXT) | instid1(VALU_DEP_2)
	v_pk_fma_f16 v69, v58, v63, v69
	v_pk_fma_f16 v62, v66, v63, v62
	s_delay_alu instid0(VALU_DEP_2) | instskip(NEXT) | instid1(VALU_DEP_2)
	v_pk_fma_f16 v69, v59, v64, v69
	v_pk_fma_f16 v62, v67, v64, v62
	s_delay_alu instid0(VALU_DEP_2) | instskip(NEXT) | instid1(VALU_DEP_2)
	v_pk_fma_f16 v69, v60, v65, v69
	v_pk_fma_f16 v62, v68, v65, v62
	s_delay_alu instid0(VALU_DEP_2) | instskip(SKIP_1) | instid1(VALU_DEP_3)
	v_cvt_f32_f16_e32 v70, v69
	v_lshrrev_b32_e32 v69, 16, v69
	v_cvt_f32_f16_e32 v63, v62
	v_lshrrev_b32_e32 v62, 16, v62
	s_delay_alu instid0(VALU_DEP_3) | instskip(NEXT) | instid1(VALU_DEP_2)
	v_cvt_f32_f16_e32 v69, v69
	v_cvt_f32_f16_e32 v62, v62
	s_delay_alu instid0(VALU_DEP_2) | instskip(SKIP_2) | instid1(VALU_DEP_1)
	v_add_f32_e32 v69, v69, v70
	ds_load_2addr_b32 v[70:71], v26 offset0:14 offset1:15
	v_add_f32_e32 v62, v62, v63
	v_dual_fmac_f32 v31, v62, v7 :: v_dual_mov_b32 v62, s13
	s_add_co_i32 s13, s19, 0x428
	ds_load_2addr_b32 v[62:63], v62 offset1:1
	s_wait_dscnt 0x0
	v_pk_fma_f16 v23, v23, v62, 0
	s_delay_alu instid0(VALU_DEP_1)
	v_pk_fma_f16 v22, v22, v63, v23
	v_mov_b32_e32 v23, s13
	s_add_co_i32 s13, s19, 0x430
	ds_load_2addr_b32 v[64:65], v23 offset1:1
	s_wait_dscnt 0x0
	v_pk_fma_f16 v20, v20, v64, v22
	s_delay_alu instid0(VALU_DEP_1) | instskip(NEXT) | instid1(VALU_DEP_1)
	v_pk_fma_f16 v20, v21, v65, v20
	v_cvt_f32_f16_e32 v21, v20
	v_lshrrev_b32_e32 v20, 16, v20
	s_delay_alu instid0(VALU_DEP_1) | instskip(NEXT) | instid1(VALU_DEP_1)
	v_cvt_f32_f16_e32 v20, v20
	v_add_f32_e32 v20, v20, v21
	s_delay_alu instid0(VALU_DEP_1) | instskip(SKIP_1) | instid1(VALU_DEP_1)
	v_fmac_f32_e32 v11, v20, v50
	v_pk_fma_f16 v20, v27, v62, 0
	v_pk_fma_f16 v20, v28, v63, v20
	s_delay_alu instid0(VALU_DEP_1) | instskip(NEXT) | instid1(VALU_DEP_1)
	v_pk_fma_f16 v20, v29, v64, v20
	v_pk_fma_f16 v20, v56, v65, v20
	v_fmac_f32_e32 v30, v69, v6
	s_delay_alu instid0(VALU_DEP_2) | instskip(SKIP_1) | instid1(VALU_DEP_1)
	v_cvt_f32_f16_e32 v21, v20
	v_lshrrev_b32_e32 v20, 16, v20
	v_cvt_f32_f16_e32 v20, v20
	s_delay_alu instid0(VALU_DEP_1) | instskip(NEXT) | instid1(VALU_DEP_1)
	v_add_f32_e32 v20, v20, v21
	v_fmac_f32_e32 v32, v20, v51
	v_pk_fma_f16 v20, v57, v62, 0
	s_delay_alu instid0(VALU_DEP_1) | instskip(NEXT) | instid1(VALU_DEP_1)
	v_pk_fma_f16 v20, v58, v63, v20
	v_pk_fma_f16 v20, v59, v64, v20
	global_load_b128 v[56:59], v[24:25], off
	v_pk_fma_f16 v21, v60, v65, v20
	s_delay_alu instid0(VALU_DEP_1) | instskip(SKIP_1) | instid1(VALU_DEP_1)
	v_cvt_f32_f16_e32 v20, v21
	v_lshrrev_b32_e32 v21, 16, v21
	v_cvt_f32_f16_e32 v22, v21
	v_pk_fma_f16 v21, v61, v62, 0
	s_delay_alu instid0(VALU_DEP_1) | instskip(NEXT) | instid1(VALU_DEP_1)
	v_pk_fma_f16 v21, v66, v63, v21
	v_pk_fma_f16 v21, v67, v64, v21
	s_delay_alu instid0(VALU_DEP_1) | instskip(NEXT) | instid1(VALU_DEP_1)
	v_pk_fma_f16 v21, v68, v65, v21
	v_lshrrev_b32_e32 v23, 16, v21
	v_cvt_f32_f16_e32 v21, v21
	s_wait_loadcnt 0x0
	v_lshrrev_b32_e32 v27, 8, v56
	v_and_or_b32 v24, v56, s5, 0x64006400
	v_and_or_b32 v25, v56, s12, 0x64006400
	v_cvt_f32_f16_e32 v23, v23
	s_delay_alu instid0(VALU_DEP_4)
	v_and_or_b32 v56, v27, s5, 0x64006400
	v_and_or_b32 v27, v27, s12, 0x64006400
	v_pk_add_f16 v29, v52, v24
	v_pk_fma_f16 v28, 0x2c00, v25, v8 op_sel_hi:[0,1,1]
	v_and_or_b32 v24, v57, s5, 0x64006400
	v_pk_add_f16 v68, v52, v56
	v_pk_fma_f16 v69, 0x2c00, v27, v8 op_sel_hi:[0,1,1]
	v_lshrrev_b32_e32 v27, 8, v57
	v_and_or_b32 v25, v57, s12, 0x64006400
	v_pk_add_f16 v64, v54, v24
	v_and_or_b32 v24, v58, s5, 0x64006400
	v_pk_add_f32 v[12:13], v[20:21], v[22:23]
	v_and_or_b32 v56, v27, s5, 0x64006400
	v_and_or_b32 v27, v27, s12, 0x64006400
	v_pk_fma_f16 v65, 0x2c00, v25, v3 op_sel_hi:[0,1,1]
	v_and_or_b32 v25, v58, s12, 0x64006400
	v_pk_add_f16 v60, v53, v24
	v_pk_add_f16 v66, v54, v56
	v_pk_fma_f16 v67, 0x2c00, v27, v3 op_sel_hi:[0,1,1]
	v_lshrrev_b32_e32 v27, 8, v58
	v_pk_fma_f16 v61, 0x2c00, v25, v10 op_sel_hi:[0,1,1]
	v_and_or_b32 v24, v59, s5, 0x64006400
	v_and_or_b32 v25, v59, s12, 0x64006400
	v_pk_fma_f32 v[4:5], v[12:13], v[6:7], v[4:5]
	v_and_or_b32 v56, v27, s5, 0x64006400
	v_and_or_b32 v27, v27, s12, 0x64006400
	s_delay_alu instid0(VALU_DEP_4) | instskip(NEXT) | instid1(VALU_DEP_3)
	v_pk_fma_f16 v58, 0x2c00, v25, v9 op_sel_hi:[0,1,1]
	v_pk_add_f16 v62, v53, v56
	s_delay_alu instid0(VALU_DEP_3)
	v_pk_fma_f16 v63, 0x2c00, v27, v10 op_sel_hi:[0,1,1]
	v_lshrrev_b32_e32 v27, 8, v59
	v_pk_add_f16 v59, v55, v24
	ds_load_2addr_b32 v[24:25], v26 offset0:12 offset1:13
	v_and_or_b32 v56, v27, s5, 0x64006400
	v_and_or_b32 v27, v27, s12, 0x64006400
	s_delay_alu instid0(VALU_DEP_2) | instskip(NEXT) | instid1(VALU_DEP_2)
	v_pk_add_f16 v57, v55, v56
	v_pk_fma_f16 v56, 0x2c00, v27, v9 op_sel_hi:[0,1,1]
	s_wait_dscnt 0x0
	v_pk_fma_f16 v27, v29, v24, 0
	s_delay_alu instid0(VALU_DEP_1) | instskip(NEXT) | instid1(VALU_DEP_1)
	v_pk_fma_f16 v27, v28, v25, v27
	v_pk_fma_f16 v27, v68, v70, v27
	s_delay_alu instid0(VALU_DEP_1) | instskip(NEXT) | instid1(VALU_DEP_1)
	v_pk_fma_f16 v27, v69, v71, v27
	v_cvt_f32_f16_e32 v72, v27
	v_lshrrev_b32_e32 v27, 16, v27
	s_delay_alu instid0(VALU_DEP_1) | instskip(NEXT) | instid1(VALU_DEP_1)
	v_cvt_f32_f16_e32 v27, v27
	v_add_f32_e32 v27, v27, v72
	s_delay_alu instid0(VALU_DEP_1) | instskip(SKIP_1) | instid1(VALU_DEP_1)
	v_fmac_f32_e32 v46, v27, v50
	v_pk_fma_f16 v27, v64, v24, 0
	v_pk_fma_f16 v27, v65, v25, v27
	s_delay_alu instid0(VALU_DEP_1) | instskip(NEXT) | instid1(VALU_DEP_1)
	v_pk_fma_f16 v27, v66, v70, v27
	v_pk_fma_f16 v27, v67, v71, v27
	s_delay_alu instid0(VALU_DEP_1) | instskip(SKIP_1) | instid1(VALU_DEP_1)
	v_cvt_f32_f16_e32 v72, v27
	v_lshrrev_b32_e32 v27, 16, v27
	v_cvt_f32_f16_e32 v27, v27
	s_delay_alu instid0(VALU_DEP_1) | instskip(NEXT) | instid1(VALU_DEP_1)
	v_add_f32_e32 v27, v27, v72
	v_fmac_f32_e32 v47, v27, v51
	v_pk_fma_f16 v27, v60, v24, 0
	v_pk_fma_f16 v24, v59, v24, 0
	s_delay_alu instid0(VALU_DEP_2) | instskip(NEXT) | instid1(VALU_DEP_2)
	v_pk_fma_f16 v27, v61, v25, v27
	v_pk_fma_f16 v24, v58, v25, v24
	s_delay_alu instid0(VALU_DEP_2) | instskip(NEXT) | instid1(VALU_DEP_2)
	;; [unrolled: 3-line block ×3, first 2 shown]
	v_pk_fma_f16 v27, v63, v71, v27
	v_pk_fma_f16 v24, v56, v71, v24
	ds_load_2addr_b32 v[70:71], v26 offset0:78 offset1:79
	v_cvt_f32_f16_e32 v72, v27
	v_cvt_f32_f16_e32 v25, v24
	v_dual_lshrrev_b32 v24, 16, v24 :: v_dual_lshrrev_b32 v27, 16, v27
	s_delay_alu instid0(VALU_DEP_1) | instskip(NEXT) | instid1(VALU_DEP_2)
	v_cvt_f32_f16_e32 v24, v24
	v_cvt_f32_f16_e32 v27, v27
	s_delay_alu instid0(VALU_DEP_1) | instskip(NEXT) | instid1(VALU_DEP_1)
	v_dual_add_f32 v24, v24, v25 :: v_dual_add_f32 v27, v27, v72
	v_fmac_f32_e32 v45, v24, v7
	ds_load_2addr_b32 v[24:25], v26 offset0:76 offset1:77
	v_fmac_f32_e32 v44, v27, v6
	s_wait_dscnt 0x0
	v_pk_fma_f16 v27, v29, v24, 0
	s_delay_alu instid0(VALU_DEP_1) | instskip(NEXT) | instid1(VALU_DEP_1)
	v_pk_fma_f16 v27, v28, v25, v27
	v_pk_fma_f16 v27, v68, v70, v27
	s_delay_alu instid0(VALU_DEP_1) | instskip(NEXT) | instid1(VALU_DEP_1)
	v_pk_fma_f16 v27, v69, v71, v27
	v_cvt_f32_f16_e32 v72, v27
	v_lshrrev_b32_e32 v27, 16, v27
	s_delay_alu instid0(VALU_DEP_1) | instskip(NEXT) | instid1(VALU_DEP_1)
	v_cvt_f32_f16_e32 v27, v27
	v_add_f32_e32 v27, v27, v72
	s_delay_alu instid0(VALU_DEP_1) | instskip(SKIP_1) | instid1(VALU_DEP_1)
	v_fmac_f32_e32 v41, v27, v50
	v_pk_fma_f16 v27, v64, v24, 0
	v_pk_fma_f16 v27, v65, v25, v27
	s_delay_alu instid0(VALU_DEP_1) | instskip(NEXT) | instid1(VALU_DEP_1)
	v_pk_fma_f16 v27, v66, v70, v27
	v_pk_fma_f16 v27, v67, v71, v27
	s_delay_alu instid0(VALU_DEP_1) | instskip(SKIP_1) | instid1(VALU_DEP_1)
	v_cvt_f32_f16_e32 v72, v27
	v_lshrrev_b32_e32 v27, 16, v27
	v_cvt_f32_f16_e32 v27, v27
	s_delay_alu instid0(VALU_DEP_1) | instskip(NEXT) | instid1(VALU_DEP_1)
	v_add_f32_e32 v27, v27, v72
	v_fmac_f32_e32 v42, v27, v51
	v_pk_fma_f16 v27, v60, v24, 0
	v_pk_fma_f16 v24, v59, v24, 0
	s_delay_alu instid0(VALU_DEP_2) | instskip(NEXT) | instid1(VALU_DEP_2)
	v_pk_fma_f16 v27, v61, v25, v27
	v_pk_fma_f16 v24, v58, v25, v24
	s_delay_alu instid0(VALU_DEP_2) | instskip(NEXT) | instid1(VALU_DEP_2)
	;; [unrolled: 3-line block ×3, first 2 shown]
	v_pk_fma_f16 v27, v63, v71, v27
	v_pk_fma_f16 v24, v56, v71, v24
	ds_load_2addr_b32 v[70:71], v26 offset0:142 offset1:143
	v_cvt_f32_f16_e32 v72, v27
	v_cvt_f32_f16_e32 v25, v24
	v_dual_lshrrev_b32 v24, 16, v24 :: v_dual_lshrrev_b32 v27, 16, v27
	s_delay_alu instid0(VALU_DEP_1) | instskip(NEXT) | instid1(VALU_DEP_2)
	v_cvt_f32_f16_e32 v24, v24
	v_cvt_f32_f16_e32 v27, v27
	s_delay_alu instid0(VALU_DEP_1) | instskip(NEXT) | instid1(VALU_DEP_1)
	v_dual_add_f32 v24, v24, v25 :: v_dual_add_f32 v27, v27, v72
	v_fmac_f32_e32 v40, v24, v7
	ds_load_2addr_b32 v[24:25], v26 offset0:140 offset1:141
	v_fmac_f32_e32 v39, v27, v6
	s_wait_dscnt 0x0
	v_pk_fma_f16 v27, v29, v24, 0
	s_delay_alu instid0(VALU_DEP_1) | instskip(NEXT) | instid1(VALU_DEP_1)
	v_pk_fma_f16 v27, v28, v25, v27
	v_pk_fma_f16 v27, v68, v70, v27
	s_delay_alu instid0(VALU_DEP_1) | instskip(NEXT) | instid1(VALU_DEP_1)
	v_pk_fma_f16 v27, v69, v71, v27
	v_cvt_f32_f16_e32 v72, v27
	v_lshrrev_b32_e32 v27, 16, v27
	s_delay_alu instid0(VALU_DEP_1) | instskip(NEXT) | instid1(VALU_DEP_1)
	v_cvt_f32_f16_e32 v27, v27
	v_add_f32_e32 v27, v27, v72
	s_delay_alu instid0(VALU_DEP_1) | instskip(SKIP_1) | instid1(VALU_DEP_1)
	v_fmac_f32_e32 v37, v27, v50
	v_pk_fma_f16 v27, v64, v24, 0
	v_pk_fma_f16 v27, v65, v25, v27
	s_delay_alu instid0(VALU_DEP_1) | instskip(NEXT) | instid1(VALU_DEP_1)
	v_pk_fma_f16 v27, v66, v70, v27
	v_pk_fma_f16 v27, v67, v71, v27
	s_delay_alu instid0(VALU_DEP_1) | instskip(SKIP_1) | instid1(VALU_DEP_1)
	v_cvt_f32_f16_e32 v72, v27
	v_lshrrev_b32_e32 v27, 16, v27
	v_cvt_f32_f16_e32 v27, v27
	s_delay_alu instid0(VALU_DEP_1) | instskip(NEXT) | instid1(VALU_DEP_1)
	v_add_f32_e32 v27, v27, v72
	v_fmac_f32_e32 v38, v27, v51
	v_pk_fma_f16 v27, v60, v24, 0
	v_pk_fma_f16 v24, v59, v24, 0
	s_delay_alu instid0(VALU_DEP_2) | instskip(NEXT) | instid1(VALU_DEP_2)
	v_pk_fma_f16 v27, v61, v25, v27
	v_pk_fma_f16 v24, v58, v25, v24
	s_delay_alu instid0(VALU_DEP_2) | instskip(NEXT) | instid1(VALU_DEP_2)
	;; [unrolled: 3-line block ×4, first 2 shown]
	v_cvt_f32_f16_e32 v72, v27
	v_cvt_f32_f16_e32 v25, v24
	v_dual_lshrrev_b32 v24, 16, v24 :: v_dual_lshrrev_b32 v27, 16, v27
	s_delay_alu instid0(VALU_DEP_1) | instskip(NEXT) | instid1(VALU_DEP_2)
	v_cvt_f32_f16_e32 v24, v24
	v_cvt_f32_f16_e32 v27, v27
	s_delay_alu instid0(VALU_DEP_1) | instskip(NEXT) | instid1(VALU_DEP_1)
	v_dual_add_f32 v24, v24, v25 :: v_dual_add_f32 v27, v27, v72
	v_fmac_f32_e32 v35, v24, v7
	ds_load_2addr_b32 v[24:25], v26 offset0:204 offset1:205
	v_fmac_f32_e32 v36, v27, v6
	s_wait_dscnt 0x0
	v_pk_fma_f16 v27, v29, v24, 0
	s_delay_alu instid0(VALU_DEP_1) | instskip(SKIP_3) | instid1(VALU_DEP_1)
	v_pk_fma_f16 v70, v28, v25, v27
	ds_load_2addr_b32 v[26:27], v26 offset0:206 offset1:207
	s_wait_dscnt 0x0
	v_pk_fma_f16 v70, v68, v26, v70
	v_pk_fma_f16 v70, v69, v27, v70
	s_delay_alu instid0(VALU_DEP_1) | instskip(SKIP_1) | instid1(VALU_DEP_1)
	v_cvt_f32_f16_e32 v71, v70
	v_lshrrev_b32_e32 v70, 16, v70
	v_cvt_f32_f16_e32 v70, v70
	s_delay_alu instid0(VALU_DEP_1) | instskip(NEXT) | instid1(VALU_DEP_1)
	v_add_f32_e32 v70, v70, v71
	v_fmac_f32_e32 v33, v70, v50
	v_pk_fma_f16 v70, v64, v24, 0
	s_delay_alu instid0(VALU_DEP_1) | instskip(NEXT) | instid1(VALU_DEP_1)
	v_pk_fma_f16 v70, v65, v25, v70
	v_pk_fma_f16 v70, v66, v26, v70
	s_delay_alu instid0(VALU_DEP_1) | instskip(NEXT) | instid1(VALU_DEP_1)
	v_pk_fma_f16 v70, v67, v27, v70
	v_cvt_f32_f16_e32 v71, v70
	v_lshrrev_b32_e32 v70, 16, v70
	s_delay_alu instid0(VALU_DEP_1) | instskip(NEXT) | instid1(VALU_DEP_1)
	v_cvt_f32_f16_e32 v70, v70
	v_add_f32_e32 v70, v70, v71
	s_delay_alu instid0(VALU_DEP_1) | instskip(SKIP_2) | instid1(VALU_DEP_2)
	v_fmac_f32_e32 v34, v70, v51
	v_pk_fma_f16 v70, v60, v24, 0
	v_pk_fma_f16 v24, v59, v24, 0
	;; [unrolled: 1-line block ×3, first 2 shown]
	s_delay_alu instid0(VALU_DEP_2) | instskip(NEXT) | instid1(VALU_DEP_2)
	v_pk_fma_f16 v24, v58, v25, v24
	v_pk_fma_f16 v70, v62, v26, v70
	s_delay_alu instid0(VALU_DEP_2) | instskip(NEXT) | instid1(VALU_DEP_2)
	v_pk_fma_f16 v24, v57, v26, v24
	v_pk_fma_f16 v70, v63, v27, v70
	s_delay_alu instid0(VALU_DEP_2) | instskip(NEXT) | instid1(VALU_DEP_2)
	v_pk_fma_f16 v24, v56, v27, v24
	v_cvt_f32_f16_e32 v71, v70
	v_lshrrev_b32_e32 v70, 16, v70
	s_delay_alu instid0(VALU_DEP_3) | instskip(SKIP_1) | instid1(VALU_DEP_3)
	v_cvt_f32_f16_e32 v25, v24
	v_lshrrev_b32_e32 v24, 16, v24
	v_cvt_f32_f16_e32 v70, v70
	s_delay_alu instid0(VALU_DEP_2) | instskip(NEXT) | instid1(VALU_DEP_1)
	v_cvt_f32_f16_e32 v24, v24
	v_dual_add_f32 v70, v70, v71 :: v_dual_add_f32 v24, v24, v25
	s_delay_alu instid0(VALU_DEP_1)
	v_dual_fmac_f32 v30, v70, v6 :: v_dual_fmac_f32 v31, v24, v7
	v_mov_b32_e32 v24, s13
	s_add_co_i32 s13, s19, 0x438
	s_add_co_i32 s19, s19, 64
	v_mov_b32_e32 v25, s13
	s_cmp_ge_i32 s15, s16
	ds_load_2addr_b32 v[70:71], v24 offset1:1
	s_wait_dscnt 0x0
	v_pk_fma_f16 v24, v29, v70, 0
	s_delay_alu instid0(VALU_DEP_1) | instskip(SKIP_3) | instid1(VALU_DEP_1)
	v_pk_fma_f16 v24, v28, v71, v24
	ds_load_2addr_b32 v[28:29], v25 offset1:1
	s_wait_dscnt 0x0
	v_pk_fma_f16 v24, v68, v28, v24
	v_pk_fma_f16 v24, v69, v29, v24
	s_delay_alu instid0(VALU_DEP_1) | instskip(SKIP_1) | instid1(VALU_DEP_1)
	v_cvt_f32_f16_e32 v25, v24
	v_lshrrev_b32_e32 v24, 16, v24
	v_cvt_f32_f16_e32 v24, v24
	s_delay_alu instid0(VALU_DEP_1) | instskip(NEXT) | instid1(VALU_DEP_1)
	v_add_f32_e32 v24, v24, v25
	v_fmac_f32_e32 v11, v24, v50
	v_pk_fma_f16 v24, v64, v70, 0
	s_delay_alu instid0(VALU_DEP_1) | instskip(NEXT) | instid1(VALU_DEP_1)
	v_pk_fma_f16 v24, v65, v71, v24
	v_pk_fma_f16 v24, v66, v28, v24
	s_delay_alu instid0(VALU_DEP_1) | instskip(NEXT) | instid1(VALU_DEP_1)
	v_pk_fma_f16 v24, v67, v29, v24
	v_cvt_f32_f16_e32 v25, v24
	v_lshrrev_b32_e32 v24, 16, v24
	s_delay_alu instid0(VALU_DEP_1) | instskip(NEXT) | instid1(VALU_DEP_1)
	v_cvt_f32_f16_e32 v24, v24
	v_add_f32_e32 v24, v24, v25
	s_delay_alu instid0(VALU_DEP_1) | instskip(SKIP_1) | instid1(VALU_DEP_1)
	v_fmac_f32_e32 v32, v24, v51
	v_pk_fma_f16 v24, v60, v70, 0
	v_pk_fma_f16 v24, v61, v71, v24
	s_delay_alu instid0(VALU_DEP_1) | instskip(NEXT) | instid1(VALU_DEP_1)
	v_pk_fma_f16 v24, v62, v28, v24
	v_pk_fma_f16 v25, v63, v29, v24
	s_delay_alu instid0(VALU_DEP_1) | instskip(SKIP_1) | instid1(VALU_DEP_1)
	v_cvt_f32_f16_e32 v24, v25
	v_lshrrev_b32_e32 v25, 16, v25
	v_cvt_f32_f16_e32 v26, v25
	v_pk_fma_f16 v25, v59, v70, 0
	s_delay_alu instid0(VALU_DEP_1) | instskip(NEXT) | instid1(VALU_DEP_1)
	v_pk_fma_f16 v25, v58, v71, v25
	v_pk_fma_f16 v25, v57, v28, v25
	s_delay_alu instid0(VALU_DEP_1) | instskip(NEXT) | instid1(VALU_DEP_1)
	v_pk_fma_f16 v25, v56, v29, v25
	v_lshrrev_b32_e32 v27, 16, v25
	v_cvt_f32_f16_e32 v25, v25
	s_delay_alu instid0(VALU_DEP_2) | instskip(NEXT) | instid1(VALU_DEP_1)
	v_cvt_f32_f16_e32 v27, v27
	v_pk_add_f32 v[12:13], v[24:25], v[26:27]
	s_delay_alu instid0(VALU_DEP_1)
	v_pk_fma_f32 v[4:5], v[12:13], v[6:7], v[4:5]
	s_cbranch_scc1 .LBB33_18
.LBB33_16:                              ; =>This Inner Loop Header: Depth=1
	s_cmp_lg_u32 s15, s21
	s_cbranch_scc1 .LBB33_15
; %bb.17:                               ;   in Loop: Header=BB33_16 Depth=1
	s_add_co_i32 s18, s18, 1
	s_add_co_i32 s21, s21, s17
	s_mul_i32 s13, s18, s4
	s_delay_alu instid0(SALU_CYCLE_1) | instskip(SKIP_2) | instid1(SALU_CYCLE_1)
	s_ashr_i32 s22, s13, 31
	v_add_nc_u32_e32 v6, s13, v2
	s_lshr_b32 s22, s22, 29
	s_add_co_i32 s22, s13, s22
	s_delay_alu instid0(SALU_CYCLE_1) | instskip(NEXT) | instid1(SALU_CYCLE_1)
	s_ashr_i32 s22, s22, 3
	v_add_nc_u32_e32 v3, s22, v43
	global_load_b32 v3, v3, s[2:3] scale_offset
	s_wait_loadcnt 0x0
	v_dual_ashrrev_i32 v7, 31, v6 :: v_dual_lshrrev_b32 v3, v48, v3
	s_delay_alu instid0(VALU_DEP_1) | instskip(NEXT) | instid1(VALU_DEP_2)
	v_lshl_add_u64 v[6:7], v[6:7], 1, s[8:9]
	v_dual_lshrrev_b32 v8, 4, v3 :: v_dual_lshrrev_b32 v9, 12, v3
	global_load_b64 v[6:7], v[6:7], off
	v_dual_lshrrev_b32 v10, 8, v3 :: v_dual_bitop2_b32 v3, 15, v3 bitop3:0x40
	v_and_b32_e32 v8, 15, v8
	v_and_b32_e32 v9, 15, v9
	s_delay_alu instid0(VALU_DEP_3) | instskip(NEXT) | instid1(VALU_DEP_3)
	v_dual_add_nc_u32 v3, v3, v49 :: v_dual_bitop2_b32 v10, 15, v10 bitop3:0x40
	v_add_nc_u32_e32 v8, v8, v49
	s_delay_alu instid0(VALU_DEP_2) | instskip(SKIP_1) | instid1(VALU_DEP_3)
	v_cvt_f32_ubyte0_e32 v12, v3
	v_mad_u32_u24 v52, v3, s20, 0xe400e400
	v_cvt_f32_ubyte0_e32 v13, v8
	v_mad_u32_u24 v54, v8, s20, 0xe400e400
	v_add_nc_u32_e32 v10, v10, v49
	s_delay_alu instid0(VALU_DEP_3) | instskip(NEXT) | instid1(VALU_DEP_2)
	v_cvt_pk_f16_f32 v12, v12, v13
	v_cvt_f32_ubyte0_e32 v15, v10
	v_mad_u32_u24 v53, v10, s20, 0xe400e400
	s_delay_alu instid0(VALU_DEP_3) | instskip(NEXT) | instid1(VALU_DEP_1)
	v_pk_add_f16 v12, 0xd400, v12 op_sel_hi:[0,1] neg_lo:[0,1] neg_hi:[0,1]
	v_and_b32_e32 v8, 0xffff, v12
	v_lshrrev_b32_e32 v10, 16, v12
	s_delay_alu instid0(VALU_DEP_2)
	v_mul_u32_u24_e32 v8, 0x10001, v8
	s_wait_loadcnt 0x0
	v_dual_lshrrev_b32 v16, 16, v6 :: v_dual_add_nc_u32 v9, v9, v49
	v_lshrrev_b32_e32 v17, 16, v7
	v_cvt_f32_f16_e32 v50, v6
	v_cvt_f32_f16_e32 v6, v7
	s_delay_alu instid0(VALU_DEP_4) | instskip(SKIP_3) | instid1(VALU_DEP_3)
	v_cvt_f32_f16_e32 v51, v16
	v_cvt_f32_ubyte0_e32 v14, v9
	v_cvt_f32_f16_e32 v7, v17
	v_mad_u32_u24 v55, v9, s20, 0xe400e400
	v_cvt_pk_f16_f32 v13, v15, v14
	s_delay_alu instid0(VALU_DEP_1) | instskip(NEXT) | instid1(VALU_DEP_1)
	v_pk_add_f16 v3, 0xd400, v13 op_sel_hi:[0,1] neg_lo:[0,1] neg_hi:[0,1]
	v_and_b32_e32 v12, 0xffff, v3
	v_lshrrev_b32_e32 v13, 16, v3
	v_mul_u32_u24_e32 v3, 0x10001, v10
	s_delay_alu instid0(VALU_DEP_3) | instskip(NEXT) | instid1(VALU_DEP_3)
	v_mul_u32_u24_e32 v10, 0x10001, v12
	v_mul_u32_u24_e32 v9, 0x10001, v13
	s_branch .LBB33_15
.LBB33_18:
	v_mad_u32 v0, s14, s4, v2
	s_mov_b32 s0, 0
	s_delay_alu instid0(VALU_DEP_1) | instskip(SKIP_1) | instid1(VALU_DEP_1)
	v_ashrrev_i32_e32 v1, 31, v0
	s_wait_kmcnt 0x0
	v_lshl_add_u64 v[2:3], v[0:1], 1, s[10:11]
	v_cvt_pk_f16_f32 v1, v46, v47
	global_load_b32 v7, v[2:3], off
.LBB33_19:                              ; =>This Inner Loop Header: Depth=1
	s_wait_loadcnt 0x0
	v_pk_add_f16 v6, v1, v7
	global_atomic_cmpswap_b32 v6, v[2:3], v[6:7], off th:TH_ATOMIC_RETURN scope:SCOPE_DEV
	s_wait_loadcnt 0x0
	v_cmp_eq_u32_e32 vcc_lo, v7, v6
	v_mov_b32_e32 v7, v6
	s_or_b32 s0, vcc_lo, s0
	s_delay_alu instid0(SALU_CYCLE_1)
	s_and_not1_b32 exec_lo, exec_lo, s0
	s_cbranch_execnz .LBB33_19
; %bb.20:
	s_or_b32 exec_lo, exec_lo, s0
	global_load_b32 v7, v[2:3], off offset:4
	v_cvt_pk_f16_f32 v1, v44, v45
	s_mov_b32 s0, 0
.LBB33_21:                              ; =>This Inner Loop Header: Depth=1
	s_wait_loadcnt 0x0
	s_delay_alu instid0(VALU_DEP_1)
	v_pk_add_f16 v6, v1, v7
	global_atomic_cmpswap_b32 v6, v[2:3], v[6:7], off offset:4 th:TH_ATOMIC_RETURN scope:SCOPE_DEV
	s_wait_loadcnt 0x0
	v_cmp_eq_u32_e32 vcc_lo, v7, v6
	v_mov_b32_e32 v7, v6
	s_or_b32 s0, vcc_lo, s0
	s_delay_alu instid0(SALU_CYCLE_1)
	s_and_not1_b32 exec_lo, exec_lo, s0
	s_cbranch_execnz .LBB33_21
; %bb.22:
	s_or_b32 exec_lo, exec_lo, s0
	v_add_nc_u32_e32 v0, s4, v0
	s_mov_b32 s0, 0
	s_delay_alu instid0(VALU_DEP_1) | instskip(NEXT) | instid1(VALU_DEP_1)
	v_ashrrev_i32_e32 v1, 31, v0
	v_lshl_add_u64 v[2:3], v[0:1], 1, s[10:11]
	v_cvt_pk_f16_f32 v1, v41, v42
	global_load_b32 v7, v[2:3], off
.LBB33_23:                              ; =>This Inner Loop Header: Depth=1
	s_wait_loadcnt 0x0
	v_pk_add_f16 v6, v1, v7
	global_atomic_cmpswap_b32 v6, v[2:3], v[6:7], off th:TH_ATOMIC_RETURN scope:SCOPE_DEV
	s_wait_loadcnt 0x0
	v_cmp_eq_u32_e32 vcc_lo, v7, v6
	v_mov_b32_e32 v7, v6
	s_or_b32 s0, vcc_lo, s0
	s_delay_alu instid0(SALU_CYCLE_1)
	s_and_not1_b32 exec_lo, exec_lo, s0
	s_cbranch_execnz .LBB33_23
; %bb.24:
	s_or_b32 exec_lo, exec_lo, s0
	global_load_b32 v7, v[2:3], off offset:4
	v_cvt_pk_f16_f32 v1, v39, v40
	s_mov_b32 s0, 0
.LBB33_25:                              ; =>This Inner Loop Header: Depth=1
	s_wait_loadcnt 0x0
	s_delay_alu instid0(VALU_DEP_1)
	v_pk_add_f16 v6, v1, v7
	global_atomic_cmpswap_b32 v6, v[2:3], v[6:7], off offset:4 th:TH_ATOMIC_RETURN scope:SCOPE_DEV
	s_wait_loadcnt 0x0
	v_cmp_eq_u32_e32 vcc_lo, v7, v6
	v_mov_b32_e32 v7, v6
	s_or_b32 s0, vcc_lo, s0
	s_delay_alu instid0(SALU_CYCLE_1)
	s_and_not1_b32 exec_lo, exec_lo, s0
	s_cbranch_execnz .LBB33_25
; %bb.26:
	s_or_b32 exec_lo, exec_lo, s0
	v_add_nc_u32_e32 v0, s4, v0
	s_mov_b32 s0, 0
	s_delay_alu instid0(VALU_DEP_1) | instskip(NEXT) | instid1(VALU_DEP_1)
	v_ashrrev_i32_e32 v1, 31, v0
	;; [unrolled: 37-line block ×3, first 2 shown]
	v_lshl_add_u64 v[2:3], v[0:1], 1, s[10:11]
	v_cvt_pk_f16_f32 v1, v33, v34
	global_load_b32 v7, v[2:3], off
.LBB33_31:                              ; =>This Inner Loop Header: Depth=1
	s_wait_loadcnt 0x0
	v_pk_add_f16 v6, v1, v7
	global_atomic_cmpswap_b32 v6, v[2:3], v[6:7], off th:TH_ATOMIC_RETURN scope:SCOPE_DEV
	s_wait_loadcnt 0x0
	v_cmp_eq_u32_e32 vcc_lo, v7, v6
	v_mov_b32_e32 v7, v6
	s_or_b32 s0, vcc_lo, s0
	s_delay_alu instid0(SALU_CYCLE_1)
	s_and_not1_b32 exec_lo, exec_lo, s0
	s_cbranch_execnz .LBB33_31
; %bb.32:
	s_or_b32 exec_lo, exec_lo, s0
	global_load_b32 v7, v[2:3], off offset:4
	v_cvt_pk_f16_f32 v1, v30, v31
	s_mov_b32 s0, 0
.LBB33_33:                              ; =>This Inner Loop Header: Depth=1
	s_wait_loadcnt 0x0
	s_delay_alu instid0(VALU_DEP_1)
	v_pk_add_f16 v6, v1, v7
	global_atomic_cmpswap_b32 v6, v[2:3], v[6:7], off offset:4 th:TH_ATOMIC_RETURN scope:SCOPE_DEV
	s_wait_loadcnt 0x0
	v_cmp_eq_u32_e32 vcc_lo, v7, v6
	v_mov_b32_e32 v7, v6
	s_or_b32 s0, vcc_lo, s0
	s_delay_alu instid0(SALU_CYCLE_1)
	s_and_not1_b32 exec_lo, exec_lo, s0
	s_cbranch_execnz .LBB33_33
; %bb.34:
	s_or_b32 exec_lo, exec_lo, s0
	v_add_nc_u32_e32 v0, s4, v0
	v_cvt_pk_f16_f32 v6, v11, v32
	s_mov_b32 s0, 0
	s_delay_alu instid0(VALU_DEP_2) | instskip(NEXT) | instid1(VALU_DEP_1)
	v_ashrrev_i32_e32 v1, 31, v0
	v_lshl_add_u64 v[0:1], v[0:1], 1, s[10:11]
	global_load_b32 v3, v[0:1], off
.LBB33_35:                              ; =>This Inner Loop Header: Depth=1
	s_wait_loadcnt 0x0
	v_pk_add_f16 v2, v6, v3
	global_atomic_cmpswap_b32 v2, v[0:1], v[2:3], off th:TH_ATOMIC_RETURN scope:SCOPE_DEV
	s_wait_loadcnt 0x0
	v_cmp_eq_u32_e32 vcc_lo, v3, v2
	v_mov_b32_e32 v3, v2
	s_or_b32 s0, vcc_lo, s0
	s_delay_alu instid0(SALU_CYCLE_1)
	s_and_not1_b32 exec_lo, exec_lo, s0
	s_cbranch_execnz .LBB33_35
; %bb.36:
	s_or_b32 exec_lo, exec_lo, s0
	global_load_b32 v3, v[0:1], off offset:4
	v_cvt_pk_f16_f32 v4, v4, v5
	s_mov_b32 s0, 0
.LBB33_37:                              ; =>This Inner Loop Header: Depth=1
	s_wait_loadcnt 0x0
	s_delay_alu instid0(VALU_DEP_1)
	v_pk_add_f16 v2, v4, v3
	global_atomic_cmpswap_b32 v2, v[0:1], v[2:3], off offset:4 th:TH_ATOMIC_RETURN scope:SCOPE_DEV
	s_wait_loadcnt 0x0
	v_cmp_eq_u32_e32 vcc_lo, v3, v2
	v_mov_b32_e32 v3, v2
	s_or_b32 s0, vcc_lo, s0
	s_delay_alu instid0(SALU_CYCLE_1)
	s_and_not1_b32 exec_lo, exec_lo, s0
	s_cbranch_execnz .LBB33_37
.LBB33_38:
	s_endpgm
	.section	.rodata,"a",@progbits
	.p2align	6, 0x0
	.amdhsa_kernel _ZN4vllm4gptq33gemm_half_q_half_gptq_4bit_kernelILb1ELi5EEEvPK6__halfPKjS6_S4_PS2_iiiibPKi
		.amdhsa_group_segment_fixed_size 1280
		.amdhsa_private_segment_fixed_size 0
		.amdhsa_kernarg_size 72
		.amdhsa_user_sgpr_count 2
		.amdhsa_user_sgpr_dispatch_ptr 0
		.amdhsa_user_sgpr_queue_ptr 0
		.amdhsa_user_sgpr_kernarg_segment_ptr 1
		.amdhsa_user_sgpr_dispatch_id 0
		.amdhsa_user_sgpr_kernarg_preload_length 0
		.amdhsa_user_sgpr_kernarg_preload_offset 0
		.amdhsa_user_sgpr_private_segment_size 0
		.amdhsa_wavefront_size32 1
		.amdhsa_uses_dynamic_stack 0
		.amdhsa_enable_private_segment 0
		.amdhsa_system_sgpr_workgroup_id_x 1
		.amdhsa_system_sgpr_workgroup_id_y 1
		.amdhsa_system_sgpr_workgroup_id_z 1
		.amdhsa_system_sgpr_workgroup_info 0
		.amdhsa_system_vgpr_workitem_id 0
		.amdhsa_next_free_vgpr 73
		.amdhsa_next_free_sgpr 23
		.amdhsa_named_barrier_count 0
		.amdhsa_reserve_vcc 1
		.amdhsa_float_round_mode_32 0
		.amdhsa_float_round_mode_16_64 0
		.amdhsa_float_denorm_mode_32 3
		.amdhsa_float_denorm_mode_16_64 3
		.amdhsa_fp16_overflow 0
		.amdhsa_memory_ordered 1
		.amdhsa_forward_progress 1
		.amdhsa_inst_pref_size 83
		.amdhsa_round_robin_scheduling 0
		.amdhsa_exception_fp_ieee_invalid_op 0
		.amdhsa_exception_fp_denorm_src 0
		.amdhsa_exception_fp_ieee_div_zero 0
		.amdhsa_exception_fp_ieee_overflow 0
		.amdhsa_exception_fp_ieee_underflow 0
		.amdhsa_exception_fp_ieee_inexact 0
		.amdhsa_exception_int_div_zero 0
	.end_amdhsa_kernel
	.section	.text._ZN4vllm4gptq33gemm_half_q_half_gptq_4bit_kernelILb1ELi5EEEvPK6__halfPKjS6_S4_PS2_iiiibPKi,"axG",@progbits,_ZN4vllm4gptq33gemm_half_q_half_gptq_4bit_kernelILb1ELi5EEEvPK6__halfPKjS6_S4_PS2_iiiibPKi,comdat
.Lfunc_end33:
	.size	_ZN4vllm4gptq33gemm_half_q_half_gptq_4bit_kernelILb1ELi5EEEvPK6__halfPKjS6_S4_PS2_iiiibPKi, .Lfunc_end33-_ZN4vllm4gptq33gemm_half_q_half_gptq_4bit_kernelILb1ELi5EEEvPK6__halfPKjS6_S4_PS2_iiiibPKi
                                        ; -- End function
	.set _ZN4vllm4gptq33gemm_half_q_half_gptq_4bit_kernelILb1ELi5EEEvPK6__halfPKjS6_S4_PS2_iiiibPKi.num_vgpr, 73
	.set _ZN4vllm4gptq33gemm_half_q_half_gptq_4bit_kernelILb1ELi5EEEvPK6__halfPKjS6_S4_PS2_iiiibPKi.num_agpr, 0
	.set _ZN4vllm4gptq33gemm_half_q_half_gptq_4bit_kernelILb1ELi5EEEvPK6__halfPKjS6_S4_PS2_iiiibPKi.numbered_sgpr, 23
	.set _ZN4vllm4gptq33gemm_half_q_half_gptq_4bit_kernelILb1ELi5EEEvPK6__halfPKjS6_S4_PS2_iiiibPKi.num_named_barrier, 0
	.set _ZN4vllm4gptq33gemm_half_q_half_gptq_4bit_kernelILb1ELi5EEEvPK6__halfPKjS6_S4_PS2_iiiibPKi.private_seg_size, 0
	.set _ZN4vllm4gptq33gemm_half_q_half_gptq_4bit_kernelILb1ELi5EEEvPK6__halfPKjS6_S4_PS2_iiiibPKi.uses_vcc, 1
	.set _ZN4vllm4gptq33gemm_half_q_half_gptq_4bit_kernelILb1ELi5EEEvPK6__halfPKjS6_S4_PS2_iiiibPKi.uses_flat_scratch, 0
	.set _ZN4vllm4gptq33gemm_half_q_half_gptq_4bit_kernelILb1ELi5EEEvPK6__halfPKjS6_S4_PS2_iiiibPKi.has_dyn_sized_stack, 0
	.set _ZN4vllm4gptq33gemm_half_q_half_gptq_4bit_kernelILb1ELi5EEEvPK6__halfPKjS6_S4_PS2_iiiibPKi.has_recursion, 0
	.set _ZN4vllm4gptq33gemm_half_q_half_gptq_4bit_kernelILb1ELi5EEEvPK6__halfPKjS6_S4_PS2_iiiibPKi.has_indirect_call, 0
	.section	.AMDGPU.csdata,"",@progbits
; Kernel info:
; codeLenInByte = 10508
; TotalNumSgprs: 25
; NumVgprs: 73
; ScratchSize: 0
; MemoryBound: 0
; FloatMode: 240
; IeeeMode: 1
; LDSByteSize: 1280 bytes/workgroup (compile time only)
; SGPRBlocks: 0
; VGPRBlocks: 4
; NumSGPRsForWavesPerEU: 25
; NumVGPRsForWavesPerEU: 73
; NamedBarCnt: 0
; Occupancy: 12
; WaveLimiterHint : 0
; COMPUTE_PGM_RSRC2:SCRATCH_EN: 0
; COMPUTE_PGM_RSRC2:USER_SGPR: 2
; COMPUTE_PGM_RSRC2:TRAP_HANDLER: 0
; COMPUTE_PGM_RSRC2:TGID_X_EN: 1
; COMPUTE_PGM_RSRC2:TGID_Y_EN: 1
; COMPUTE_PGM_RSRC2:TGID_Z_EN: 1
; COMPUTE_PGM_RSRC2:TIDIG_COMP_CNT: 0
	.section	.text._ZN4vllm4gptq33gemm_half_q_half_gptq_8bit_kernelILb1ELi5EEEvPK6__halfPKjS6_S4_PS2_iiiibPKi,"axG",@progbits,_ZN4vllm4gptq33gemm_half_q_half_gptq_8bit_kernelILb1ELi5EEEvPK6__halfPKjS6_S4_PS2_iiiibPKi,comdat
	.protected	_ZN4vllm4gptq33gemm_half_q_half_gptq_8bit_kernelILb1ELi5EEEvPK6__halfPKjS6_S4_PS2_iiiibPKi ; -- Begin function _ZN4vllm4gptq33gemm_half_q_half_gptq_8bit_kernelILb1ELi5EEEvPK6__halfPKjS6_S4_PS2_iiiibPKi
	.globl	_ZN4vllm4gptq33gemm_half_q_half_gptq_8bit_kernelILb1ELi5EEEvPK6__halfPKjS6_S4_PS2_iiiibPKi
	.p2align	8
	.type	_ZN4vllm4gptq33gemm_half_q_half_gptq_8bit_kernelILb1ELi5EEEvPK6__halfPKjS6_S4_PS2_iiiibPKi,@function
_ZN4vllm4gptq33gemm_half_q_half_gptq_8bit_kernelILb1ELi5EEEvPK6__halfPKjS6_S4_PS2_iiiibPKi: ; @_ZN4vllm4gptq33gemm_half_q_half_gptq_8bit_kernelILb1ELi5EEEvPK6__halfPKjS6_S4_PS2_iiiibPKi
; %bb.0:
	s_load_b128 s[4:7], s[0:1], 0x2c
	s_bfe_u32 s2, ttmp6, 0x40014
	s_lshr_b32 s3, ttmp7, 16
	s_add_co_i32 s2, s2, 1
	s_bfe_u32 s9, ttmp6, 0x40010
	s_mul_i32 s2, s3, s2
	s_bfe_u32 s8, ttmp6, 0x40008
	s_and_b32 s10, ttmp7, 0xffff
	s_add_co_i32 s9, s9, 1
	s_add_co_i32 s8, s8, s2
	s_mul_i32 s2, s10, s9
	s_bfe_u32 s9, ttmp6, 0x40004
	s_getreg_b32 s17, hwreg(HW_REG_IB_STS2, 6, 4)
	s_add_co_i32 s9, s9, s2
	s_cmp_eq_u32 s17, 0
	s_mov_b32 s12, exec_lo
	s_cselect_b32 s2, s3, s8
	s_cselect_b32 s14, s10, s9
	s_lshl_b32 s15, s2, 7
	s_mul_i32 s14, s14, 5
	s_add_co_i32 s2, s15, 0x80
	s_delay_alu instid0(SALU_CYCLE_1) | instskip(SKIP_3) | instid1(VALU_DEP_1)
	v_cvt_f64_u32_e32 v[2:3], s2
	s_load_b64 s[2:3], s[0:1], 0x10
	s_wait_kmcnt 0x0
	v_cvt_f64_i32_e32 v[4:5], s5
	v_min_num_f64_e32 v[2:3], v[2:3], v[4:5]
	s_delay_alu instid0(VALU_DEP_1) | instskip(SKIP_1) | instid1(VALU_DEP_2)
	v_cvt_i32_f64_e32 v1, v[2:3]
	v_add_nc_u32_e32 v2, s15, v0
	v_readfirstlane_b32 s16, v1
	s_delay_alu instid0(VALU_DEP_2)
	v_cmpx_lt_u32_e64 v2, v1
	s_cbranch_execz .LBB34_12
; %bb.1:
	s_clause 0x1
	s_load_b64 s[10:11], s[0:1], 0x40
	s_load_b64 s[8:9], s[0:1], 0x0
	v_mov_b32_e32 v3, 0
	s_delay_alu instid0(VALU_DEP_1)
	v_mov_b64_e32 v[6:7], v[2:3]
	s_wait_kmcnt 0x0
	v_lshl_add_u64 v[4:5], v[2:3], 2, s[10:11]
	s_cmp_lg_u64 s[10:11], 0
	s_cselect_b32 s13, -1, 0
	s_cmp_eq_u64 s[10:11], 0
	s_cbranch_scc1 .LBB34_3
; %bb.2:
	global_load_b32 v6, v[4:5], off
	s_wait_loadcnt 0x0
	v_ashrrev_i32_e32 v7, 31, v6
.LBB34_3:
	s_mul_i32 s10, s14, s5
	v_cndmask_b32_e64 v8, 0, 1, s13
	s_ashr_i32 s11, s10, 31
	v_lshlrev_b32_e32 v1, 1, v0
	s_lshl_b64 s[18:19], s[10:11], 1
	s_and_not1_b32 vcc_lo, exec_lo, s13
	s_add_nc_u64 s[18:19], s[8:9], s[18:19]
	s_delay_alu instid0(SALU_CYCLE_1)
	v_lshl_add_u64 v[6:7], v[6:7], 1, s[18:19]
	global_load_u16 v9, v[6:7], off
	s_wait_xcnt 0x0
	v_mov_b64_e32 v[6:7], v[2:3]
	s_wait_loadcnt 0x0
	ds_store_b16 v1, v9
	s_cbranch_vccnz .LBB34_5
; %bb.4:
	global_load_b32 v6, v[4:5], off
	s_wait_loadcnt 0x0
	v_ashrrev_i32_e32 v7, 31, v6
.LBB34_5:
	s_add_co_i32 s10, s10, s5
	v_cmp_ne_u32_e32 vcc_lo, 1, v8
	s_ashr_i32 s11, s10, 31
	s_delay_alu instid0(SALU_CYCLE_1) | instskip(SKIP_2) | instid1(SALU_CYCLE_1)
	s_lshl_b64 s[18:19], s[10:11], 1
	s_and_b32 vcc_lo, exec_lo, vcc_lo
	s_add_nc_u64 s[18:19], s[8:9], s[18:19]
	v_lshl_add_u64 v[6:7], v[6:7], 1, s[18:19]
	global_load_u16 v9, v[6:7], off
	s_wait_xcnt 0x0
	v_mov_b64_e32 v[6:7], v[2:3]
	s_wait_loadcnt 0x0
	ds_store_b16 v1, v9 offset:256
	s_cbranch_vccnz .LBB34_7
; %bb.6:
	global_load_b32 v6, v[4:5], off
	s_wait_loadcnt 0x0
	v_ashrrev_i32_e32 v7, 31, v6
.LBB34_7:
	s_add_co_i32 s10, s10, s5
	v_cmp_ne_u32_e32 vcc_lo, 1, v8
	s_ashr_i32 s11, s10, 31
	s_delay_alu instid0(SALU_CYCLE_1) | instskip(SKIP_2) | instid1(SALU_CYCLE_1)
	s_lshl_b64 s[18:19], s[10:11], 1
	s_and_b32 vcc_lo, exec_lo, vcc_lo
	s_add_nc_u64 s[18:19], s[8:9], s[18:19]
	v_lshl_add_u64 v[6:7], v[6:7], 1, s[18:19]
	global_load_u16 v9, v[6:7], off
	s_wait_xcnt 0x0
	v_mov_b64_e32 v[6:7], v[2:3]
	s_wait_loadcnt 0x0
	ds_store_b16 v1, v9 offset:512
	s_cbranch_vccnz .LBB34_9
; %bb.8:
	global_load_b32 v6, v[4:5], off
	s_wait_loadcnt 0x0
	v_ashrrev_i32_e32 v7, 31, v6
.LBB34_9:
	s_add_co_i32 s10, s10, s5
	v_cmp_ne_u32_e32 vcc_lo, 1, v8
	s_ashr_i32 s11, s10, 31
	s_delay_alu instid0(SALU_CYCLE_1) | instskip(SKIP_2) | instid1(SALU_CYCLE_1)
	s_lshl_b64 s[18:19], s[10:11], 1
	s_and_b32 vcc_lo, exec_lo, vcc_lo
	s_add_nc_u64 s[18:19], s[8:9], s[18:19]
	v_lshl_add_u64 v[6:7], v[6:7], 1, s[18:19]
	global_load_u16 v6, v[6:7], off
	s_wait_loadcnt 0x0
	ds_store_b16 v1, v6 offset:768
	s_cbranch_vccnz .LBB34_11
; %bb.10:
	global_load_b32 v2, v[4:5], off
	s_wait_loadcnt 0x0
	v_ashrrev_i32_e32 v3, 31, v2
.LBB34_11:
	s_add_co_i32 s10, s10, s5
	s_delay_alu instid0(SALU_CYCLE_1) | instskip(NEXT) | instid1(SALU_CYCLE_1)
	s_ashr_i32 s11, s10, 31
	s_lshl_b64 s[10:11], s[10:11], 1
	s_delay_alu instid0(SALU_CYCLE_1) | instskip(NEXT) | instid1(SALU_CYCLE_1)
	s_add_nc_u64 s[8:9], s[8:9], s[10:11]
	v_lshl_add_u64 v[2:3], v[2:3], 1, s[8:9]
	global_load_u16 v2, v[2:3], off
	s_wait_loadcnt 0x0
	ds_store_b16 v1, v2 offset:1024
.LBB34_12:
	s_or_b32 exec_lo, exec_lo, s12
	s_clause 0x1
	s_load_b64 s[12:13], s[0:1], 0x8
	s_load_b128 s[8:11], s[0:1], 0x18
	s_wait_xcnt 0x0
	s_bfe_u32 s0, ttmp6, 0x4000c
	s_and_b32 s1, ttmp6, 15
	s_add_co_i32 s0, s0, 1
	v_lshlrev_b32_e32 v0, 2, v0
	s_mul_i32 s0, ttmp9, s0
	s_delay_alu instid0(SALU_CYCLE_1)
	s_add_co_i32 s1, s1, s0
	s_cmp_eq_u32 s17, 0
	s_cselect_b32 s0, ttmp9, s1
	s_mov_b32 s1, 0
	v_lshl_add_u32 v16, s0, 9, v0
	s_mov_b32 s0, exec_lo
	s_delay_alu instid0(VALU_DEP_1)
	v_cmpx_gt_i32_e64 s4, v16
	s_cbranch_execz .LBB34_38
; %bb.13:
	s_abs_i32 s17, s6
	v_dual_mov_b32 v15, 0 :: v_dual_mov_b32 v14, 0
	s_cvt_f32_u32 s0, s17
	v_dual_mov_b32 v34, 0 :: v_dual_mov_b32 v22, 0
	v_dual_mov_b32 v58, 0 :: v_dual_mov_b32 v57, 0
	s_delay_alu instid0(SALU_CYCLE_1) | instskip(SKIP_4) | instid1(TRANS32_DEP_1)
	v_rcp_iflag_f32_e32 v0, s0
	v_dual_mov_b32 v60, 0 :: v_dual_mov_b32 v59, 0
	v_dual_mov_b32 v36, 0 :: v_dual_mov_b32 v23, 0
	s_cmp_ge_i32 s15, s16
	s_wait_dscnt 0x0
	v_readfirstlane_b32 s0, v0
	s_barrier_signal -1
	s_barrier_wait -1
	s_cbranch_scc1 .LBB34_18
; %bb.14:
	s_mul_f32 s0, s0, 0x4f7ffffe
	s_ashr_i32 s6, s6, 31
	v_dual_ashrrev_i32 v17, 31, v16 :: v_dual_mov_b32 v59, 0
	s_delay_alu instid0(SALU_CYCLE_1) | instskip(SKIP_2) | instid1(SALU_CYCLE_1)
	s_cvt_u32_f32 s18, s0
	s_sub_co_i32 s0, 0, s17
	v_dual_mov_b32 v60, 0 :: v_dual_mov_b32 v57, 0
	s_mul_i32 s19, s0, s18
	s_abs_i32 s0, s5
	s_mul_hi_u32 s20, s18, s19
	s_mov_b32 s19, s1
	s_add_co_i32 s18, s18, s20
	s_ashr_i32 s5, s5, 31
	s_mul_u64 s[18:19], s[0:1], s[18:19]
	s_xor_b32 s5, s5, s6
	s_mul_i32 s18, s19, s17
	s_add_co_i32 s6, s19, 1
	s_sub_co_i32 s0, s0, s18
	v_dual_mov_b32 v58, 0 :: v_dual_mov_b32 v22, 0
	s_sub_co_i32 s18, s0, s17
	s_cmp_ge_u32 s0, s17
	v_dual_mov_b32 v34, 0 :: v_dual_mov_b32 v14, 0
	s_cselect_b32 s6, s6, s19
	s_cselect_b32 s0, s18, s0
	s_add_co_i32 s18, s6, 1
	s_cmp_ge_u32 s0, s17
	v_mov_b32_e32 v36, 0
	s_cselect_b32 s0, s18, s6
	v_mov_b32_e32 v23, 0
	s_xor_b32 s0, s0, s5
	v_mov_b32_e32 v15, 0
	s_sub_co_i32 s0, s0, s5
	s_bitcmp1_b32 s7, 0
	s_cvt_f32_u32 s5, s0
	s_cselect_b32 s6, -1, 0
	s_sub_co_i32 s7, 0, s0
	s_xor_b32 s18, s6, -1
	v_rcp_iflag_f32_e32 v0, s5
	v_cndmask_b32_e64 v25, 0, 1, s18
	s_delay_alu instid0(TRANS32_DEP_1) | instskip(SKIP_1) | instid1(SALU_CYCLE_3)
	v_readfirstlane_b32 s5, v0
	s_mul_f32 s5, s5, 0x4f7ffffe
	s_cvt_u32_f32 s5, s5
	s_delay_alu instid0(SALU_CYCLE_3) | instskip(NEXT) | instid1(SALU_CYCLE_1)
	s_mul_i32 s7, s7, s5
	s_mul_hi_u32 s7, s5, s7
	s_delay_alu instid0(SALU_CYCLE_1) | instskip(NEXT) | instid1(SALU_CYCLE_1)
	s_add_co_i32 s5, s5, s7
	s_mul_hi_u32 s5, s15, s5
	s_delay_alu instid0(SALU_CYCLE_1) | instskip(NEXT) | instid1(SALU_CYCLE_1)
	s_mul_i32 s7, s5, s0
	s_sub_co_i32 s6, s15, s7
	s_add_co_i32 s7, s5, 1
	s_sub_co_i32 s17, s6, s0
	s_cmp_ge_u32 s6, s0
	s_cselect_b32 s5, s7, s5
	s_cselect_b32 s6, s17, s6
	s_add_co_i32 s7, s5, 1
	s_cmp_ge_u32 s6, s0
	s_cselect_b32 s17, s7, s5
	s_add_co_i32 s18, s0, s15
	s_mul_i32 s5, s17, s4
	s_delay_alu instid0(SALU_CYCLE_1) | instskip(SKIP_1) | instid1(SALU_CYCLE_1)
	v_dual_ashrrev_i32 v24, 2, v16 :: v_dual_add_nc_u32 v0, s5, v16
	s_ashr_i32 s6, s5, 31
	s_lshr_b32 s6, s6, 30
	s_delay_alu instid0(SALU_CYCLE_1) | instskip(NEXT) | instid1(VALU_DEP_1)
	s_add_co_i32 s6, s5, s6
	v_ashrrev_i32_e32 v1, 31, v0
	s_ashr_i32 s6, s6, 2
	s_lshr_b32 s5, s15, 2
	v_add_nc_u32_e32 v2, s6, v24
	s_mul_i32 s6, s4, s5
	s_wait_kmcnt 0x0
	v_lshl_add_u64 v[0:1], v[0:1], 1, s[8:9]
	s_ashr_i32 s7, s6, 31
	s_ashr_i32 s5, s4, 31
	global_load_b32 v2, v2, s[2:3] scale_offset
	s_lshl_b64 s[6:7], s[6:7], 2
	global_load_b64 v[18:19], v[0:1], off
	s_add_nc_u64 s[6:7], s[12:13], s[6:7]
	s_lshl_b64 s[12:13], s[4:5], 2
	v_lshl_add_u64 v[20:21], v[16:17], 2, s[6:7]
	s_lshl_b64 s[6:7], s[4:5], 5
	s_wait_loadcnt 0x1
	v_and_b32_e32 v17, 0xff, v2
	v_bfe_u32 v26, v2, 8, 8
	v_bfe_u32 v27, v2, 16, 8
	v_lshrrev_b32_e32 v28, 24, v2
	s_branch .LBB34_16
.LBB34_15:                              ;   in Loop: Header=BB34_16 Depth=1
	global_load_b128 v[0:3], v[20:21], off
	v_add_nc_u64_e32 v[12:13], s[12:13], v[20:21]
	v_dual_add_nc_u32 v33, v17, v25 :: v_dual_add_nc_u32 v32, v26, v25
	v_dual_add_nc_u32 v31, v27, v25 :: v_dual_add_nc_u32 v30, v28, v25
	s_add_co_i32 s15, s15, 32
	v_mov_b32_e32 v29, s1
	global_load_b128 v[4:7], v[12:13], off
	s_wait_xcnt 0x0
	v_add_nc_u64_e32 v[12:13], s[12:13], v[12:13]
	v_add_nc_u64_e32 v[20:21], s[6:7], v[20:21]
	s_add_co_i32 s1, s1, 64
	s_cmp_ge_i32 s15, s16
	s_wait_loadcnt 0x1
	v_and_b32_e32 v8, 0xff, v0
	s_delay_alu instid0(VALU_DEP_1) | instskip(NEXT) | instid1(VALU_DEP_1)
	v_sub_nc_u32_e32 v8, v8, v33
	v_cvt_f32_i32_e32 v8, v8
	s_delay_alu instid0(VALU_DEP_1) | instskip(SKIP_1) | instid1(VALU_DEP_1)
	v_cvt_f16_f32_e32 v35, v8
	v_bfe_u32 v8, v0, 8, 8
	v_sub_nc_u32_e32 v8, v8, v33
	s_delay_alu instid0(VALU_DEP_1) | instskip(NEXT) | instid1(VALU_DEP_1)
	v_cvt_f32_i32_e32 v8, v8
	v_cvt_f16_f32_e32 v37, v8
	v_bfe_u32 v8, v0, 16, 8
	s_delay_alu instid0(VALU_DEP_1) | instskip(NEXT) | instid1(VALU_DEP_1)
	v_dual_lshrrev_b32 v0, 24, v0 :: v_dual_sub_nc_u32 v8, v8, v33
	v_sub_nc_u32_e32 v0, v0, v33
	s_delay_alu instid0(VALU_DEP_1) | instskip(NEXT) | instid1(VALU_DEP_1)
	v_cvt_f32_i32_e32 v0, v0
	v_cvt_f16_f32_e32 v47, v0
	s_wait_loadcnt 0x0
	v_and_b32_e32 v0, 0xff, v4
	s_delay_alu instid0(VALU_DEP_1) | instskip(NEXT) | instid1(VALU_DEP_1)
	v_sub_nc_u32_e32 v0, v0, v33
	v_cvt_f32_i32_e32 v0, v0
	s_delay_alu instid0(VALU_DEP_1) | instskip(SKIP_1) | instid1(VALU_DEP_1)
	v_cvt_f16_f32_e32 v48, v0
	v_bfe_u32 v0, v4, 8, 8
	v_sub_nc_u32_e32 v0, v0, v33
	s_delay_alu instid0(VALU_DEP_1) | instskip(NEXT) | instid1(VALU_DEP_1)
	v_cvt_f32_i32_e32 v0, v0
	v_cvt_f16_f32_e32 v49, v0
	v_bfe_u32 v0, v4, 16, 8
	s_delay_alu instid0(VALU_DEP_1) | instskip(NEXT) | instid1(VALU_DEP_1)
	v_sub_nc_u32_e32 v0, v0, v33
	v_cvt_f32_i32_e32 v0, v0
	s_delay_alu instid0(VALU_DEP_1) | instskip(SKIP_1) | instid1(VALU_DEP_1)
	v_cvt_f16_f32_e32 v50, v0
	v_lshrrev_b32_e32 v0, 24, v4
	v_sub_nc_u32_e32 v0, v0, v33
	s_delay_alu instid0(VALU_DEP_1) | instskip(NEXT) | instid1(VALU_DEP_1)
	v_cvt_f32_i32_e32 v0, v0
	v_cvt_f16_f32_e32 v51, v0
	v_and_b32_e32 v0, 0xff, v1
	s_delay_alu instid0(VALU_DEP_1) | instskip(NEXT) | instid1(VALU_DEP_1)
	v_sub_nc_u32_e32 v0, v0, v32
	v_cvt_f32_i32_e32 v0, v0
	s_delay_alu instid0(VALU_DEP_1) | instskip(SKIP_1) | instid1(VALU_DEP_1)
	v_cvt_f16_f32_e32 v52, v0
	v_bfe_u32 v0, v1, 8, 8
	v_sub_nc_u32_e32 v0, v0, v32
	s_delay_alu instid0(VALU_DEP_1) | instskip(NEXT) | instid1(VALU_DEP_1)
	v_cvt_f32_i32_e32 v0, v0
	v_cvt_f16_f32_e32 v53, v0
	v_bfe_u32 v0, v1, 16, 8
	s_delay_alu instid0(VALU_DEP_1) | instskip(NEXT) | instid1(VALU_DEP_1)
	v_sub_nc_u32_e32 v0, v0, v32
	v_cvt_f32_i32_e32 v0, v0
	s_delay_alu instid0(VALU_DEP_1) | instskip(SKIP_1) | instid1(VALU_DEP_1)
	v_cvt_f16_f32_e32 v54, v0
	v_lshrrev_b32_e32 v0, 24, v1
	v_sub_nc_u32_e32 v0, v0, v32
	s_delay_alu instid0(VALU_DEP_1) | instskip(NEXT) | instid1(VALU_DEP_1)
	v_cvt_f32_i32_e32 v0, v0
	v_cvt_f16_f32_e32 v55, v0
	;; [unrolled: 22-line block ×3, first 2 shown]
	v_and_b32_e32 v0, 0xff, v2
	s_delay_alu instid0(VALU_DEP_1) | instskip(NEXT) | instid1(VALU_DEP_1)
	v_sub_nc_u32_e32 v0, v0, v31
	v_cvt_f32_i32_e32 v0, v0
	s_delay_alu instid0(VALU_DEP_1) | instskip(SKIP_1) | instid1(VALU_DEP_1)
	v_cvt_f16_f32_e32 v64, v0
	v_bfe_u32 v0, v2, 8, 8
	v_sub_nc_u32_e32 v0, v0, v31
	s_delay_alu instid0(VALU_DEP_1) | instskip(NEXT) | instid1(VALU_DEP_1)
	v_cvt_f32_i32_e32 v0, v0
	v_cvt_f16_f32_e32 v65, v0
	v_bfe_u32 v0, v2, 16, 8
	s_delay_alu instid0(VALU_DEP_1) | instskip(NEXT) | instid1(VALU_DEP_1)
	v_sub_nc_u32_e32 v0, v0, v31
	v_cvt_f32_i32_e32 v0, v0
	s_delay_alu instid0(VALU_DEP_1) | instskip(SKIP_2) | instid1(VALU_DEP_2)
	v_cvt_f16_f32_e32 v66, v0
	v_lshrrev_b32_e32 v0, 24, v2
	v_cvt_f32_i32_e32 v8, v8
	v_sub_nc_u32_e32 v0, v0, v31
	s_delay_alu instid0(VALU_DEP_2) | instskip(NEXT) | instid1(VALU_DEP_2)
	v_cvt_f16_f32_e32 v46, v8
	v_cvt_f32_i32_e32 v0, v0
	s_delay_alu instid0(VALU_DEP_1) | instskip(SKIP_1) | instid1(VALU_DEP_1)
	v_cvt_f16_f32_e32 v67, v0
	v_and_b32_e32 v0, 0xff, v6
	v_sub_nc_u32_e32 v0, v0, v31
	s_delay_alu instid0(VALU_DEP_1) | instskip(NEXT) | instid1(VALU_DEP_1)
	v_cvt_f32_i32_e32 v0, v0
	v_cvt_f16_f32_e32 v68, v0
	v_bfe_u32 v0, v6, 8, 8
	s_delay_alu instid0(VALU_DEP_1) | instskip(NEXT) | instid1(VALU_DEP_1)
	v_sub_nc_u32_e32 v0, v0, v31
	v_cvt_f32_i32_e32 v0, v0
	s_delay_alu instid0(VALU_DEP_1) | instskip(SKIP_1) | instid1(VALU_DEP_1)
	v_cvt_f16_f32_e32 v69, v0
	v_bfe_u32 v0, v6, 16, 8
	v_sub_nc_u32_e32 v0, v0, v31
	s_delay_alu instid0(VALU_DEP_1) | instskip(NEXT) | instid1(VALU_DEP_1)
	v_cvt_f32_i32_e32 v0, v0
	v_cvt_f16_f32_e32 v70, v0
	v_lshrrev_b32_e32 v0, 24, v6
	s_delay_alu instid0(VALU_DEP_1) | instskip(NEXT) | instid1(VALU_DEP_1)
	v_sub_nc_u32_e32 v0, v0, v31
	v_cvt_f32_i32_e32 v0, v0
	s_delay_alu instid0(VALU_DEP_1) | instskip(SKIP_1) | instid1(VALU_DEP_1)
	v_cvt_f16_f32_e32 v71, v0
	v_and_b32_e32 v0, 0xff, v3
	v_sub_nc_u32_e32 v0, v0, v30
	s_delay_alu instid0(VALU_DEP_1) | instskip(NEXT) | instid1(VALU_DEP_1)
	v_cvt_f32_i32_e32 v0, v0
	v_cvt_f16_f32_e32 v72, v0
	v_bfe_u32 v0, v3, 8, 8
	s_delay_alu instid0(VALU_DEP_1) | instskip(NEXT) | instid1(VALU_DEP_1)
	v_sub_nc_u32_e32 v0, v0, v30
	v_cvt_f32_i32_e32 v0, v0
	s_delay_alu instid0(VALU_DEP_1) | instskip(SKIP_1) | instid1(VALU_DEP_1)
	v_cvt_f16_f32_e32 v73, v0
	v_bfe_u32 v0, v3, 16, 8
	v_sub_nc_u32_e32 v0, v0, v30
	s_delay_alu instid0(VALU_DEP_1) | instskip(NEXT) | instid1(VALU_DEP_1)
	v_cvt_f32_i32_e32 v0, v0
	v_cvt_f16_f32_e32 v74, v0
	v_lshrrev_b32_e32 v0, 24, v3
	s_delay_alu instid0(VALU_DEP_1) | instskip(NEXT) | instid1(VALU_DEP_1)
	v_sub_nc_u32_e32 v0, v0, v30
	;; [unrolled: 22-line block ×3, first 2 shown]
	v_cvt_f32_i32_e32 v0, v0
	s_delay_alu instid0(VALU_DEP_1)
	v_cvt_f16_f32_e32 v83, v0
	ds_load_b128 v[38:41], v29
	ds_load_b128 v[8:11], v29 offset:16
	ds_load_b128 v[4:7], v29 offset:32
	ds_load_b128 v[0:3], v29 offset:48
	ds_load_b128 v[88:91], v29 offset:768
	ds_load_b128 v[78:81], v29 offset:512
	s_wait_dscnt 0x5
	v_fma_mix_f32 v42, v35, v38, 0 op_sel_hi:[1,1,0]
	s_delay_alu instid0(VALU_DEP_1) | instskip(NEXT) | instid1(VALU_DEP_1)
	v_fma_mix_f32 v42, v37, v38, v42 op_sel:[0,1,0] op_sel_hi:[1,1,0]
	v_fma_mix_f32 v42, v46, v39, v42 op_sel_hi:[1,1,0]
	s_delay_alu instid0(VALU_DEP_1) | instskip(NEXT) | instid1(VALU_DEP_1)
	v_fma_mix_f32 v42, v47, v39, v42 op_sel:[0,1,0] op_sel_hi:[1,1,0]
	;; [unrolled: 3-line block ×4, first 2 shown]
	v_fma_mixlo_f16 v42, v42, v18, 0 op_sel_hi:[0,1,0]
	s_delay_alu instid0(VALU_DEP_1) | instskip(SKIP_2) | instid1(VALU_DEP_2)
	v_add_f16_e32 v84, v15, v42
	v_fma_mix_f32 v42, v52, v38, 0 op_sel_hi:[1,1,0]
	v_lshrrev_b32_e32 v15, 16, v15
	v_fma_mix_f32 v42, v53, v38, v42 op_sel:[0,1,0] op_sel_hi:[1,1,0]
	s_delay_alu instid0(VALU_DEP_1) | instskip(NEXT) | instid1(VALU_DEP_1)
	v_fma_mix_f32 v42, v54, v39, v42 op_sel_hi:[1,1,0]
	v_fma_mix_f32 v42, v55, v39, v42 op_sel:[0,1,0] op_sel_hi:[1,1,0]
	s_delay_alu instid0(VALU_DEP_1) | instskip(NEXT) | instid1(VALU_DEP_1)
	v_fma_mix_f32 v42, v56, v40, v42 op_sel_hi:[1,1,0]
	;; [unrolled: 3-line block ×3, first 2 shown]
	v_fma_mix_f32 v42, v63, v41, v42 op_sel:[0,1,0] op_sel_hi:[1,1,0]
	s_delay_alu instid0(VALU_DEP_1) | instskip(NEXT) | instid1(VALU_DEP_1)
	v_fma_mixlo_f16 v42, v42, v18, 0 op_sel:[0,1,0] op_sel_hi:[0,1,0]
	v_add_f16_e32 v85, v15, v42
	v_fma_mix_f32 v15, v64, v38, 0 op_sel_hi:[1,1,0]
	ds_load_b128 v[42:45], v29 offset:256
	v_fma_mix_f32 v15, v65, v38, v15 op_sel:[0,1,0] op_sel_hi:[1,1,0]
	s_delay_alu instid0(VALU_DEP_1) | instskip(NEXT) | instid1(VALU_DEP_1)
	v_fma_mix_f32 v15, v66, v39, v15 op_sel_hi:[1,1,0]
	v_fma_mix_f32 v15, v67, v39, v15 op_sel:[0,1,0] op_sel_hi:[1,1,0]
	s_delay_alu instid0(VALU_DEP_1) | instskip(NEXT) | instid1(VALU_DEP_1)
	v_fma_mix_f32 v15, v68, v40, v15 op_sel_hi:[1,1,0]
	;; [unrolled: 3-line block ×3, first 2 shown]
	v_fma_mix_f32 v15, v71, v41, v15 op_sel:[0,1,0] op_sel_hi:[1,1,0]
	s_delay_alu instid0(VALU_DEP_1) | instskip(NEXT) | instid1(VALU_DEP_1)
	v_fma_mixlo_f16 v15, v15, v19, 0 op_sel_hi:[0,1,0]
	v_add_f16_e32 v86, v14, v15
	v_fma_mix_f32 v15, v72, v38, 0 op_sel_hi:[1,1,0]
	v_lshrrev_b32_e32 v14, 16, v14
	s_delay_alu instid0(VALU_DEP_2) | instskip(NEXT) | instid1(VALU_DEP_1)
	v_fma_mix_f32 v15, v73, v38, v15 op_sel:[0,1,0] op_sel_hi:[1,1,0]
	v_fma_mix_f32 v15, v74, v39, v15 op_sel_hi:[1,1,0]
	s_delay_alu instid0(VALU_DEP_1) | instskip(NEXT) | instid1(VALU_DEP_1)
	v_fma_mix_f32 v15, v75, v39, v15 op_sel:[0,1,0] op_sel_hi:[1,1,0]
	v_fma_mix_f32 v15, v76, v40, v15 op_sel_hi:[1,1,0]
	s_delay_alu instid0(VALU_DEP_1) | instskip(NEXT) | instid1(VALU_DEP_1)
	;; [unrolled: 3-line block ×3, first 2 shown]
	v_fma_mix_f32 v15, v83, v41, v15 op_sel:[0,1,0] op_sel_hi:[1,1,0]
	v_fma_mixlo_f16 v15, v15, v19, 0 op_sel:[0,1,0] op_sel_hi:[0,1,0]
	s_delay_alu instid0(VALU_DEP_1) | instskip(SKIP_3) | instid1(VALU_DEP_2)
	v_add_f16_e32 v87, v14, v15
	s_wait_dscnt 0x0
	v_fma_mix_f32 v14, v35, v42, 0 op_sel_hi:[1,1,0]
	v_fma_mix_f32 v15, v52, v42, 0 op_sel_hi:[1,1,0]
	v_fma_mix_f32 v14, v37, v42, v14 op_sel:[0,1,0] op_sel_hi:[1,1,0]
	s_delay_alu instid0(VALU_DEP_2) | instskip(NEXT) | instid1(VALU_DEP_2)
	v_fma_mix_f32 v15, v53, v42, v15 op_sel:[0,1,0] op_sel_hi:[1,1,0]
	v_fma_mix_f32 v14, v46, v43, v14 op_sel_hi:[1,1,0]
	s_delay_alu instid0(VALU_DEP_2) | instskip(NEXT) | instid1(VALU_DEP_2)
	v_fma_mix_f32 v15, v54, v43, v15 op_sel_hi:[1,1,0]
	v_fma_mix_f32 v14, v47, v43, v14 op_sel:[0,1,0] op_sel_hi:[1,1,0]
	s_delay_alu instid0(VALU_DEP_2) | instskip(NEXT) | instid1(VALU_DEP_2)
	v_fma_mix_f32 v15, v55, v43, v15 op_sel:[0,1,0] op_sel_hi:[1,1,0]
	v_fma_mix_f32 v14, v48, v44, v14 op_sel_hi:[1,1,0]
	s_delay_alu instid0(VALU_DEP_2) | instskip(NEXT) | instid1(VALU_DEP_2)
	v_fma_mix_f32 v15, v56, v44, v15 op_sel_hi:[1,1,0]
	v_fma_mix_f32 v14, v49, v44, v14 op_sel:[0,1,0] op_sel_hi:[1,1,0]
	s_delay_alu instid0(VALU_DEP_2) | instskip(NEXT) | instid1(VALU_DEP_2)
	v_fma_mix_f32 v15, v61, v44, v15 op_sel:[0,1,0] op_sel_hi:[1,1,0]
	v_fma_mix_f32 v14, v50, v45, v14 op_sel_hi:[1,1,0]
	s_delay_alu instid0(VALU_DEP_2) | instskip(NEXT) | instid1(VALU_DEP_2)
	v_fma_mix_f32 v15, v62, v45, v15 op_sel_hi:[1,1,0]
	v_fma_mix_f32 v14, v51, v45, v14 op_sel:[0,1,0] op_sel_hi:[1,1,0]
	s_delay_alu instid0(VALU_DEP_2) | instskip(NEXT) | instid1(VALU_DEP_2)
	v_fma_mix_f32 v15, v63, v45, v15 op_sel:[0,1,0] op_sel_hi:[1,1,0]
	v_fma_mixlo_f16 v14, v14, v18, 0 op_sel_hi:[0,1,0]
	s_delay_alu instid0(VALU_DEP_2) | instskip(NEXT) | instid1(VALU_DEP_2)
	v_fma_mixlo_f16 v15, v15, v18, 0 op_sel:[0,1,0] op_sel_hi:[0,1,0]
	v_add_f16_e32 v38, v34, v14
	v_lshrrev_b32_e32 v14, 16, v34
	s_delay_alu instid0(VALU_DEP_1) | instskip(SKIP_2) | instid1(VALU_DEP_2)
	v_add_f16_e32 v39, v14, v15
	v_fma_mix_f32 v14, v64, v42, 0 op_sel_hi:[1,1,0]
	v_fma_mix_f32 v15, v72, v42, 0 op_sel_hi:[1,1,0]
	v_fma_mix_f32 v14, v65, v42, v14 op_sel:[0,1,0] op_sel_hi:[1,1,0]
	s_delay_alu instid0(VALU_DEP_2) | instskip(NEXT) | instid1(VALU_DEP_2)
	v_fma_mix_f32 v15, v73, v42, v15 op_sel:[0,1,0] op_sel_hi:[1,1,0]
	v_fma_mix_f32 v14, v66, v43, v14 op_sel_hi:[1,1,0]
	s_delay_alu instid0(VALU_DEP_2) | instskip(NEXT) | instid1(VALU_DEP_2)
	v_fma_mix_f32 v15, v74, v43, v15 op_sel_hi:[1,1,0]
	v_fma_mix_f32 v14, v67, v43, v14 op_sel:[0,1,0] op_sel_hi:[1,1,0]
	s_delay_alu instid0(VALU_DEP_2) | instskip(NEXT) | instid1(VALU_DEP_2)
	v_fma_mix_f32 v15, v75, v43, v15 op_sel:[0,1,0] op_sel_hi:[1,1,0]
	v_fma_mix_f32 v14, v68, v44, v14 op_sel_hi:[1,1,0]
	s_delay_alu instid0(VALU_DEP_2) | instskip(NEXT) | instid1(VALU_DEP_2)
	v_fma_mix_f32 v15, v76, v44, v15 op_sel_hi:[1,1,0]
	v_fma_mix_f32 v14, v69, v44, v14 op_sel:[0,1,0] op_sel_hi:[1,1,0]
	s_delay_alu instid0(VALU_DEP_2) | instskip(NEXT) | instid1(VALU_DEP_2)
	v_fma_mix_f32 v15, v77, v44, v15 op_sel:[0,1,0] op_sel_hi:[1,1,0]
	v_fma_mix_f32 v14, v70, v45, v14 op_sel_hi:[1,1,0]
	s_delay_alu instid0(VALU_DEP_2) | instskip(NEXT) | instid1(VALU_DEP_2)
	v_fma_mix_f32 v15, v82, v45, v15 op_sel_hi:[1,1,0]
	v_fma_mix_f32 v14, v71, v45, v14 op_sel:[0,1,0] op_sel_hi:[1,1,0]
	s_delay_alu instid0(VALU_DEP_2) | instskip(NEXT) | instid1(VALU_DEP_2)
	v_fma_mix_f32 v15, v83, v45, v15 op_sel:[0,1,0] op_sel_hi:[1,1,0]
	v_fma_mixlo_f16 v14, v14, v19, 0 op_sel_hi:[0,1,0]
	s_delay_alu instid0(VALU_DEP_2) | instskip(NEXT) | instid1(VALU_DEP_2)
	v_fma_mixlo_f16 v15, v15, v19, 0 op_sel:[0,1,0] op_sel_hi:[0,1,0]
	v_add_f16_e32 v40, v22, v14
	v_lshrrev_b32_e32 v14, 16, v22
	s_delay_alu instid0(VALU_DEP_1) | instskip(SKIP_2) | instid1(VALU_DEP_2)
	v_add_f16_e32 v41, v14, v15
	;; [unrolled: 30-line block ×5, first 2 shown]
	v_fma_mix_f32 v14, v64, v88, 0 op_sel_hi:[1,1,0]
	v_fma_mix_f32 v15, v72, v88, 0 op_sel_hi:[1,1,0]
	v_fma_mix_f32 v14, v65, v88, v14 op_sel:[0,1,0] op_sel_hi:[1,1,0]
	s_delay_alu instid0(VALU_DEP_2) | instskip(NEXT) | instid1(VALU_DEP_2)
	v_fma_mix_f32 v15, v73, v88, v15 op_sel:[0,1,0] op_sel_hi:[1,1,0]
	v_fma_mix_f32 v14, v66, v89, v14 op_sel_hi:[1,1,0]
	s_delay_alu instid0(VALU_DEP_2) | instskip(NEXT) | instid1(VALU_DEP_2)
	v_fma_mix_f32 v15, v74, v89, v15 op_sel_hi:[1,1,0]
	v_fma_mix_f32 v14, v67, v89, v14 op_sel:[0,1,0] op_sel_hi:[1,1,0]
	s_delay_alu instid0(VALU_DEP_2) | instskip(NEXT) | instid1(VALU_DEP_2)
	v_fma_mix_f32 v15, v75, v89, v15 op_sel:[0,1,0] op_sel_hi:[1,1,0]
	v_fma_mix_f32 v14, v68, v90, v14 op_sel_hi:[1,1,0]
	s_delay_alu instid0(VALU_DEP_2) | instskip(NEXT) | instid1(VALU_DEP_2)
	;; [unrolled: 6-line block ×3, first 2 shown]
	v_fma_mix_f32 v15, v82, v91, v15 op_sel_hi:[1,1,0]
	v_fma_mix_f32 v14, v71, v91, v14 op_sel:[0,1,0] op_sel_hi:[1,1,0]
	s_delay_alu instid0(VALU_DEP_2) | instskip(SKIP_3) | instid1(VALU_DEP_2)
	v_fma_mix_f32 v15, v83, v91, v15 op_sel:[0,1,0] op_sel_hi:[1,1,0]
	ds_load_b128 v[88:91], v29 offset:1024
	v_fma_mixlo_f16 v14, v14, v19, 0 op_sel_hi:[0,1,0]
	v_fma_mixlo_f16 v15, v15, v19, 0 op_sel:[0,1,0] op_sel_hi:[0,1,0]
	v_add_f16_e32 v80, v59, v14
	v_lshrrev_b32_e32 v14, 16, v59
	s_delay_alu instid0(VALU_DEP_1)
	v_add_f16_e32 v81, v14, v15
	v_lshrrev_b32_e32 v15, 16, v36
	s_wait_dscnt 0x0
	v_fma_mix_f32 v22, v52, v88, 0 op_sel_hi:[1,1,0]
	v_fma_mix_f32 v14, v35, v88, 0 op_sel_hi:[1,1,0]
	;; [unrolled: 1-line block ×3, first 2 shown]
	s_delay_alu instid0(VALU_DEP_3) | instskip(NEXT) | instid1(VALU_DEP_3)
	v_fma_mix_f32 v22, v53, v88, v22 op_sel:[0,1,0] op_sel_hi:[1,1,0]
	v_fma_mix_f32 v14, v37, v88, v14 op_sel:[0,1,0] op_sel_hi:[1,1,0]
	s_delay_alu instid0(VALU_DEP_3) | instskip(NEXT) | instid1(VALU_DEP_3)
	v_fma_mix_f32 v34, v73, v88, v34 op_sel:[0,1,0] op_sel_hi:[1,1,0]
	v_fma_mix_f32 v22, v54, v89, v22 op_sel_hi:[1,1,0]
	s_delay_alu instid0(VALU_DEP_3) | instskip(NEXT) | instid1(VALU_DEP_3)
	v_fma_mix_f32 v14, v46, v89, v14 op_sel_hi:[1,1,0]
	v_fma_mix_f32 v34, v74, v89, v34 op_sel_hi:[1,1,0]
	s_delay_alu instid0(VALU_DEP_3) | instskip(NEXT) | instid1(VALU_DEP_3)
	v_fma_mix_f32 v22, v55, v89, v22 op_sel:[0,1,0] op_sel_hi:[1,1,0]
	v_fma_mix_f32 v14, v47, v89, v14 op_sel:[0,1,0] op_sel_hi:[1,1,0]
	s_delay_alu instid0(VALU_DEP_3) | instskip(NEXT) | instid1(VALU_DEP_3)
	v_fma_mix_f32 v34, v75, v89, v34 op_sel:[0,1,0] op_sel_hi:[1,1,0]
	v_fma_mix_f32 v22, v56, v90, v22 op_sel_hi:[1,1,0]
	s_delay_alu instid0(VALU_DEP_3) | instskip(NEXT) | instid1(VALU_DEP_3)
	v_fma_mix_f32 v14, v48, v90, v14 op_sel_hi:[1,1,0]
	v_fma_mix_f32 v34, v76, v90, v34 op_sel_hi:[1,1,0]
	;; [unrolled: 9-line block ×3, first 2 shown]
	s_delay_alu instid0(VALU_DEP_3) | instskip(NEXT) | instid1(VALU_DEP_3)
	v_fma_mix_f32 v22, v63, v91, v22 op_sel:[0,1,0] op_sel_hi:[1,1,0]
	v_fma_mix_f32 v14, v51, v91, v14 op_sel:[0,1,0] op_sel_hi:[1,1,0]
	s_delay_alu instid0(VALU_DEP_3) | instskip(NEXT) | instid1(VALU_DEP_3)
	v_fma_mix_f32 v34, v83, v91, v34 op_sel:[0,1,0] op_sel_hi:[1,1,0]
	v_fma_mixlo_f16 v22, v22, v18, 0 op_sel:[0,1,0] op_sel_hi:[0,1,0]
	s_delay_alu instid0(VALU_DEP_3) | instskip(NEXT) | instid1(VALU_DEP_3)
	v_fma_mixlo_f16 v14, v14, v18, 0 op_sel_hi:[0,1,0]
	v_fma_mixlo_f16 v34, v34, v19, 0 op_sel:[0,1,0] op_sel_hi:[0,1,0]
	s_delay_alu instid0(VALU_DEP_3) | instskip(SKIP_1) | instid1(VALU_DEP_4)
	v_add_f16_e32 v15, v15, v22
	v_fma_mix_f32 v22, v64, v88, 0 op_sel_hi:[1,1,0]
	v_add_f16_e32 v14, v36, v14
	s_delay_alu instid0(VALU_DEP_2) | instskip(NEXT) | instid1(VALU_DEP_1)
	v_fma_mix_f32 v22, v65, v88, v22 op_sel:[0,1,0] op_sel_hi:[1,1,0]
	v_fma_mix_f32 v22, v66, v89, v22 op_sel_hi:[1,1,0]
	s_delay_alu instid0(VALU_DEP_1) | instskip(NEXT) | instid1(VALU_DEP_1)
	v_fma_mix_f32 v22, v67, v89, v22 op_sel:[0,1,0] op_sel_hi:[1,1,0]
	v_fma_mix_f32 v22, v68, v90, v22 op_sel_hi:[1,1,0]
	s_delay_alu instid0(VALU_DEP_1) | instskip(NEXT) | instid1(VALU_DEP_1)
	v_fma_mix_f32 v22, v69, v90, v22 op_sel:[0,1,0] op_sel_hi:[1,1,0]
	v_fma_mix_f32 v22, v70, v91, v22 op_sel_hi:[1,1,0]
	s_delay_alu instid0(VALU_DEP_1) | instskip(NEXT) | instid1(VALU_DEP_1)
	v_fma_mix_f32 v22, v71, v91, v22 op_sel:[0,1,0] op_sel_hi:[1,1,0]
	v_fma_mixlo_f16 v22, v22, v19, 0 op_sel_hi:[0,1,0]
	s_delay_alu instid0(VALU_DEP_1) | instskip(SKIP_1) | instid1(VALU_DEP_1)
	v_add_f16_e32 v22, v23, v22
	v_lshrrev_b32_e32 v23, 16, v23
	v_add_f16_e32 v23, v23, v34
	global_load_b128 v[34:37], v[12:13], off
	s_wait_xcnt 0x0
	v_add_nc_u64_e32 v[12:13], s[12:13], v[12:13]
	global_load_b128 v[74:77], v[12:13], off
	s_wait_loadcnt 0x1
	v_and_b32_e32 v46, 0xff, v34
	v_bfe_u32 v47, v34, 8, 8
	v_bfe_u32 v48, v34, 16, 8
	s_delay_alu instid0(VALU_DEP_3) | instskip(NEXT) | instid1(VALU_DEP_2)
	v_dual_lshrrev_b32 v34, 24, v34 :: v_dual_sub_nc_u32 v46, v46, v33
	v_dual_sub_nc_u32 v47, v47, v33 :: v_dual_sub_nc_u32 v48, v48, v33
	s_delay_alu instid0(VALU_DEP_2) | instskip(NEXT) | instid1(VALU_DEP_3)
	v_sub_nc_u32_e32 v34, v34, v33
	v_cvt_f32_i32_e32 v46, v46
	s_delay_alu instid0(VALU_DEP_3) | instskip(NEXT) | instid1(VALU_DEP_4)
	v_cvt_f32_i32_e32 v47, v47
	v_cvt_f32_i32_e32 v48, v48
	s_delay_alu instid0(VALU_DEP_4) | instskip(NEXT) | instid1(VALU_DEP_4)
	v_cvt_f32_i32_e32 v34, v34
	v_cvt_f16_f32_e32 v46, v46
	s_delay_alu instid0(VALU_DEP_4) | instskip(NEXT) | instid1(VALU_DEP_4)
	v_cvt_f16_f32_e32 v47, v47
	v_cvt_f16_f32_e32 v48, v48
	s_delay_alu instid0(VALU_DEP_4) | instskip(SKIP_2) | instid1(VALU_DEP_1)
	v_cvt_f16_f32_e32 v49, v34
	s_wait_loadcnt 0x0
	v_and_b32_e32 v34, 0xff, v74
	v_sub_nc_u32_e32 v34, v34, v33
	s_delay_alu instid0(VALU_DEP_1) | instskip(NEXT) | instid1(VALU_DEP_1)
	v_cvt_f32_i32_e32 v34, v34
	v_cvt_f16_f32_e32 v50, v34
	v_bfe_u32 v34, v74, 8, 8
	s_delay_alu instid0(VALU_DEP_1) | instskip(NEXT) | instid1(VALU_DEP_1)
	v_sub_nc_u32_e32 v34, v34, v33
	v_cvt_f32_i32_e32 v34, v34
	s_delay_alu instid0(VALU_DEP_1) | instskip(SKIP_1) | instid1(VALU_DEP_1)
	v_cvt_f16_f32_e32 v51, v34
	v_bfe_u32 v34, v74, 16, 8
	v_sub_nc_u32_e32 v34, v34, v33
	s_delay_alu instid0(VALU_DEP_1) | instskip(NEXT) | instid1(VALU_DEP_1)
	v_cvt_f32_i32_e32 v34, v34
	v_cvt_f16_f32_e32 v52, v34
	v_lshrrev_b32_e32 v34, 24, v74
	s_delay_alu instid0(VALU_DEP_1) | instskip(NEXT) | instid1(VALU_DEP_1)
	v_sub_nc_u32_e32 v34, v34, v33
	v_cvt_f32_i32_e32 v34, v34
	s_delay_alu instid0(VALU_DEP_1) | instskip(SKIP_1) | instid1(VALU_DEP_1)
	v_cvt_f16_f32_e32 v53, v34
	v_and_b32_e32 v34, 0xff, v35
	v_sub_nc_u32_e32 v34, v34, v32
	s_delay_alu instid0(VALU_DEP_1) | instskip(NEXT) | instid1(VALU_DEP_1)
	v_cvt_f32_i32_e32 v34, v34
	v_cvt_f16_f32_e32 v54, v34
	v_bfe_u32 v34, v35, 8, 8
	s_delay_alu instid0(VALU_DEP_1) | instskip(NEXT) | instid1(VALU_DEP_1)
	v_sub_nc_u32_e32 v34, v34, v32
	v_cvt_f32_i32_e32 v34, v34
	s_delay_alu instid0(VALU_DEP_1) | instskip(SKIP_1) | instid1(VALU_DEP_1)
	v_cvt_f16_f32_e32 v55, v34
	v_bfe_u32 v34, v35, 16, 8
	v_sub_nc_u32_e32 v34, v34, v32
	s_delay_alu instid0(VALU_DEP_1) | instskip(NEXT) | instid1(VALU_DEP_1)
	v_cvt_f32_i32_e32 v34, v34
	v_cvt_f16_f32_e32 v56, v34
	v_lshrrev_b32_e32 v34, 24, v35
	s_delay_alu instid0(VALU_DEP_1) | instskip(NEXT) | instid1(VALU_DEP_1)
	v_sub_nc_u32_e32 v34, v34, v32
	v_cvt_f32_i32_e32 v34, v34
	s_delay_alu instid0(VALU_DEP_1) | instskip(SKIP_1) | instid1(VALU_DEP_1)
	v_cvt_f16_f32_e32 v57, v34
	v_and_b32_e32 v34, 0xff, v75
	v_sub_nc_u32_e32 v34, v34, v32
	s_delay_alu instid0(VALU_DEP_1) | instskip(NEXT) | instid1(VALU_DEP_1)
	v_cvt_f32_i32_e32 v34, v34
	v_cvt_f16_f32_e32 v58, v34
	v_bfe_u32 v34, v75, 8, 8
	s_delay_alu instid0(VALU_DEP_1) | instskip(NEXT) | instid1(VALU_DEP_1)
	v_sub_nc_u32_e32 v34, v34, v32
	v_cvt_f32_i32_e32 v34, v34
	s_delay_alu instid0(VALU_DEP_1) | instskip(SKIP_1) | instid1(VALU_DEP_1)
	v_cvt_f16_f32_e32 v59, v34
	v_bfe_u32 v34, v75, 16, 8
	v_sub_nc_u32_e32 v34, v34, v32
	s_delay_alu instid0(VALU_DEP_1) | instskip(NEXT) | instid1(VALU_DEP_1)
	v_cvt_f32_i32_e32 v34, v34
	v_cvt_f16_f32_e32 v60, v34
	v_lshrrev_b32_e32 v34, 24, v75
	s_delay_alu instid0(VALU_DEP_1) | instskip(NEXT) | instid1(VALU_DEP_1)
	v_sub_nc_u32_e32 v34, v34, v32
	v_cvt_f32_i32_e32 v34, v34
	s_delay_alu instid0(VALU_DEP_1) | instskip(SKIP_1) | instid1(VALU_DEP_1)
	v_cvt_f16_f32_e32 v61, v34
	v_and_b32_e32 v34, 0xff, v36
	v_sub_nc_u32_e32 v34, v34, v31
	s_delay_alu instid0(VALU_DEP_1) | instskip(NEXT) | instid1(VALU_DEP_1)
	v_cvt_f32_i32_e32 v34, v34
	v_cvt_f16_f32_e32 v62, v34
	v_bfe_u32 v34, v36, 8, 8
	s_delay_alu instid0(VALU_DEP_1) | instskip(NEXT) | instid1(VALU_DEP_1)
	v_sub_nc_u32_e32 v34, v34, v31
	v_cvt_f32_i32_e32 v34, v34
	s_delay_alu instid0(VALU_DEP_1) | instskip(SKIP_1) | instid1(VALU_DEP_1)
	v_cvt_f16_f32_e32 v63, v34
	v_bfe_u32 v34, v36, 16, 8
	v_sub_nc_u32_e32 v34, v34, v31
	s_delay_alu instid0(VALU_DEP_1) | instskip(NEXT) | instid1(VALU_DEP_1)
	v_cvt_f32_i32_e32 v34, v34
	v_cvt_f16_f32_e32 v64, v34
	v_lshrrev_b32_e32 v34, 24, v36
	s_delay_alu instid0(VALU_DEP_1) | instskip(NEXT) | instid1(VALU_DEP_1)
	v_sub_nc_u32_e32 v34, v34, v31
	v_cvt_f32_i32_e32 v34, v34
	s_delay_alu instid0(VALU_DEP_1) | instskip(SKIP_1) | instid1(VALU_DEP_1)
	v_cvt_f16_f32_e32 v65, v34
	v_and_b32_e32 v34, 0xff, v76
	v_sub_nc_u32_e32 v34, v34, v31
	s_delay_alu instid0(VALU_DEP_1) | instskip(NEXT) | instid1(VALU_DEP_1)
	v_cvt_f32_i32_e32 v34, v34
	v_cvt_f16_f32_e32 v66, v34
	v_bfe_u32 v34, v76, 8, 8
	s_delay_alu instid0(VALU_DEP_1) | instskip(NEXT) | instid1(VALU_DEP_1)
	v_sub_nc_u32_e32 v34, v34, v31
	v_cvt_f32_i32_e32 v34, v34
	s_delay_alu instid0(VALU_DEP_1) | instskip(SKIP_1) | instid1(VALU_DEP_1)
	v_cvt_f16_f32_e32 v67, v34
	v_bfe_u32 v34, v76, 16, 8
	v_sub_nc_u32_e32 v34, v34, v31
	s_delay_alu instid0(VALU_DEP_1) | instskip(NEXT) | instid1(VALU_DEP_1)
	v_cvt_f32_i32_e32 v34, v34
	v_cvt_f16_f32_e32 v68, v34
	v_lshrrev_b32_e32 v34, 24, v76
	s_delay_alu instid0(VALU_DEP_1) | instskip(NEXT) | instid1(VALU_DEP_1)
	v_sub_nc_u32_e32 v34, v34, v31
	v_cvt_f32_i32_e32 v34, v34
	s_delay_alu instid0(VALU_DEP_1) | instskip(SKIP_1) | instid1(VALU_DEP_1)
	v_cvt_f16_f32_e32 v69, v34
	v_and_b32_e32 v34, 0xff, v37
	v_sub_nc_u32_e32 v34, v34, v30
	s_delay_alu instid0(VALU_DEP_1) | instskip(NEXT) | instid1(VALU_DEP_1)
	v_cvt_f32_i32_e32 v34, v34
	v_cvt_f16_f32_e32 v70, v34
	v_bfe_u32 v34, v37, 8, 8
	s_delay_alu instid0(VALU_DEP_2) | instskip(NEXT) | instid1(VALU_DEP_2)
	v_fma_mix_f32 v35, v70, v8, 0 op_sel_hi:[1,1,0]
	v_sub_nc_u32_e32 v34, v34, v30
	s_delay_alu instid0(VALU_DEP_1) | instskip(NEXT) | instid1(VALU_DEP_1)
	v_cvt_f32_i32_e32 v34, v34
	v_cvt_f16_f32_e32 v71, v34
	v_bfe_u32 v34, v37, 16, 8
	s_delay_alu instid0(VALU_DEP_1) | instskip(NEXT) | instid1(VALU_DEP_1)
	v_sub_nc_u32_e32 v34, v34, v30
	v_cvt_f32_i32_e32 v34, v34
	s_delay_alu instid0(VALU_DEP_1) | instskip(SKIP_1) | instid1(VALU_DEP_1)
	v_cvt_f16_f32_e32 v72, v34
	v_lshrrev_b32_e32 v34, 24, v37
	v_sub_nc_u32_e32 v34, v34, v30
	s_delay_alu instid0(VALU_DEP_1) | instskip(NEXT) | instid1(VALU_DEP_1)
	v_cvt_f32_i32_e32 v34, v34
	v_cvt_f16_f32_e32 v73, v34
	v_and_b32_e32 v34, 0xff, v77
	s_delay_alu instid0(VALU_DEP_1) | instskip(NEXT) | instid1(VALU_DEP_1)
	v_sub_nc_u32_e32 v34, v34, v30
	v_cvt_f32_i32_e32 v34, v34
	s_delay_alu instid0(VALU_DEP_1) | instskip(SKIP_1) | instid1(VALU_DEP_1)
	v_cvt_f16_f32_e32 v74, v34
	v_bfe_u32 v34, v77, 8, 8
	v_sub_nc_u32_e32 v34, v34, v30
	s_delay_alu instid0(VALU_DEP_1) | instskip(NEXT) | instid1(VALU_DEP_1)
	v_cvt_f32_i32_e32 v34, v34
	v_cvt_f16_f32_e32 v75, v34
	v_bfe_u32 v34, v77, 16, 8
	s_delay_alu instid0(VALU_DEP_1) | instskip(NEXT) | instid1(VALU_DEP_1)
	v_sub_nc_u32_e32 v34, v34, v30
	v_cvt_f32_i32_e32 v34, v34
	s_delay_alu instid0(VALU_DEP_1) | instskip(SKIP_1) | instid1(VALU_DEP_1)
	v_cvt_f16_f32_e32 v76, v34
	v_lshrrev_b32_e32 v34, 24, v77
	v_sub_nc_u32_e32 v34, v34, v30
	s_delay_alu instid0(VALU_DEP_1) | instskip(NEXT) | instid1(VALU_DEP_1)
	v_cvt_f32_i32_e32 v34, v34
	v_cvt_f16_f32_e32 v77, v34
	v_fma_mix_f32 v34, v46, v8, 0 op_sel_hi:[1,1,0]
	s_delay_alu instid0(VALU_DEP_1) | instskip(NEXT) | instid1(VALU_DEP_1)
	v_fma_mix_f32 v34, v47, v8, v34 op_sel:[0,1,0] op_sel_hi:[1,1,0]
	v_fma_mix_f32 v34, v48, v9, v34 op_sel_hi:[1,1,0]
	s_delay_alu instid0(VALU_DEP_1) | instskip(NEXT) | instid1(VALU_DEP_1)
	v_fma_mix_f32 v34, v49, v9, v34 op_sel:[0,1,0] op_sel_hi:[1,1,0]
	;; [unrolled: 3-line block ×4, first 2 shown]
	v_fma_mixlo_f16 v34, v34, v18, 0 op_sel_hi:[0,1,0]
	s_delay_alu instid0(VALU_DEP_1) | instskip(SKIP_1) | instid1(VALU_DEP_1)
	v_add_f16_e32 v37, v84, v34
	v_fma_mix_f32 v34, v54, v8, 0 op_sel_hi:[1,1,0]
	v_fma_mix_f32 v34, v55, v8, v34 op_sel:[0,1,0] op_sel_hi:[1,1,0]
	s_delay_alu instid0(VALU_DEP_1) | instskip(NEXT) | instid1(VALU_DEP_1)
	v_fma_mix_f32 v34, v56, v9, v34 op_sel_hi:[1,1,0]
	v_fma_mix_f32 v34, v57, v9, v34 op_sel:[0,1,0] op_sel_hi:[1,1,0]
	s_delay_alu instid0(VALU_DEP_1) | instskip(NEXT) | instid1(VALU_DEP_1)
	;; [unrolled: 3-line block ×4, first 2 shown]
	v_fma_mixlo_f16 v34, v34, v18, 0 op_sel:[0,1,0] op_sel_hi:[0,1,0]
	v_add_f16_e32 v36, v85, v34
	v_fma_mix_f32 v34, v62, v8, 0 op_sel_hi:[1,1,0]
	s_delay_alu instid0(VALU_DEP_1) | instskip(SKIP_1) | instid1(VALU_DEP_2)
	v_fma_mix_f32 v34, v63, v8, v34 op_sel:[0,1,0] op_sel_hi:[1,1,0]
	v_fma_mix_f32 v8, v71, v8, v35 op_sel:[0,1,0] op_sel_hi:[1,1,0]
	v_fma_mix_f32 v34, v64, v9, v34 op_sel_hi:[1,1,0]
	s_delay_alu instid0(VALU_DEP_2) | instskip(NEXT) | instid1(VALU_DEP_2)
	v_fma_mix_f32 v8, v72, v9, v8 op_sel_hi:[1,1,0]
	v_fma_mix_f32 v34, v65, v9, v34 op_sel:[0,1,0] op_sel_hi:[1,1,0]
	s_delay_alu instid0(VALU_DEP_2) | instskip(NEXT) | instid1(VALU_DEP_2)
	v_fma_mix_f32 v8, v73, v9, v8 op_sel:[0,1,0] op_sel_hi:[1,1,0]
	v_fma_mix_f32 v34, v66, v10, v34 op_sel_hi:[1,1,0]
	s_delay_alu instid0(VALU_DEP_2) | instskip(NEXT) | instid1(VALU_DEP_2)
	v_fma_mix_f32 v8, v74, v10, v8 op_sel_hi:[1,1,0]
	v_fma_mix_f32 v34, v67, v10, v34 op_sel:[0,1,0] op_sel_hi:[1,1,0]
	s_delay_alu instid0(VALU_DEP_2) | instskip(NEXT) | instid1(VALU_DEP_2)
	;; [unrolled: 6-line block ×3, first 2 shown]
	v_fma_mix_f32 v8, v77, v11, v8 op_sel:[0,1,0] op_sel_hi:[1,1,0]
	v_fma_mixlo_f16 v34, v34, v19, 0 op_sel_hi:[0,1,0]
	s_delay_alu instid0(VALU_DEP_2) | instskip(NEXT) | instid1(VALU_DEP_2)
	v_fma_mixlo_f16 v8, v8, v19, 0 op_sel:[0,1,0] op_sel_hi:[0,1,0]
	v_add_f16_e32 v34, v86, v34
	s_delay_alu instid0(VALU_DEP_2) | instskip(SKIP_3) | instid1(VALU_DEP_1)
	v_add_f16_e32 v35, v87, v8
	ds_load_b128 v[8:11], v29 offset:272
	s_wait_dscnt 0x0
	v_fma_mix_f32 v82, v46, v8, 0 op_sel_hi:[1,1,0]
	v_fma_mix_f32 v82, v47, v8, v82 op_sel:[0,1,0] op_sel_hi:[1,1,0]
	s_delay_alu instid0(VALU_DEP_1) | instskip(NEXT) | instid1(VALU_DEP_1)
	v_fma_mix_f32 v82, v48, v9, v82 op_sel_hi:[1,1,0]
	v_fma_mix_f32 v82, v49, v9, v82 op_sel:[0,1,0] op_sel_hi:[1,1,0]
	s_delay_alu instid0(VALU_DEP_1) | instskip(NEXT) | instid1(VALU_DEP_1)
	v_fma_mix_f32 v82, v50, v10, v82 op_sel_hi:[1,1,0]
	v_fma_mix_f32 v82, v51, v10, v82 op_sel:[0,1,0] op_sel_hi:[1,1,0]
	s_delay_alu instid0(VALU_DEP_1) | instskip(NEXT) | instid1(VALU_DEP_1)
	v_fma_mix_f32 v82, v52, v11, v82 op_sel_hi:[1,1,0]
	v_fma_mix_f32 v82, v53, v11, v82 op_sel:[0,1,0] op_sel_hi:[1,1,0]
	s_delay_alu instid0(VALU_DEP_1) | instskip(NEXT) | instid1(VALU_DEP_1)
	v_fma_mixlo_f16 v82, v82, v18, 0 op_sel_hi:[0,1,0]
	v_add_f16_e32 v38, v38, v82
	v_fma_mix_f32 v82, v54, v8, 0 op_sel_hi:[1,1,0]
	s_delay_alu instid0(VALU_DEP_1) | instskip(NEXT) | instid1(VALU_DEP_1)
	v_fma_mix_f32 v82, v55, v8, v82 op_sel:[0,1,0] op_sel_hi:[1,1,0]
	v_fma_mix_f32 v82, v56, v9, v82 op_sel_hi:[1,1,0]
	s_delay_alu instid0(VALU_DEP_1) | instskip(NEXT) | instid1(VALU_DEP_1)
	v_fma_mix_f32 v82, v57, v9, v82 op_sel:[0,1,0] op_sel_hi:[1,1,0]
	v_fma_mix_f32 v82, v58, v10, v82 op_sel_hi:[1,1,0]
	s_delay_alu instid0(VALU_DEP_1) | instskip(NEXT) | instid1(VALU_DEP_1)
	v_fma_mix_f32 v82, v59, v10, v82 op_sel:[0,1,0] op_sel_hi:[1,1,0]
	v_fma_mix_f32 v82, v60, v11, v82 op_sel_hi:[1,1,0]
	s_delay_alu instid0(VALU_DEP_1) | instskip(NEXT) | instid1(VALU_DEP_1)
	v_fma_mix_f32 v82, v61, v11, v82 op_sel:[0,1,0] op_sel_hi:[1,1,0]
	v_fma_mixlo_f16 v82, v82, v18, 0 op_sel:[0,1,0] op_sel_hi:[0,1,0]
	s_delay_alu instid0(VALU_DEP_1) | instskip(SKIP_1) | instid1(VALU_DEP_1)
	v_add_f16_e32 v39, v39, v82
	v_fma_mix_f32 v82, v62, v8, 0 op_sel_hi:[1,1,0]
	v_fma_mix_f32 v82, v63, v8, v82 op_sel:[0,1,0] op_sel_hi:[1,1,0]
	s_delay_alu instid0(VALU_DEP_1) | instskip(NEXT) | instid1(VALU_DEP_1)
	v_fma_mix_f32 v82, v64, v9, v82 op_sel_hi:[1,1,0]
	v_fma_mix_f32 v82, v65, v9, v82 op_sel:[0,1,0] op_sel_hi:[1,1,0]
	s_delay_alu instid0(VALU_DEP_1) | instskip(NEXT) | instid1(VALU_DEP_1)
	v_fma_mix_f32 v82, v66, v10, v82 op_sel_hi:[1,1,0]
	v_fma_mix_f32 v82, v67, v10, v82 op_sel:[0,1,0] op_sel_hi:[1,1,0]
	s_delay_alu instid0(VALU_DEP_1) | instskip(NEXT) | instid1(VALU_DEP_1)
	v_fma_mix_f32 v82, v68, v11, v82 op_sel_hi:[1,1,0]
	v_fma_mix_f32 v82, v69, v11, v82 op_sel:[0,1,0] op_sel_hi:[1,1,0]
	s_delay_alu instid0(VALU_DEP_1) | instskip(NEXT) | instid1(VALU_DEP_1)
	v_fma_mixlo_f16 v82, v82, v19, 0 op_sel_hi:[0,1,0]
	v_add_f16_e32 v40, v40, v82
	v_fma_mix_f32 v82, v70, v8, 0 op_sel_hi:[1,1,0]
	s_delay_alu instid0(VALU_DEP_1) | instskip(NEXT) | instid1(VALU_DEP_1)
	v_fma_mix_f32 v8, v71, v8, v82 op_sel:[0,1,0] op_sel_hi:[1,1,0]
	v_fma_mix_f32 v8, v72, v9, v8 op_sel_hi:[1,1,0]
	s_delay_alu instid0(VALU_DEP_1) | instskip(NEXT) | instid1(VALU_DEP_1)
	v_fma_mix_f32 v8, v73, v9, v8 op_sel:[0,1,0] op_sel_hi:[1,1,0]
	v_fma_mix_f32 v8, v74, v10, v8 op_sel_hi:[1,1,0]
	s_delay_alu instid0(VALU_DEP_1) | instskip(NEXT) | instid1(VALU_DEP_1)
	v_fma_mix_f32 v8, v75, v10, v8 op_sel:[0,1,0] op_sel_hi:[1,1,0]
	v_fma_mix_f32 v8, v76, v11, v8 op_sel_hi:[1,1,0]
	s_delay_alu instid0(VALU_DEP_1) | instskip(NEXT) | instid1(VALU_DEP_1)
	v_fma_mix_f32 v8, v77, v11, v8 op_sel:[0,1,0] op_sel_hi:[1,1,0]
	v_fma_mixlo_f16 v8, v8, v19, 0 op_sel:[0,1,0] op_sel_hi:[0,1,0]
	s_delay_alu instid0(VALU_DEP_1) | instskip(SKIP_3) | instid1(VALU_DEP_1)
	v_add_f16_e32 v41, v41, v8
	ds_load_b128 v[8:11], v29 offset:528
	s_wait_dscnt 0x0
	v_fma_mix_f32 v82, v46, v8, 0 op_sel_hi:[1,1,0]
	v_fma_mix_f32 v82, v47, v8, v82 op_sel:[0,1,0] op_sel_hi:[1,1,0]
	s_delay_alu instid0(VALU_DEP_1) | instskip(NEXT) | instid1(VALU_DEP_1)
	v_fma_mix_f32 v82, v48, v9, v82 op_sel_hi:[1,1,0]
	v_fma_mix_f32 v82, v49, v9, v82 op_sel:[0,1,0] op_sel_hi:[1,1,0]
	s_delay_alu instid0(VALU_DEP_1) | instskip(NEXT) | instid1(VALU_DEP_1)
	v_fma_mix_f32 v82, v50, v10, v82 op_sel_hi:[1,1,0]
	v_fma_mix_f32 v82, v51, v10, v82 op_sel:[0,1,0] op_sel_hi:[1,1,0]
	s_delay_alu instid0(VALU_DEP_1) | instskip(NEXT) | instid1(VALU_DEP_1)
	v_fma_mix_f32 v82, v52, v11, v82 op_sel_hi:[1,1,0]
	v_fma_mix_f32 v82, v53, v11, v82 op_sel:[0,1,0] op_sel_hi:[1,1,0]
	s_delay_alu instid0(VALU_DEP_1) | instskip(NEXT) | instid1(VALU_DEP_1)
	v_fma_mixlo_f16 v82, v82, v18, 0 op_sel_hi:[0,1,0]
	v_add_f16_e32 v42, v42, v82
	v_fma_mix_f32 v82, v54, v8, 0 op_sel_hi:[1,1,0]
	s_delay_alu instid0(VALU_DEP_1) | instskip(NEXT) | instid1(VALU_DEP_1)
	v_fma_mix_f32 v82, v55, v8, v82 op_sel:[0,1,0] op_sel_hi:[1,1,0]
	v_fma_mix_f32 v82, v56, v9, v82 op_sel_hi:[1,1,0]
	s_delay_alu instid0(VALU_DEP_1) | instskip(NEXT) | instid1(VALU_DEP_1)
	v_fma_mix_f32 v82, v57, v9, v82 op_sel:[0,1,0] op_sel_hi:[1,1,0]
	v_fma_mix_f32 v82, v58, v10, v82 op_sel_hi:[1,1,0]
	s_delay_alu instid0(VALU_DEP_1) | instskip(NEXT) | instid1(VALU_DEP_1)
	v_fma_mix_f32 v82, v59, v10, v82 op_sel:[0,1,0] op_sel_hi:[1,1,0]
	v_fma_mix_f32 v82, v60, v11, v82 op_sel_hi:[1,1,0]
	s_delay_alu instid0(VALU_DEP_1) | instskip(NEXT) | instid1(VALU_DEP_1)
	v_fma_mix_f32 v82, v61, v11, v82 op_sel:[0,1,0] op_sel_hi:[1,1,0]
	v_fma_mixlo_f16 v82, v82, v18, 0 op_sel:[0,1,0] op_sel_hi:[0,1,0]
	s_delay_alu instid0(VALU_DEP_1) | instskip(SKIP_1) | instid1(VALU_DEP_1)
	v_add_f16_e32 v43, v43, v82
	v_fma_mix_f32 v82, v62, v8, 0 op_sel_hi:[1,1,0]
	v_fma_mix_f32 v82, v63, v8, v82 op_sel:[0,1,0] op_sel_hi:[1,1,0]
	s_delay_alu instid0(VALU_DEP_1) | instskip(NEXT) | instid1(VALU_DEP_1)
	v_fma_mix_f32 v82, v64, v9, v82 op_sel_hi:[1,1,0]
	v_fma_mix_f32 v82, v65, v9, v82 op_sel:[0,1,0] op_sel_hi:[1,1,0]
	s_delay_alu instid0(VALU_DEP_1) | instskip(NEXT) | instid1(VALU_DEP_1)
	v_fma_mix_f32 v82, v66, v10, v82 op_sel_hi:[1,1,0]
	v_fma_mix_f32 v82, v67, v10, v82 op_sel:[0,1,0] op_sel_hi:[1,1,0]
	s_delay_alu instid0(VALU_DEP_1) | instskip(NEXT) | instid1(VALU_DEP_1)
	v_fma_mix_f32 v82, v68, v11, v82 op_sel_hi:[1,1,0]
	v_fma_mix_f32 v82, v69, v11, v82 op_sel:[0,1,0] op_sel_hi:[1,1,0]
	s_delay_alu instid0(VALU_DEP_1) | instskip(NEXT) | instid1(VALU_DEP_1)
	v_fma_mixlo_f16 v82, v82, v19, 0 op_sel_hi:[0,1,0]
	v_add_f16_e32 v44, v44, v82
	v_fma_mix_f32 v82, v70, v8, 0 op_sel_hi:[1,1,0]
	s_delay_alu instid0(VALU_DEP_1) | instskip(NEXT) | instid1(VALU_DEP_1)
	v_fma_mix_f32 v8, v71, v8, v82 op_sel:[0,1,0] op_sel_hi:[1,1,0]
	v_fma_mix_f32 v8, v72, v9, v8 op_sel_hi:[1,1,0]
	s_delay_alu instid0(VALU_DEP_1) | instskip(NEXT) | instid1(VALU_DEP_1)
	v_fma_mix_f32 v8, v73, v9, v8 op_sel:[0,1,0] op_sel_hi:[1,1,0]
	v_fma_mix_f32 v8, v74, v10, v8 op_sel_hi:[1,1,0]
	s_delay_alu instid0(VALU_DEP_1) | instskip(NEXT) | instid1(VALU_DEP_1)
	v_fma_mix_f32 v8, v75, v10, v8 op_sel:[0,1,0] op_sel_hi:[1,1,0]
	v_fma_mix_f32 v8, v76, v11, v8 op_sel_hi:[1,1,0]
	s_delay_alu instid0(VALU_DEP_1) | instskip(NEXT) | instid1(VALU_DEP_1)
	v_fma_mix_f32 v8, v77, v11, v8 op_sel:[0,1,0] op_sel_hi:[1,1,0]
	v_fma_mixlo_f16 v8, v8, v19, 0 op_sel:[0,1,0] op_sel_hi:[0,1,0]
	s_delay_alu instid0(VALU_DEP_1) | instskip(SKIP_3) | instid1(VALU_DEP_1)
	;; [unrolled: 60-line block ×3, first 2 shown]
	v_add_f16_e32 v81, v81, v8
	ds_load_b128 v[8:11], v29 offset:1040
	s_wait_dscnt 0x0
	v_fma_mix_f32 v46, v46, v8, 0 op_sel_hi:[1,1,0]
	v_fma_mix_f32 v46, v47, v8, v46 op_sel:[0,1,0] op_sel_hi:[1,1,0]
	s_delay_alu instid0(VALU_DEP_1) | instskip(NEXT) | instid1(VALU_DEP_1)
	v_fma_mix_f32 v46, v48, v9, v46 op_sel_hi:[1,1,0]
	v_fma_mix_f32 v46, v49, v9, v46 op_sel:[0,1,0] op_sel_hi:[1,1,0]
	s_delay_alu instid0(VALU_DEP_1) | instskip(NEXT) | instid1(VALU_DEP_1)
	;; [unrolled: 3-line block ×4, first 2 shown]
	v_fma_mixlo_f16 v46, v46, v18, 0 op_sel_hi:[0,1,0]
	v_add_f16_e32 v46, v14, v46
	v_fma_mix_f32 v14, v54, v8, 0 op_sel_hi:[1,1,0]
	s_delay_alu instid0(VALU_DEP_1) | instskip(NEXT) | instid1(VALU_DEP_1)
	v_fma_mix_f32 v14, v55, v8, v14 op_sel:[0,1,0] op_sel_hi:[1,1,0]
	v_fma_mix_f32 v14, v56, v9, v14 op_sel_hi:[1,1,0]
	s_delay_alu instid0(VALU_DEP_1) | instskip(NEXT) | instid1(VALU_DEP_1)
	v_fma_mix_f32 v14, v57, v9, v14 op_sel:[0,1,0] op_sel_hi:[1,1,0]
	;; [unrolled: 3-line block ×4, first 2 shown]
	v_fma_mixlo_f16 v14, v14, v18, 0 op_sel:[0,1,0] op_sel_hi:[0,1,0]
	s_delay_alu instid0(VALU_DEP_1) | instskip(SKIP_1) | instid1(VALU_DEP_1)
	v_add_f16_e32 v47, v15, v14
	v_fma_mix_f32 v14, v62, v8, 0 op_sel_hi:[1,1,0]
	v_fma_mix_f32 v14, v63, v8, v14 op_sel:[0,1,0] op_sel_hi:[1,1,0]
	s_delay_alu instid0(VALU_DEP_1) | instskip(NEXT) | instid1(VALU_DEP_1)
	v_fma_mix_f32 v14, v64, v9, v14 op_sel_hi:[1,1,0]
	v_fma_mix_f32 v14, v65, v9, v14 op_sel:[0,1,0] op_sel_hi:[1,1,0]
	s_delay_alu instid0(VALU_DEP_1) | instskip(NEXT) | instid1(VALU_DEP_1)
	;; [unrolled: 3-line block ×4, first 2 shown]
	v_fma_mixlo_f16 v14, v14, v19, 0 op_sel_hi:[0,1,0]
	v_add_f16_e32 v48, v22, v14
	v_fma_mix_f32 v14, v70, v8, 0 op_sel_hi:[1,1,0]
	s_delay_alu instid0(VALU_DEP_1) | instskip(NEXT) | instid1(VALU_DEP_1)
	v_fma_mix_f32 v8, v71, v8, v14 op_sel:[0,1,0] op_sel_hi:[1,1,0]
	v_fma_mix_f32 v8, v72, v9, v8 op_sel_hi:[1,1,0]
	s_delay_alu instid0(VALU_DEP_1) | instskip(NEXT) | instid1(VALU_DEP_1)
	v_fma_mix_f32 v8, v73, v9, v8 op_sel:[0,1,0] op_sel_hi:[1,1,0]
	;; [unrolled: 3-line block ×4, first 2 shown]
	v_fma_mixlo_f16 v8, v8, v19, 0 op_sel:[0,1,0] op_sel_hi:[0,1,0]
	s_delay_alu instid0(VALU_DEP_1)
	v_add_f16_e32 v49, v23, v8
	v_add_nc_u64_e32 v[8:9], s[12:13], v[12:13]
	global_load_b128 v[12:15], v[8:9], off
	v_add_nc_u64_e32 v[22:23], s[12:13], v[8:9]
	global_load_b128 v[8:11], v[22:23], off
	s_wait_loadcnt 0x1
	v_bfe_u32 v57, v13, 8, 8
	v_and_b32_e32 v50, 0xff, v12
	v_bfe_u32 v51, v12, 8, 8
	v_bfe_u32 v52, v12, 16, 8
	v_lshrrev_b32_e32 v12, 24, v12
	s_delay_alu instid0(VALU_DEP_4) | instskip(NEXT) | instid1(VALU_DEP_3)
	v_dual_sub_nc_u32 v57, v57, v32 :: v_dual_sub_nc_u32 v50, v50, v33
	v_dual_sub_nc_u32 v51, v51, v33 :: v_dual_sub_nc_u32 v52, v52, v33
	s_delay_alu instid0(VALU_DEP_3) | instskip(NEXT) | instid1(VALU_DEP_3)
	v_sub_nc_u32_e32 v12, v12, v33
	v_cvt_f32_i32_e32 v57, v57
	s_delay_alu instid0(VALU_DEP_4) | instskip(NEXT) | instid1(VALU_DEP_4)
	v_cvt_f32_i32_e32 v50, v50
	v_cvt_f32_i32_e32 v51, v51
	;; [unrolled: 1-line block ×3, first 2 shown]
	s_wait_loadcnt 0x0
	v_and_b32_e32 v53, 0xff, v8
	v_cvt_f16_f32_e32 v68, v57
	v_bfe_u32 v57, v13, 16, 8
	v_cvt_f16_f32_e32 v50, v50
	v_cvt_f16_f32_e32 v51, v51
	;; [unrolled: 1-line block ×3, first 2 shown]
	v_cvt_f32_i32_e32 v12, v12
	v_sub_nc_u32_e32 v57, v57, v32
	v_sub_nc_u32_e32 v53, v53, v33
	v_bfe_u32 v54, v8, 8, 8
	v_bfe_u32 v55, v8, 16, 8
	v_cvt_f16_f32_e32 v12, v12
	v_cvt_f32_i32_e32 v57, v57
	v_cvt_f32_i32_e32 v53, v53
	s_delay_alu instid0(VALU_DEP_4) | instskip(SKIP_1) | instid1(VALU_DEP_4)
	v_dual_lshrrev_b32 v8, 24, v8 :: v_dual_sub_nc_u32 v55, v55, v33
	v_and_b32_e32 v56, 0xff, v13
	v_cvt_f16_f32_e32 v69, v57
	v_and_b32_e32 v57, 0xff, v9
	v_cvt_f16_f32_e32 v53, v53
	v_cvt_f32_i32_e32 v55, v55
	v_sub_nc_u32_e32 v8, v8, v33
	s_delay_alu instid0(VALU_DEP_4) | instskip(SKIP_1) | instid1(VALU_DEP_4)
	v_dual_sub_nc_u32 v56, v56, v32 :: v_dual_sub_nc_u32 v57, v57, v32
	v_lshrrev_b32_e32 v13, 24, v13
	v_cvt_f16_f32_e32 v55, v55
	s_delay_alu instid0(VALU_DEP_4) | instskip(NEXT) | instid1(VALU_DEP_4)
	v_cvt_f32_i32_e32 v8, v8
	v_cvt_f32_i32_e32 v56, v56
	;; [unrolled: 1-line block ×3, first 2 shown]
	v_sub_nc_u32_e32 v13, v13, v32
	s_delay_alu instid0(VALU_DEP_4) | instskip(NEXT) | instid1(VALU_DEP_4)
	v_cvt_f16_f32_e32 v8, v8
	v_cvt_f16_f32_e32 v56, v56
	s_delay_alu instid0(VALU_DEP_4) | instskip(SKIP_2) | instid1(VALU_DEP_2)
	v_cvt_f16_f32_e32 v70, v57
	v_bfe_u32 v57, v9, 8, 8
	v_cvt_f32_i32_e32 v13, v13
	v_sub_nc_u32_e32 v57, v57, v32
	s_delay_alu instid0(VALU_DEP_2) | instskip(NEXT) | instid1(VALU_DEP_2)
	v_cvt_f16_f32_e32 v13, v13
	v_cvt_f32_i32_e32 v57, v57
	s_delay_alu instid0(VALU_DEP_1) | instskip(SKIP_1) | instid1(VALU_DEP_1)
	v_cvt_f16_f32_e32 v71, v57
	v_bfe_u32 v57, v9, 16, 8
	v_sub_nc_u32_e32 v57, v57, v32
	s_delay_alu instid0(VALU_DEP_1) | instskip(NEXT) | instid1(VALU_DEP_1)
	v_cvt_f32_i32_e32 v57, v57
	v_cvt_f16_f32_e32 v72, v57
	v_and_b32_e32 v57, 0xff, v14
	s_delay_alu instid0(VALU_DEP_1) | instskip(NEXT) | instid1(VALU_DEP_1)
	v_dual_lshrrev_b32 v9, 24, v9 :: v_dual_sub_nc_u32 v57, v57, v31
	v_dual_sub_nc_u32 v54, v54, v33 :: v_dual_sub_nc_u32 v9, v9, v32
	s_delay_alu instid0(VALU_DEP_2) | instskip(NEXT) | instid1(VALU_DEP_2)
	v_cvt_f32_i32_e32 v57, v57
	v_cvt_f32_i32_e32 v54, v54
	s_delay_alu instid0(VALU_DEP_3) | instskip(NEXT) | instid1(VALU_DEP_3)
	v_cvt_f32_i32_e32 v9, v9
	v_cvt_f16_f32_e32 v73, v57
	v_bfe_u32 v57, v14, 8, 8
	s_delay_alu instid0(VALU_DEP_4) | instskip(NEXT) | instid1(VALU_DEP_4)
	v_cvt_f16_f32_e32 v54, v54
	v_cvt_f16_f32_e32 v9, v9
	s_delay_alu instid0(VALU_DEP_3) | instskip(NEXT) | instid1(VALU_DEP_1)
	v_sub_nc_u32_e32 v57, v57, v31
	v_cvt_f32_i32_e32 v57, v57
	s_delay_alu instid0(VALU_DEP_1) | instskip(SKIP_1) | instid1(VALU_DEP_1)
	v_cvt_f16_f32_e32 v74, v57
	v_bfe_u32 v57, v14, 16, 8
	v_dual_lshrrev_b32 v14, 24, v14 :: v_dual_sub_nc_u32 v57, v57, v31
	s_delay_alu instid0(VALU_DEP_1) | instskip(NEXT) | instid1(VALU_DEP_2)
	v_sub_nc_u32_e32 v14, v14, v31
	v_cvt_f32_i32_e32 v57, v57
	s_delay_alu instid0(VALU_DEP_2) | instskip(NEXT) | instid1(VALU_DEP_2)
	v_cvt_f32_i32_e32 v14, v14
	v_cvt_f16_f32_e32 v75, v57
	v_and_b32_e32 v57, 0xff, v10
	s_delay_alu instid0(VALU_DEP_3) | instskip(NEXT) | instid1(VALU_DEP_2)
	v_cvt_f16_f32_e32 v14, v14
	v_sub_nc_u32_e32 v57, v57, v31
	s_delay_alu instid0(VALU_DEP_1) | instskip(NEXT) | instid1(VALU_DEP_1)
	v_cvt_f32_i32_e32 v57, v57
	v_cvt_f16_f32_e32 v76, v57
	v_bfe_u32 v57, v10, 8, 8
	s_delay_alu instid0(VALU_DEP_1) | instskip(NEXT) | instid1(VALU_DEP_1)
	v_sub_nc_u32_e32 v57, v57, v31
	v_cvt_f32_i32_e32 v57, v57
	s_delay_alu instid0(VALU_DEP_1) | instskip(SKIP_1) | instid1(VALU_DEP_1)
	v_cvt_f16_f32_e32 v77, v57
	v_bfe_u32 v57, v10, 16, 8
	v_dual_lshrrev_b32 v10, 24, v10 :: v_dual_sub_nc_u32 v57, v57, v31
	s_delay_alu instid0(VALU_DEP_1) | instskip(NEXT) | instid1(VALU_DEP_2)
	v_sub_nc_u32_e32 v10, v10, v31
	v_cvt_f32_i32_e32 v57, v57
	s_delay_alu instid0(VALU_DEP_2) | instskip(NEXT) | instid1(VALU_DEP_2)
	v_cvt_f32_i32_e32 v10, v10
	v_cvt_f16_f32_e32 v82, v57
	v_and_b32_e32 v57, 0xff, v15
	s_delay_alu instid0(VALU_DEP_3) | instskip(NEXT) | instid1(VALU_DEP_2)
	v_cvt_f16_f32_e32 v10, v10
	v_sub_nc_u32_e32 v57, v57, v30
	s_delay_alu instid0(VALU_DEP_1) | instskip(NEXT) | instid1(VALU_DEP_1)
	v_cvt_f32_i32_e32 v57, v57
	v_cvt_f16_f32_e32 v83, v57
	v_bfe_u32 v57, v15, 8, 8
	s_delay_alu instid0(VALU_DEP_1) | instskip(NEXT) | instid1(VALU_DEP_1)
	;; [unrolled: 21-line block ×3, first 2 shown]
	v_sub_nc_u32_e32 v57, v57, v30
	v_cvt_f32_i32_e32 v57, v57
	s_delay_alu instid0(VALU_DEP_1) | instskip(SKIP_1) | instid1(VALU_DEP_1)
	v_cvt_f16_f32_e32 v87, v57
	v_bfe_u32 v57, v11, 16, 8
	v_dual_lshrrev_b32 v11, 24, v11 :: v_dual_sub_nc_u32 v57, v57, v30
	s_delay_alu instid0(VALU_DEP_1) | instskip(NEXT) | instid1(VALU_DEP_2)
	v_sub_nc_u32_e32 v11, v11, v30
	v_cvt_f32_i32_e32 v57, v57
	s_delay_alu instid0(VALU_DEP_2) | instskip(NEXT) | instid1(VALU_DEP_2)
	v_cvt_f32_i32_e32 v11, v11
	v_cvt_f16_f32_e32 v88, v57
	s_delay_alu instid0(VALU_DEP_2) | instskip(SKIP_1) | instid1(VALU_DEP_1)
	v_cvt_f16_f32_e32 v89, v11
	v_fma_mix_f32 v11, v50, v4, 0 op_sel_hi:[1,1,0]
	v_fma_mix_f32 v11, v51, v4, v11 op_sel:[0,1,0] op_sel_hi:[1,1,0]
	s_delay_alu instid0(VALU_DEP_1) | instskip(NEXT) | instid1(VALU_DEP_1)
	v_fma_mix_f32 v11, v52, v5, v11 op_sel_hi:[1,1,0]
	v_fma_mix_f32 v11, v12, v5, v11 op_sel:[0,1,0] op_sel_hi:[1,1,0]
	s_delay_alu instid0(VALU_DEP_1) | instskip(NEXT) | instid1(VALU_DEP_1)
	;; [unrolled: 3-line block ×4, first 2 shown]
	v_fma_mixlo_f16 v11, v11, v18, 0 op_sel_hi:[0,1,0]
	v_add_f16_e32 v90, v37, v11
	v_fma_mix_f32 v11, v56, v4, 0 op_sel_hi:[1,1,0]
	s_delay_alu instid0(VALU_DEP_1) | instskip(NEXT) | instid1(VALU_DEP_1)
	v_fma_mix_f32 v11, v68, v4, v11 op_sel:[0,1,0] op_sel_hi:[1,1,0]
	v_fma_mix_f32 v11, v69, v5, v11 op_sel_hi:[1,1,0]
	s_delay_alu instid0(VALU_DEP_1) | instskip(NEXT) | instid1(VALU_DEP_1)
	v_fma_mix_f32 v11, v13, v5, v11 op_sel:[0,1,0] op_sel_hi:[1,1,0]
	;; [unrolled: 3-line block ×4, first 2 shown]
	v_fma_mixlo_f16 v11, v11, v18, 0 op_sel:[0,1,0] op_sel_hi:[0,1,0]
	s_delay_alu instid0(VALU_DEP_1) | instskip(SKIP_1) | instid1(VALU_DEP_1)
	v_add_f16_e32 v91, v36, v11
	v_fma_mix_f32 v11, v73, v4, 0 op_sel_hi:[1,1,0]
	v_fma_mix_f32 v11, v74, v4, v11 op_sel:[0,1,0] op_sel_hi:[1,1,0]
	s_delay_alu instid0(VALU_DEP_1) | instskip(NEXT) | instid1(VALU_DEP_1)
	v_fma_mix_f32 v11, v75, v5, v11 op_sel_hi:[1,1,0]
	v_fma_mix_f32 v11, v14, v5, v11 op_sel:[0,1,0] op_sel_hi:[1,1,0]
	s_delay_alu instid0(VALU_DEP_1) | instskip(NEXT) | instid1(VALU_DEP_1)
	;; [unrolled: 3-line block ×4, first 2 shown]
	v_fma_mixlo_f16 v11, v11, v19, 0 op_sel_hi:[0,1,0]
	v_add_f16_e32 v92, v34, v11
	v_fma_mix_f32 v11, v83, v4, 0 op_sel_hi:[1,1,0]
	s_delay_alu instid0(VALU_DEP_1) | instskip(NEXT) | instid1(VALU_DEP_1)
	v_fma_mix_f32 v4, v84, v4, v11 op_sel:[0,1,0] op_sel_hi:[1,1,0]
	v_fma_mix_f32 v4, v85, v5, v4 op_sel_hi:[1,1,0]
	s_delay_alu instid0(VALU_DEP_1) | instskip(NEXT) | instid1(VALU_DEP_1)
	v_fma_mix_f32 v4, v15, v5, v4 op_sel:[0,1,0] op_sel_hi:[1,1,0]
	;; [unrolled: 3-line block ×4, first 2 shown]
	v_fma_mixlo_f16 v4, v4, v19, 0 op_sel:[0,1,0] op_sel_hi:[0,1,0]
	s_delay_alu instid0(VALU_DEP_1) | instskip(SKIP_3) | instid1(VALU_DEP_1)
	v_add_f16_e32 v93, v35, v4
	ds_load_b128 v[4:7], v29 offset:288
	s_wait_dscnt 0x0
	v_fma_mix_f32 v11, v50, v4, 0 op_sel_hi:[1,1,0]
	v_fma_mix_f32 v11, v51, v4, v11 op_sel:[0,1,0] op_sel_hi:[1,1,0]
	s_delay_alu instid0(VALU_DEP_1) | instskip(NEXT) | instid1(VALU_DEP_1)
	v_fma_mix_f32 v11, v52, v5, v11 op_sel_hi:[1,1,0]
	v_fma_mix_f32 v11, v12, v5, v11 op_sel:[0,1,0] op_sel_hi:[1,1,0]
	s_delay_alu instid0(VALU_DEP_1) | instskip(NEXT) | instid1(VALU_DEP_1)
	;; [unrolled: 3-line block ×4, first 2 shown]
	v_fma_mixlo_f16 v11, v11, v18, 0 op_sel_hi:[0,1,0]
	v_add_f16_e32 v34, v38, v11
	v_fma_mix_f32 v11, v56, v4, 0 op_sel_hi:[1,1,0]
	s_delay_alu instid0(VALU_DEP_1) | instskip(NEXT) | instid1(VALU_DEP_1)
	v_fma_mix_f32 v11, v68, v4, v11 op_sel:[0,1,0] op_sel_hi:[1,1,0]
	v_fma_mix_f32 v11, v69, v5, v11 op_sel_hi:[1,1,0]
	s_delay_alu instid0(VALU_DEP_1) | instskip(NEXT) | instid1(VALU_DEP_1)
	v_fma_mix_f32 v11, v13, v5, v11 op_sel:[0,1,0] op_sel_hi:[1,1,0]
	;; [unrolled: 3-line block ×4, first 2 shown]
	v_fma_mixlo_f16 v11, v11, v18, 0 op_sel:[0,1,0] op_sel_hi:[0,1,0]
	s_delay_alu instid0(VALU_DEP_1) | instskip(SKIP_3) | instid1(VALU_DEP_1)
	v_add_f16_e32 v67, v39, v11
	v_fma_mix_f32 v11, v73, v4, 0 op_sel_hi:[1,1,0]
	ds_load_b128 v[36:39], v29 offset:1056
	v_fma_mix_f32 v11, v74, v4, v11 op_sel:[0,1,0] op_sel_hi:[1,1,0]
	v_fma_mix_f32 v11, v75, v5, v11 op_sel_hi:[1,1,0]
	s_delay_alu instid0(VALU_DEP_1) | instskip(NEXT) | instid1(VALU_DEP_1)
	v_fma_mix_f32 v11, v14, v5, v11 op_sel:[0,1,0] op_sel_hi:[1,1,0]
	v_fma_mix_f32 v11, v76, v6, v11 op_sel_hi:[1,1,0]
	s_delay_alu instid0(VALU_DEP_1) | instskip(NEXT) | instid1(VALU_DEP_1)
	;; [unrolled: 3-line block ×3, first 2 shown]
	v_fma_mix_f32 v11, v10, v7, v11 op_sel:[0,1,0] op_sel_hi:[1,1,0]
	v_fma_mixlo_f16 v11, v11, v19, 0 op_sel_hi:[0,1,0]
	s_delay_alu instid0(VALU_DEP_1) | instskip(SKIP_1) | instid1(VALU_DEP_1)
	v_add_f16_e32 v65, v40, v11
	v_fma_mix_f32 v11, v83, v4, 0 op_sel_hi:[1,1,0]
	v_fma_mix_f32 v4, v84, v4, v11 op_sel:[0,1,0] op_sel_hi:[1,1,0]
	s_delay_alu instid0(VALU_DEP_1) | instskip(NEXT) | instid1(VALU_DEP_1)
	v_fma_mix_f32 v4, v85, v5, v4 op_sel_hi:[1,1,0]
	v_fma_mix_f32 v4, v15, v5, v4 op_sel:[0,1,0] op_sel_hi:[1,1,0]
	s_delay_alu instid0(VALU_DEP_1) | instskip(NEXT) | instid1(VALU_DEP_1)
	;; [unrolled: 3-line block ×4, first 2 shown]
	v_fma_mixlo_f16 v4, v4, v19, 0 op_sel:[0,1,0] op_sel_hi:[0,1,0]
	v_add_f16_e32 v66, v41, v4
	ds_load_b128 v[4:7], v29 offset:544
	s_wait_dscnt 0x0
	v_fma_mix_f32 v11, v50, v4, 0 op_sel_hi:[1,1,0]
	s_delay_alu instid0(VALU_DEP_1) | instskip(NEXT) | instid1(VALU_DEP_1)
	v_fma_mix_f32 v11, v51, v4, v11 op_sel:[0,1,0] op_sel_hi:[1,1,0]
	v_fma_mix_f32 v11, v52, v5, v11 op_sel_hi:[1,1,0]
	s_delay_alu instid0(VALU_DEP_1) | instskip(NEXT) | instid1(VALU_DEP_1)
	v_fma_mix_f32 v11, v12, v5, v11 op_sel:[0,1,0] op_sel_hi:[1,1,0]
	;; [unrolled: 3-line block ×4, first 2 shown]
	v_fma_mixlo_f16 v11, v11, v18, 0 op_sel_hi:[0,1,0]
	s_delay_alu instid0(VALU_DEP_1) | instskip(SKIP_1) | instid1(VALU_DEP_1)
	v_add_f16_e32 v58, v42, v11
	v_fma_mix_f32 v11, v56, v4, 0 op_sel_hi:[1,1,0]
	v_fma_mix_f32 v11, v68, v4, v11 op_sel:[0,1,0] op_sel_hi:[1,1,0]
	s_delay_alu instid0(VALU_DEP_1) | instskip(NEXT) | instid1(VALU_DEP_1)
	v_fma_mix_f32 v11, v69, v5, v11 op_sel_hi:[1,1,0]
	v_fma_mix_f32 v11, v13, v5, v11 op_sel:[0,1,0] op_sel_hi:[1,1,0]
	s_delay_alu instid0(VALU_DEP_1) | instskip(NEXT) | instid1(VALU_DEP_1)
	;; [unrolled: 3-line block ×4, first 2 shown]
	v_fma_mixlo_f16 v11, v11, v18, 0 op_sel:[0,1,0] op_sel_hi:[0,1,0]
	v_add_f16_e32 v64, v43, v11
	v_fma_mix_f32 v11, v73, v4, 0 op_sel_hi:[1,1,0]
	s_delay_alu instid0(VALU_DEP_1) | instskip(NEXT) | instid1(VALU_DEP_1)
	v_fma_mix_f32 v11, v74, v4, v11 op_sel:[0,1,0] op_sel_hi:[1,1,0]
	v_fma_mix_f32 v11, v75, v5, v11 op_sel_hi:[1,1,0]
	s_delay_alu instid0(VALU_DEP_1) | instskip(NEXT) | instid1(VALU_DEP_1)
	v_fma_mix_f32 v11, v14, v5, v11 op_sel:[0,1,0] op_sel_hi:[1,1,0]
	;; [unrolled: 3-line block ×4, first 2 shown]
	v_fma_mixlo_f16 v11, v11, v19, 0 op_sel_hi:[0,1,0]
	s_delay_alu instid0(VALU_DEP_1) | instskip(SKIP_1) | instid1(VALU_DEP_1)
	v_add_f16_e32 v57, v44, v11
	v_fma_mix_f32 v11, v83, v4, 0 op_sel_hi:[1,1,0]
	v_fma_mix_f32 v4, v84, v4, v11 op_sel:[0,1,0] op_sel_hi:[1,1,0]
	s_delay_alu instid0(VALU_DEP_1) | instskip(NEXT) | instid1(VALU_DEP_1)
	v_fma_mix_f32 v4, v85, v5, v4 op_sel_hi:[1,1,0]
	v_fma_mix_f32 v4, v15, v5, v4 op_sel:[0,1,0] op_sel_hi:[1,1,0]
	s_delay_alu instid0(VALU_DEP_1) | instskip(NEXT) | instid1(VALU_DEP_1)
	v_fma_mix_f32 v4, v86, v6, v4 op_sel_hi:[1,1,0]
	v_fma_mix_f32 v4, v87, v6, v4 op_sel:[0,1,0] op_sel_hi:[1,1,0]
	s_delay_alu instid0(VALU_DEP_1) | instskip(NEXT) | instid1(VALU_DEP_1)
	v_fma_mix_f32 v4, v88, v7, v4 op_sel_hi:[1,1,0]
	v_fma_mix_f32 v4, v89, v7, v4 op_sel:[0,1,0] op_sel_hi:[1,1,0]
	s_delay_alu instid0(VALU_DEP_1) | instskip(NEXT) | instid1(VALU_DEP_1)
	v_fma_mixlo_f16 v4, v4, v19, 0 op_sel:[0,1,0] op_sel_hi:[0,1,0]
	v_add_f16_e32 v63, v45, v4
	ds_load_b128 v[4:7], v29 offset:800
	s_wait_dscnt 0x0
	v_fma_mix_f32 v11, v50, v4, 0 op_sel_hi:[1,1,0]
	s_delay_alu instid0(VALU_DEP_1) | instskip(NEXT) | instid1(VALU_DEP_1)
	v_fma_mix_f32 v11, v51, v4, v11 op_sel:[0,1,0] op_sel_hi:[1,1,0]
	v_fma_mix_f32 v11, v52, v5, v11 op_sel_hi:[1,1,0]
	s_delay_alu instid0(VALU_DEP_1) | instskip(NEXT) | instid1(VALU_DEP_1)
	v_fma_mix_f32 v11, v12, v5, v11 op_sel:[0,1,0] op_sel_hi:[1,1,0]
	;; [unrolled: 3-line block ×4, first 2 shown]
	v_fma_mixlo_f16 v11, v11, v18, 0 op_sel_hi:[0,1,0]
	s_delay_alu instid0(VALU_DEP_1) | instskip(SKIP_1) | instid1(VALU_DEP_1)
	v_add_f16_e32 v60, v78, v11
	v_fma_mix_f32 v11, v56, v4, 0 op_sel_hi:[1,1,0]
	v_fma_mix_f32 v11, v68, v4, v11 op_sel:[0,1,0] op_sel_hi:[1,1,0]
	s_delay_alu instid0(VALU_DEP_1) | instskip(NEXT) | instid1(VALU_DEP_1)
	v_fma_mix_f32 v11, v69, v5, v11 op_sel_hi:[1,1,0]
	v_fma_mix_f32 v11, v13, v5, v11 op_sel:[0,1,0] op_sel_hi:[1,1,0]
	s_delay_alu instid0(VALU_DEP_1) | instskip(NEXT) | instid1(VALU_DEP_1)
	;; [unrolled: 3-line block ×4, first 2 shown]
	v_fma_mixlo_f16 v11, v11, v18, 0 op_sel:[0,1,0] op_sel_hi:[0,1,0]
	v_add_f16_e32 v62, v79, v11
	v_fma_mix_f32 v11, v73, v4, 0 op_sel_hi:[1,1,0]
	s_delay_alu instid0(VALU_DEP_1) | instskip(NEXT) | instid1(VALU_DEP_1)
	v_fma_mix_f32 v11, v74, v4, v11 op_sel:[0,1,0] op_sel_hi:[1,1,0]
	v_fma_mix_f32 v11, v75, v5, v11 op_sel_hi:[1,1,0]
	s_delay_alu instid0(VALU_DEP_1) | instskip(NEXT) | instid1(VALU_DEP_1)
	v_fma_mix_f32 v11, v14, v5, v11 op_sel:[0,1,0] op_sel_hi:[1,1,0]
	v_fma_mix_f32 v11, v76, v6, v11 op_sel_hi:[1,1,0]
	s_delay_alu instid0(VALU_DEP_1) | instskip(NEXT) | instid1(VALU_DEP_1)
	v_fma_mix_f32 v11, v77, v6, v11 op_sel:[0,1,0] op_sel_hi:[1,1,0]
	v_fma_mix_f32 v11, v82, v7, v11 op_sel_hi:[1,1,0]
	s_delay_alu instid0(VALU_DEP_1) | instskip(NEXT) | instid1(VALU_DEP_1)
	v_fma_mix_f32 v11, v10, v7, v11 op_sel:[0,1,0] op_sel_hi:[1,1,0]
	v_fma_mixlo_f16 v11, v11, v19, 0 op_sel_hi:[0,1,0]
	s_delay_alu instid0(VALU_DEP_1) | instskip(SKIP_1) | instid1(VALU_DEP_1)
	v_add_f16_e32 v59, v80, v11
	v_fma_mix_f32 v11, v83, v4, 0 op_sel_hi:[1,1,0]
	v_fma_mix_f32 v4, v84, v4, v11 op_sel:[0,1,0] op_sel_hi:[1,1,0]
	s_delay_alu instid0(VALU_DEP_1) | instskip(NEXT) | instid1(VALU_DEP_1)
	v_fma_mix_f32 v4, v85, v5, v4 op_sel_hi:[1,1,0]
	v_fma_mix_f32 v4, v15, v5, v4 op_sel:[0,1,0] op_sel_hi:[1,1,0]
	s_delay_alu instid0(VALU_DEP_1) | instskip(NEXT) | instid1(VALU_DEP_1)
	;; [unrolled: 3-line block ×4, first 2 shown]
	v_fma_mixlo_f16 v4, v4, v19, 0 op_sel:[0,1,0] op_sel_hi:[0,1,0]
	v_add_f16_e32 v61, v81, v4
	v_fma_mix_f32 v4, v50, v36, 0 op_sel_hi:[1,1,0]
	s_delay_alu instid0(VALU_DEP_1) | instskip(NEXT) | instid1(VALU_DEP_1)
	v_fma_mix_f32 v4, v51, v36, v4 op_sel:[0,1,0] op_sel_hi:[1,1,0]
	v_fma_mix_f32 v4, v52, v37, v4 op_sel_hi:[1,1,0]
	s_delay_alu instid0(VALU_DEP_1) | instskip(NEXT) | instid1(VALU_DEP_1)
	v_fma_mix_f32 v4, v12, v37, v4 op_sel:[0,1,0] op_sel_hi:[1,1,0]
	;; [unrolled: 3-line block ×4, first 2 shown]
	v_fma_mixlo_f16 v4, v4, v18, 0 op_sel_hi:[0,1,0]
	s_delay_alu instid0(VALU_DEP_1) | instskip(SKIP_1) | instid1(VALU_DEP_1)
	v_add_f16_e32 v11, v46, v4
	v_fma_mix_f32 v4, v56, v36, 0 op_sel_hi:[1,1,0]
	v_fma_mix_f32 v4, v68, v36, v4 op_sel:[0,1,0] op_sel_hi:[1,1,0]
	s_delay_alu instid0(VALU_DEP_1) | instskip(NEXT) | instid1(VALU_DEP_1)
	v_fma_mix_f32 v4, v69, v37, v4 op_sel_hi:[1,1,0]
	v_fma_mix_f32 v4, v13, v37, v4 op_sel:[0,1,0] op_sel_hi:[1,1,0]
	s_delay_alu instid0(VALU_DEP_1) | instskip(NEXT) | instid1(VALU_DEP_1)
	;; [unrolled: 3-line block ×3, first 2 shown]
	v_fma_mix_f32 v4, v72, v39, v4 op_sel_hi:[1,1,0]
	v_fma_mix_f32 v4, v9, v39, v4 op_sel:[0,1,0] op_sel_hi:[1,1,0]
	v_add_nc_u64_e32 v[8:9], s[12:13], v[22:23]
	s_delay_alu instid0(VALU_DEP_2) | instskip(NEXT) | instid1(VALU_DEP_1)
	v_fma_mixlo_f16 v4, v4, v18, 0 op_sel:[0,1,0] op_sel_hi:[0,1,0]
	v_add_f16_e32 v7, v47, v4
	v_fma_mix_f32 v4, v73, v36, 0 op_sel_hi:[1,1,0]
	s_delay_alu instid0(VALU_DEP_1) | instskip(NEXT) | instid1(VALU_DEP_1)
	v_fma_mix_f32 v4, v74, v36, v4 op_sel:[0,1,0] op_sel_hi:[1,1,0]
	v_fma_mix_f32 v4, v75, v37, v4 op_sel_hi:[1,1,0]
	s_delay_alu instid0(VALU_DEP_1) | instskip(NEXT) | instid1(VALU_DEP_1)
	v_fma_mix_f32 v4, v14, v37, v4 op_sel:[0,1,0] op_sel_hi:[1,1,0]
	;; [unrolled: 3-line block ×4, first 2 shown]
	v_fma_mixlo_f16 v4, v4, v19, 0 op_sel_hi:[0,1,0]
	s_delay_alu instid0(VALU_DEP_1) | instskip(SKIP_1) | instid1(VALU_DEP_1)
	v_add_f16_e32 v5, v48, v4
	v_fma_mix_f32 v4, v83, v36, 0 op_sel_hi:[1,1,0]
	v_fma_mix_f32 v4, v84, v36, v4 op_sel:[0,1,0] op_sel_hi:[1,1,0]
	s_delay_alu instid0(VALU_DEP_1) | instskip(NEXT) | instid1(VALU_DEP_1)
	v_fma_mix_f32 v4, v85, v37, v4 op_sel_hi:[1,1,0]
	v_fma_mix_f32 v4, v15, v37, v4 op_sel:[0,1,0] op_sel_hi:[1,1,0]
	global_load_b128 v[12:15], v[8:9], off
	s_wait_xcnt 0x0
	v_add_nc_u64_e32 v[8:9], s[12:13], v[8:9]
	v_fma_mix_f32 v4, v86, v38, v4 op_sel_hi:[1,1,0]
	global_load_b128 v[68:71], v[8:9], off
	v_fma_mix_f32 v4, v87, v38, v4 op_sel:[0,1,0] op_sel_hi:[1,1,0]
	s_delay_alu instid0(VALU_DEP_1) | instskip(NEXT) | instid1(VALU_DEP_1)
	v_fma_mix_f32 v4, v88, v39, v4 op_sel_hi:[1,1,0]
	v_fma_mix_f32 v4, v89, v39, v4 op_sel:[0,1,0] op_sel_hi:[1,1,0]
	s_delay_alu instid0(VALU_DEP_1) | instskip(NEXT) | instid1(VALU_DEP_1)
	v_fma_mixlo_f16 v4, v4, v19, 0 op_sel:[0,1,0] op_sel_hi:[0,1,0]
	v_add_f16_e32 v4, v49, v4
	s_wait_loadcnt 0x1
	v_and_b32_e32 v6, 0xff, v12
	s_delay_alu instid0(VALU_DEP_1) | instskip(NEXT) | instid1(VALU_DEP_1)
	v_sub_nc_u32_e32 v6, v6, v33
	v_cvt_f32_i32_e32 v6, v6
	s_delay_alu instid0(VALU_DEP_1) | instskip(SKIP_1) | instid1(VALU_DEP_1)
	v_cvt_f16_f32_e32 v39, v6
	v_bfe_u32 v6, v12, 8, 8
	v_sub_nc_u32_e32 v6, v6, v33
	s_delay_alu instid0(VALU_DEP_1) | instskip(NEXT) | instid1(VALU_DEP_1)
	v_cvt_f32_i32_e32 v6, v6
	v_cvt_f16_f32_e32 v42, v6
	v_bfe_u32 v6, v12, 16, 8
	s_delay_alu instid0(VALU_DEP_1) | instskip(NEXT) | instid1(VALU_DEP_1)
	v_sub_nc_u32_e32 v6, v6, v33
	v_cvt_f32_i32_e32 v6, v6
	s_delay_alu instid0(VALU_DEP_1) | instskip(SKIP_1) | instid1(VALU_DEP_1)
	v_cvt_f16_f32_e32 v45, v6
	v_lshrrev_b32_e32 v6, 24, v12
	v_sub_nc_u32_e32 v6, v6, v33
	s_delay_alu instid0(VALU_DEP_1) | instskip(NEXT) | instid1(VALU_DEP_1)
	v_cvt_f32_i32_e32 v6, v6
	v_cvt_f16_f32_e32 v48, v6
	s_wait_loadcnt 0x0
	v_and_b32_e32 v6, 0xff, v68
	s_delay_alu instid0(VALU_DEP_1) | instskip(NEXT) | instid1(VALU_DEP_1)
	v_sub_nc_u32_e32 v6, v6, v33
	v_cvt_f32_i32_e32 v6, v6
	s_delay_alu instid0(VALU_DEP_1) | instskip(SKIP_1) | instid1(VALU_DEP_1)
	v_cvt_f16_f32_e32 v51, v6
	v_bfe_u32 v6, v68, 8, 8
	v_sub_nc_u32_e32 v6, v6, v33
	s_delay_alu instid0(VALU_DEP_1) | instskip(NEXT) | instid1(VALU_DEP_1)
	v_cvt_f32_i32_e32 v6, v6
	v_cvt_f16_f32_e32 v53, v6
	v_bfe_u32 v6, v68, 16, 8
	s_delay_alu instid0(VALU_DEP_1) | instskip(NEXT) | instid1(VALU_DEP_1)
	v_sub_nc_u32_e32 v6, v6, v33
	v_cvt_f32_i32_e32 v6, v6
	s_delay_alu instid0(VALU_DEP_1) | instskip(SKIP_1) | instid1(VALU_DEP_1)
	v_cvt_f16_f32_e32 v55, v6
	v_lshrrev_b32_e32 v6, 24, v68
	v_sub_nc_u32_e32 v6, v6, v33
	s_delay_alu instid0(VALU_DEP_1) | instskip(NEXT) | instid1(VALU_DEP_1)
	v_cvt_f32_i32_e32 v6, v6
	v_cvt_f16_f32_e32 v56, v6
	v_and_b32_e32 v6, 0xff, v13
	s_delay_alu instid0(VALU_DEP_1) | instskip(NEXT) | instid1(VALU_DEP_1)
	v_sub_nc_u32_e32 v6, v6, v32
	v_cvt_f32_i32_e32 v6, v6
	s_delay_alu instid0(VALU_DEP_1) | instskip(SKIP_1) | instid1(VALU_DEP_1)
	v_cvt_f16_f32_e32 v36, v6
	v_bfe_u32 v6, v13, 8, 8
	v_sub_nc_u32_e32 v6, v6, v32
	s_delay_alu instid0(VALU_DEP_1) | instskip(NEXT) | instid1(VALU_DEP_1)
	v_cvt_f32_i32_e32 v6, v6
	v_cvt_f16_f32_e32 v38, v6
	v_bfe_u32 v6, v13, 16, 8
	s_delay_alu instid0(VALU_DEP_1) | instskip(NEXT) | instid1(VALU_DEP_1)
	v_sub_nc_u32_e32 v6, v6, v32
	v_cvt_f32_i32_e32 v6, v6
	s_delay_alu instid0(VALU_DEP_1) | instskip(SKIP_1) | instid1(VALU_DEP_1)
	v_cvt_f16_f32_e32 v41, v6
	v_lshrrev_b32_e32 v6, 24, v13
	v_sub_nc_u32_e32 v6, v6, v32
	s_delay_alu instid0(VALU_DEP_1) | instskip(NEXT) | instid1(VALU_DEP_1)
	v_cvt_f32_i32_e32 v6, v6
	v_cvt_f16_f32_e32 v44, v6
	;; [unrolled: 22-line block ×3, first 2 shown]
	v_and_b32_e32 v6, 0xff, v14
	s_delay_alu instid0(VALU_DEP_1) | instskip(NEXT) | instid1(VALU_DEP_1)
	v_sub_nc_u32_e32 v6, v6, v31
	v_cvt_f32_i32_e32 v6, v6
	s_delay_alu instid0(VALU_DEP_1) | instskip(SKIP_1) | instid1(VALU_DEP_1)
	v_cvt_f16_f32_e32 v32, v6
	v_bfe_u32 v6, v14, 8, 8
	v_sub_nc_u32_e32 v6, v6, v31
	s_delay_alu instid0(VALU_DEP_1) | instskip(NEXT) | instid1(VALU_DEP_1)
	v_cvt_f32_i32_e32 v6, v6
	v_cvt_f16_f32_e32 v33, v6
	v_bfe_u32 v6, v14, 16, 8
	s_delay_alu instid0(VALU_DEP_1) | instskip(NEXT) | instid1(VALU_DEP_1)
	v_sub_nc_u32_e32 v6, v6, v31
	v_cvt_f32_i32_e32 v6, v6
	s_delay_alu instid0(VALU_DEP_1) | instskip(SKIP_2) | instid1(VALU_DEP_2)
	v_cvt_f16_f32_e32 v35, v6
	v_lshrrev_b32_e32 v6, 24, v14
	v_fma_mix_f32 v14, v39, v0, 0 op_sel_hi:[1,1,0]
	v_sub_nc_u32_e32 v6, v6, v31
	s_delay_alu instid0(VALU_DEP_2) | instskip(NEXT) | instid1(VALU_DEP_2)
	v_fma_mix_f32 v14, v42, v0, v14 op_sel:[0,1,0] op_sel_hi:[1,1,0]
	v_cvt_f32_i32_e32 v6, v6
	s_delay_alu instid0(VALU_DEP_2) | instskip(NEXT) | instid1(VALU_DEP_2)
	v_fma_mix_f32 v14, v45, v1, v14 op_sel_hi:[1,1,0]
	v_cvt_f16_f32_e32 v37, v6
	v_and_b32_e32 v6, 0xff, v70
	s_delay_alu instid0(VALU_DEP_3) | instskip(NEXT) | instid1(VALU_DEP_2)
	v_fma_mix_f32 v14, v48, v1, v14 op_sel:[0,1,0] op_sel_hi:[1,1,0]
	v_sub_nc_u32_e32 v6, v6, v31
	s_delay_alu instid0(VALU_DEP_2) | instskip(NEXT) | instid1(VALU_DEP_2)
	v_fma_mix_f32 v14, v51, v2, v14 op_sel_hi:[1,1,0]
	v_cvt_f32_i32_e32 v6, v6
	s_delay_alu instid0(VALU_DEP_2) | instskip(NEXT) | instid1(VALU_DEP_2)
	v_fma_mix_f32 v14, v53, v2, v14 op_sel:[0,1,0] op_sel_hi:[1,1,0]
	v_cvt_f16_f32_e32 v40, v6
	v_bfe_u32 v6, v70, 8, 8
	s_delay_alu instid0(VALU_DEP_3) | instskip(NEXT) | instid1(VALU_DEP_2)
	v_fma_mix_f32 v14, v55, v3, v14 op_sel_hi:[1,1,0]
	v_sub_nc_u32_e32 v6, v6, v31
	s_delay_alu instid0(VALU_DEP_2) | instskip(NEXT) | instid1(VALU_DEP_2)
	v_fma_mix_f32 v14, v56, v3, v14 op_sel:[0,1,0] op_sel_hi:[1,1,0]
	v_cvt_f32_i32_e32 v6, v6
	s_delay_alu instid0(VALU_DEP_2) | instskip(NEXT) | instid1(VALU_DEP_2)
	v_fma_mixlo_f16 v14, v14, v18, 0 op_sel_hi:[0,1,0]
	v_cvt_f16_f32_e32 v43, v6
	v_bfe_u32 v6, v70, 16, 8
	s_delay_alu instid0(VALU_DEP_3) | instskip(NEXT) | instid1(VALU_DEP_2)
	v_add_f16_e32 v14, v90, v14
	v_sub_nc_u32_e32 v6, v6, v31
	s_delay_alu instid0(VALU_DEP_1) | instskip(NEXT) | instid1(VALU_DEP_1)
	v_cvt_f32_i32_e32 v6, v6
	v_cvt_f16_f32_e32 v46, v6
	v_lshrrev_b32_e32 v6, 24, v70
	s_delay_alu instid0(VALU_DEP_1) | instskip(NEXT) | instid1(VALU_DEP_1)
	v_sub_nc_u32_e32 v6, v6, v31
	v_cvt_f32_i32_e32 v6, v6
	s_delay_alu instid0(VALU_DEP_1) | instskip(SKIP_1) | instid1(VALU_DEP_1)
	v_cvt_f16_f32_e32 v49, v6
	v_and_b32_e32 v6, 0xff, v15
	v_sub_nc_u32_e32 v6, v6, v30
	s_delay_alu instid0(VALU_DEP_1) | instskip(NEXT) | instid1(VALU_DEP_1)
	v_cvt_f32_i32_e32 v6, v6
	v_cvt_f16_f32_e32 v31, v6
	v_bfe_u32 v6, v15, 8, 8
	s_delay_alu instid0(VALU_DEP_2) | instskip(NEXT) | instid1(VALU_DEP_2)
	v_fma_mix_f32 v22, v31, v0, 0 op_sel_hi:[1,1,0]
	v_sub_nc_u32_e32 v6, v6, v30
	s_delay_alu instid0(VALU_DEP_1) | instskip(NEXT) | instid1(VALU_DEP_1)
	v_cvt_f32_i32_e32 v6, v6
	v_cvt_f16_f32_e32 v23, v6
	v_bfe_u32 v6, v15, 16, 8
	s_delay_alu instid0(VALU_DEP_1) | instskip(NEXT) | instid1(VALU_DEP_1)
	v_sub_nc_u32_e32 v6, v6, v30
	v_cvt_f32_i32_e32 v6, v6
	s_delay_alu instid0(VALU_DEP_1) | instskip(SKIP_2) | instid1(VALU_DEP_2)
	v_cvt_f16_f32_e32 v13, v6
	v_lshrrev_b32_e32 v6, 24, v15
	v_fma_mix_f32 v15, v36, v0, 0 op_sel_hi:[1,1,0]
	v_sub_nc_u32_e32 v6, v6, v30
	s_delay_alu instid0(VALU_DEP_2) | instskip(NEXT) | instid1(VALU_DEP_2)
	v_fma_mix_f32 v15, v38, v0, v15 op_sel:[0,1,0] op_sel_hi:[1,1,0]
	v_cvt_f32_i32_e32 v6, v6
	s_delay_alu instid0(VALU_DEP_2) | instskip(NEXT) | instid1(VALU_DEP_2)
	v_fma_mix_f32 v15, v41, v1, v15 op_sel_hi:[1,1,0]
	v_cvt_f16_f32_e32 v12, v6
	s_delay_alu instid0(VALU_DEP_2) | instskip(SKIP_1) | instid1(VALU_DEP_2)
	v_fma_mix_f32 v15, v44, v1, v15 op_sel:[0,1,0] op_sel_hi:[1,1,0]
	v_and_b32_e32 v6, 0xff, v71
	v_fma_mix_f32 v15, v47, v2, v15 op_sel_hi:[1,1,0]
	s_delay_alu instid0(VALU_DEP_2) | instskip(NEXT) | instid1(VALU_DEP_2)
	v_sub_nc_u32_e32 v6, v6, v30
	v_fma_mix_f32 v15, v50, v2, v15 op_sel:[0,1,0] op_sel_hi:[1,1,0]
	s_delay_alu instid0(VALU_DEP_2) | instskip(NEXT) | instid1(VALU_DEP_2)
	v_cvt_f32_i32_e32 v6, v6
	v_fma_mix_f32 v15, v52, v3, v15 op_sel_hi:[1,1,0]
	s_delay_alu instid0(VALU_DEP_2) | instskip(SKIP_1) | instid1(VALU_DEP_3)
	v_cvt_f16_f32_e32 v10, v6
	v_bfe_u32 v6, v71, 8, 8
	v_fma_mix_f32 v15, v54, v3, v15 op_sel:[0,1,0] op_sel_hi:[1,1,0]
	s_delay_alu instid0(VALU_DEP_2) | instskip(NEXT) | instid1(VALU_DEP_2)
	v_sub_nc_u32_e32 v6, v6, v30
	v_fma_mixlo_f16 v15, v15, v18, 0 op_sel:[0,1,0] op_sel_hi:[0,1,0]
	s_delay_alu instid0(VALU_DEP_2) | instskip(NEXT) | instid1(VALU_DEP_2)
	v_cvt_f32_i32_e32 v6, v6
	v_add_f16_e32 v15, v91, v15
	s_delay_alu instid0(VALU_DEP_2) | instskip(SKIP_1) | instid1(VALU_DEP_3)
	v_cvt_f16_f32_e32 v9, v6
	v_bfe_u32 v6, v71, 16, 8
	v_pack_b32_f16 v15, v14, v15
	v_fma_mix_f32 v14, v32, v0, 0 op_sel_hi:[1,1,0]
	s_delay_alu instid0(VALU_DEP_3) | instskip(NEXT) | instid1(VALU_DEP_2)
	v_sub_nc_u32_e32 v6, v6, v30
	v_fma_mix_f32 v14, v33, v0, v14 op_sel:[0,1,0] op_sel_hi:[1,1,0]
	v_fma_mix_f32 v0, v23, v0, v22 op_sel:[0,1,0] op_sel_hi:[1,1,0]
	s_delay_alu instid0(VALU_DEP_3) | instskip(NEXT) | instid1(VALU_DEP_3)
	v_cvt_f32_i32_e32 v6, v6
	v_fma_mix_f32 v14, v35, v1, v14 op_sel_hi:[1,1,0]
	s_delay_alu instid0(VALU_DEP_3) | instskip(NEXT) | instid1(VALU_DEP_3)
	v_fma_mix_f32 v0, v13, v1, v0 op_sel_hi:[1,1,0]
	v_cvt_f16_f32_e32 v8, v6
	v_lshrrev_b32_e32 v6, 24, v71
	s_delay_alu instid0(VALU_DEP_4) | instskip(NEXT) | instid1(VALU_DEP_4)
	v_fma_mix_f32 v14, v37, v1, v14 op_sel:[0,1,0] op_sel_hi:[1,1,0]
	v_fma_mix_f32 v0, v12, v1, v0 op_sel:[0,1,0] op_sel_hi:[1,1,0]
	s_delay_alu instid0(VALU_DEP_3) | instskip(NEXT) | instid1(VALU_DEP_3)
	v_sub_nc_u32_e32 v6, v6, v30
	v_fma_mix_f32 v14, v40, v2, v14 op_sel_hi:[1,1,0]
	s_delay_alu instid0(VALU_DEP_3) | instskip(NEXT) | instid1(VALU_DEP_3)
	v_fma_mix_f32 v0, v10, v2, v0 op_sel_hi:[1,1,0]
	v_cvt_f32_i32_e32 v6, v6
	s_delay_alu instid0(VALU_DEP_3) | instskip(NEXT) | instid1(VALU_DEP_3)
	v_fma_mix_f32 v14, v43, v2, v14 op_sel:[0,1,0] op_sel_hi:[1,1,0]
	v_fma_mix_f32 v0, v9, v2, v0 op_sel:[0,1,0] op_sel_hi:[1,1,0]
	s_delay_alu instid0(VALU_DEP_3) | instskip(NEXT) | instid1(VALU_DEP_3)
	v_cvt_f16_f32_e32 v6, v6
	v_fma_mix_f32 v14, v46, v3, v14 op_sel_hi:[1,1,0]
	s_delay_alu instid0(VALU_DEP_3) | instskip(NEXT) | instid1(VALU_DEP_2)
	v_fma_mix_f32 v0, v8, v3, v0 op_sel_hi:[1,1,0]
	v_fma_mix_f32 v14, v49, v3, v14 op_sel:[0,1,0] op_sel_hi:[1,1,0]
	s_delay_alu instid0(VALU_DEP_2) | instskip(NEXT) | instid1(VALU_DEP_2)
	v_fma_mix_f32 v0, v6, v3, v0 op_sel:[0,1,0] op_sel_hi:[1,1,0]
	v_fma_mixlo_f16 v14, v14, v19, 0 op_sel_hi:[0,1,0]
	s_delay_alu instid0(VALU_DEP_2) | instskip(NEXT) | instid1(VALU_DEP_2)
	v_fma_mixlo_f16 v0, v0, v19, 0 op_sel:[0,1,0] op_sel_hi:[0,1,0]
	v_add_f16_e32 v14, v92, v14
	s_delay_alu instid0(VALU_DEP_2) | instskip(NEXT) | instid1(VALU_DEP_1)
	v_add_f16_e32 v0, v93, v0
	v_pack_b32_f16 v14, v14, v0
	ds_load_b128 v[0:3], v29 offset:304
	s_wait_dscnt 0x0
	v_fma_mix_f32 v22, v39, v0, 0 op_sel_hi:[1,1,0]
	v_fma_mix_f32 v30, v36, v0, 0 op_sel_hi:[1,1,0]
	s_delay_alu instid0(VALU_DEP_2) | instskip(NEXT) | instid1(VALU_DEP_2)
	v_fma_mix_f32 v22, v42, v0, v22 op_sel:[0,1,0] op_sel_hi:[1,1,0]
	v_fma_mix_f32 v30, v38, v0, v30 op_sel:[0,1,0] op_sel_hi:[1,1,0]
	s_delay_alu instid0(VALU_DEP_2) | instskip(NEXT) | instid1(VALU_DEP_2)
	v_fma_mix_f32 v22, v45, v1, v22 op_sel_hi:[1,1,0]
	v_fma_mix_f32 v30, v41, v1, v30 op_sel_hi:[1,1,0]
	s_delay_alu instid0(VALU_DEP_2) | instskip(NEXT) | instid1(VALU_DEP_2)
	v_fma_mix_f32 v22, v48, v1, v22 op_sel:[0,1,0] op_sel_hi:[1,1,0]
	v_fma_mix_f32 v30, v44, v1, v30 op_sel:[0,1,0] op_sel_hi:[1,1,0]
	s_delay_alu instid0(VALU_DEP_2) | instskip(NEXT) | instid1(VALU_DEP_2)
	;; [unrolled: 6-line block ×4, first 2 shown]
	v_fma_mixlo_f16 v22, v22, v18, 0 op_sel_hi:[0,1,0]
	v_fma_mixlo_f16 v30, v30, v18, 0 op_sel:[0,1,0] op_sel_hi:[0,1,0]
	s_delay_alu instid0(VALU_DEP_2) | instskip(NEXT) | instid1(VALU_DEP_2)
	v_add_f16_e32 v22, v34, v22
	v_add_f16_e32 v30, v67, v30
	s_delay_alu instid0(VALU_DEP_1) | instskip(SKIP_2) | instid1(VALU_DEP_2)
	v_pack_b32_f16 v34, v22, v30
	v_fma_mix_f32 v22, v32, v0, 0 op_sel_hi:[1,1,0]
	v_fma_mix_f32 v30, v31, v0, 0 op_sel_hi:[1,1,0]
	v_fma_mix_f32 v22, v33, v0, v22 op_sel:[0,1,0] op_sel_hi:[1,1,0]
	s_delay_alu instid0(VALU_DEP_2) | instskip(NEXT) | instid1(VALU_DEP_2)
	v_fma_mix_f32 v0, v23, v0, v30 op_sel:[0,1,0] op_sel_hi:[1,1,0]
	v_fma_mix_f32 v22, v35, v1, v22 op_sel_hi:[1,1,0]
	s_delay_alu instid0(VALU_DEP_2) | instskip(NEXT) | instid1(VALU_DEP_2)
	v_fma_mix_f32 v0, v13, v1, v0 op_sel_hi:[1,1,0]
	v_fma_mix_f32 v22, v37, v1, v22 op_sel:[0,1,0] op_sel_hi:[1,1,0]
	s_delay_alu instid0(VALU_DEP_2) | instskip(NEXT) | instid1(VALU_DEP_2)
	v_fma_mix_f32 v0, v12, v1, v0 op_sel:[0,1,0] op_sel_hi:[1,1,0]
	v_fma_mix_f32 v22, v40, v2, v22 op_sel_hi:[1,1,0]
	s_delay_alu instid0(VALU_DEP_2) | instskip(NEXT) | instid1(VALU_DEP_2)
	;; [unrolled: 6-line block ×3, first 2 shown]
	v_fma_mix_f32 v0, v8, v3, v0 op_sel_hi:[1,1,0]
	v_fma_mix_f32 v22, v49, v3, v22 op_sel:[0,1,0] op_sel_hi:[1,1,0]
	s_delay_alu instid0(VALU_DEP_2) | instskip(NEXT) | instid1(VALU_DEP_2)
	v_fma_mix_f32 v0, v6, v3, v0 op_sel:[0,1,0] op_sel_hi:[1,1,0]
	v_fma_mixlo_f16 v22, v22, v19, 0 op_sel_hi:[0,1,0]
	s_delay_alu instid0(VALU_DEP_2) | instskip(NEXT) | instid1(VALU_DEP_2)
	v_fma_mixlo_f16 v0, v0, v19, 0 op_sel:[0,1,0] op_sel_hi:[0,1,0]
	v_add_f16_e32 v22, v65, v22
	s_delay_alu instid0(VALU_DEP_2) | instskip(NEXT) | instid1(VALU_DEP_1)
	v_add_f16_e32 v0, v66, v0
	v_pack_b32_f16 v22, v22, v0
	ds_load_b128 v[0:3], v29 offset:560
	s_wait_dscnt 0x0
	v_fma_mix_f32 v30, v39, v0, 0 op_sel_hi:[1,1,0]
	s_delay_alu instid0(VALU_DEP_1) | instskip(NEXT) | instid1(VALU_DEP_1)
	v_fma_mix_f32 v30, v42, v0, v30 op_sel:[0,1,0] op_sel_hi:[1,1,0]
	v_fma_mix_f32 v30, v45, v1, v30 op_sel_hi:[1,1,0]
	s_delay_alu instid0(VALU_DEP_1) | instskip(NEXT) | instid1(VALU_DEP_1)
	v_fma_mix_f32 v30, v48, v1, v30 op_sel:[0,1,0] op_sel_hi:[1,1,0]
	v_fma_mix_f32 v30, v51, v2, v30 op_sel_hi:[1,1,0]
	s_delay_alu instid0(VALU_DEP_1) | instskip(NEXT) | instid1(VALU_DEP_1)
	v_fma_mix_f32 v30, v53, v2, v30 op_sel:[0,1,0] op_sel_hi:[1,1,0]
	v_fma_mix_f32 v30, v55, v3, v30 op_sel_hi:[1,1,0]
	s_delay_alu instid0(VALU_DEP_1) | instskip(NEXT) | instid1(VALU_DEP_1)
	v_fma_mix_f32 v30, v56, v3, v30 op_sel:[0,1,0] op_sel_hi:[1,1,0]
	v_fma_mixlo_f16 v30, v30, v18, 0 op_sel_hi:[0,1,0]
	s_delay_alu instid0(VALU_DEP_1) | instskip(SKIP_1) | instid1(VALU_DEP_1)
	v_add_f16_e32 v30, v58, v30
	v_fma_mix_f32 v58, v36, v0, 0 op_sel_hi:[1,1,0]
	v_fma_mix_f32 v58, v38, v0, v58 op_sel:[0,1,0] op_sel_hi:[1,1,0]
	s_delay_alu instid0(VALU_DEP_1) | instskip(NEXT) | instid1(VALU_DEP_1)
	v_fma_mix_f32 v58, v41, v1, v58 op_sel_hi:[1,1,0]
	v_fma_mix_f32 v58, v44, v1, v58 op_sel:[0,1,0] op_sel_hi:[1,1,0]
	s_delay_alu instid0(VALU_DEP_1) | instskip(NEXT) | instid1(VALU_DEP_1)
	v_fma_mix_f32 v58, v47, v2, v58 op_sel_hi:[1,1,0]
	v_fma_mix_f32 v58, v50, v2, v58 op_sel:[0,1,0] op_sel_hi:[1,1,0]
	s_delay_alu instid0(VALU_DEP_1) | instskip(NEXT) | instid1(VALU_DEP_1)
	v_fma_mix_f32 v58, v52, v3, v58 op_sel_hi:[1,1,0]
	v_fma_mix_f32 v58, v54, v3, v58 op_sel:[0,1,0] op_sel_hi:[1,1,0]
	s_delay_alu instid0(VALU_DEP_1) | instskip(NEXT) | instid1(VALU_DEP_1)
	v_fma_mixlo_f16 v58, v58, v18, 0 op_sel:[0,1,0] op_sel_hi:[0,1,0]
	v_add_f16_e32 v58, v64, v58
	s_delay_alu instid0(VALU_DEP_1) | instskip(SKIP_1) | instid1(VALU_DEP_1)
	v_pack_b32_f16 v58, v30, v58
	v_fma_mix_f32 v30, v32, v0, 0 op_sel_hi:[1,1,0]
	v_fma_mix_f32 v30, v33, v0, v30 op_sel:[0,1,0] op_sel_hi:[1,1,0]
	s_delay_alu instid0(VALU_DEP_1) | instskip(NEXT) | instid1(VALU_DEP_1)
	v_fma_mix_f32 v30, v35, v1, v30 op_sel_hi:[1,1,0]
	v_fma_mix_f32 v30, v37, v1, v30 op_sel:[0,1,0] op_sel_hi:[1,1,0]
	s_delay_alu instid0(VALU_DEP_1) | instskip(NEXT) | instid1(VALU_DEP_1)
	v_fma_mix_f32 v30, v40, v2, v30 op_sel_hi:[1,1,0]
	v_fma_mix_f32 v30, v43, v2, v30 op_sel:[0,1,0] op_sel_hi:[1,1,0]
	s_delay_alu instid0(VALU_DEP_1) | instskip(NEXT) | instid1(VALU_DEP_1)
	v_fma_mix_f32 v30, v46, v3, v30 op_sel_hi:[1,1,0]
	v_fma_mix_f32 v30, v49, v3, v30 op_sel:[0,1,0] op_sel_hi:[1,1,0]
	s_delay_alu instid0(VALU_DEP_1) | instskip(NEXT) | instid1(VALU_DEP_1)
	v_fma_mixlo_f16 v30, v30, v19, 0 op_sel_hi:[0,1,0]
	v_add_f16_e32 v30, v57, v30
	v_fma_mix_f32 v57, v31, v0, 0 op_sel_hi:[1,1,0]
	s_delay_alu instid0(VALU_DEP_1) | instskip(NEXT) | instid1(VALU_DEP_1)
	v_fma_mix_f32 v0, v23, v0, v57 op_sel:[0,1,0] op_sel_hi:[1,1,0]
	v_fma_mix_f32 v0, v13, v1, v0 op_sel_hi:[1,1,0]
	s_delay_alu instid0(VALU_DEP_1) | instskip(NEXT) | instid1(VALU_DEP_1)
	v_fma_mix_f32 v0, v12, v1, v0 op_sel:[0,1,0] op_sel_hi:[1,1,0]
	v_fma_mix_f32 v0, v10, v2, v0 op_sel_hi:[1,1,0]
	s_delay_alu instid0(VALU_DEP_1) | instskip(NEXT) | instid1(VALU_DEP_1)
	v_fma_mix_f32 v0, v9, v2, v0 op_sel:[0,1,0] op_sel_hi:[1,1,0]
	v_fma_mix_f32 v0, v8, v3, v0 op_sel_hi:[1,1,0]
	s_delay_alu instid0(VALU_DEP_1) | instskip(NEXT) | instid1(VALU_DEP_1)
	v_fma_mix_f32 v0, v6, v3, v0 op_sel:[0,1,0] op_sel_hi:[1,1,0]
	v_fma_mixlo_f16 v0, v0, v19, 0 op_sel:[0,1,0] op_sel_hi:[0,1,0]
	s_delay_alu instid0(VALU_DEP_1) | instskip(NEXT) | instid1(VALU_DEP_1)
	v_add_f16_e32 v0, v63, v0
	v_pack_b32_f16 v57, v30, v0
	ds_load_b128 v[0:3], v29 offset:816
	s_wait_dscnt 0x0
	v_fma_mix_f32 v30, v39, v0, 0 op_sel_hi:[1,1,0]
	s_delay_alu instid0(VALU_DEP_1) | instskip(NEXT) | instid1(VALU_DEP_1)
	v_fma_mix_f32 v30, v42, v0, v30 op_sel:[0,1,0] op_sel_hi:[1,1,0]
	v_fma_mix_f32 v30, v45, v1, v30 op_sel_hi:[1,1,0]
	s_delay_alu instid0(VALU_DEP_1) | instskip(NEXT) | instid1(VALU_DEP_1)
	v_fma_mix_f32 v30, v48, v1, v30 op_sel:[0,1,0] op_sel_hi:[1,1,0]
	v_fma_mix_f32 v30, v51, v2, v30 op_sel_hi:[1,1,0]
	s_delay_alu instid0(VALU_DEP_1) | instskip(NEXT) | instid1(VALU_DEP_1)
	v_fma_mix_f32 v30, v53, v2, v30 op_sel:[0,1,0] op_sel_hi:[1,1,0]
	v_fma_mix_f32 v30, v55, v3, v30 op_sel_hi:[1,1,0]
	s_delay_alu instid0(VALU_DEP_1) | instskip(NEXT) | instid1(VALU_DEP_1)
	v_fma_mix_f32 v30, v56, v3, v30 op_sel:[0,1,0] op_sel_hi:[1,1,0]
	v_fma_mixlo_f16 v30, v30, v18, 0 op_sel_hi:[0,1,0]
	s_delay_alu instid0(VALU_DEP_1) | instskip(SKIP_1) | instid1(VALU_DEP_1)
	v_add_f16_e32 v30, v60, v30
	v_fma_mix_f32 v60, v36, v0, 0 op_sel_hi:[1,1,0]
	v_fma_mix_f32 v60, v38, v0, v60 op_sel:[0,1,0] op_sel_hi:[1,1,0]
	s_delay_alu instid0(VALU_DEP_1) | instskip(NEXT) | instid1(VALU_DEP_1)
	v_fma_mix_f32 v60, v41, v1, v60 op_sel_hi:[1,1,0]
	v_fma_mix_f32 v60, v44, v1, v60 op_sel:[0,1,0] op_sel_hi:[1,1,0]
	s_delay_alu instid0(VALU_DEP_1) | instskip(NEXT) | instid1(VALU_DEP_1)
	v_fma_mix_f32 v60, v47, v2, v60 op_sel_hi:[1,1,0]
	v_fma_mix_f32 v60, v50, v2, v60 op_sel:[0,1,0] op_sel_hi:[1,1,0]
	s_delay_alu instid0(VALU_DEP_1) | instskip(NEXT) | instid1(VALU_DEP_1)
	v_fma_mix_f32 v60, v52, v3, v60 op_sel_hi:[1,1,0]
	v_fma_mix_f32 v60, v54, v3, v60 op_sel:[0,1,0] op_sel_hi:[1,1,0]
	s_delay_alu instid0(VALU_DEP_1) | instskip(NEXT) | instid1(VALU_DEP_1)
	v_fma_mixlo_f16 v60, v60, v18, 0 op_sel:[0,1,0] op_sel_hi:[0,1,0]
	v_add_f16_e32 v60, v62, v60
	s_delay_alu instid0(VALU_DEP_1) | instskip(SKIP_1) | instid1(VALU_DEP_1)
	v_pack_b32_f16 v60, v30, v60
	v_fma_mix_f32 v30, v32, v0, 0 op_sel_hi:[1,1,0]
	v_fma_mix_f32 v30, v33, v0, v30 op_sel:[0,1,0] op_sel_hi:[1,1,0]
	s_delay_alu instid0(VALU_DEP_1) | instskip(NEXT) | instid1(VALU_DEP_1)
	v_fma_mix_f32 v30, v35, v1, v30 op_sel_hi:[1,1,0]
	v_fma_mix_f32 v30, v37, v1, v30 op_sel:[0,1,0] op_sel_hi:[1,1,0]
	s_delay_alu instid0(VALU_DEP_1) | instskip(NEXT) | instid1(VALU_DEP_1)
	v_fma_mix_f32 v30, v40, v2, v30 op_sel_hi:[1,1,0]
	v_fma_mix_f32 v30, v43, v2, v30 op_sel:[0,1,0] op_sel_hi:[1,1,0]
	s_delay_alu instid0(VALU_DEP_1) | instskip(NEXT) | instid1(VALU_DEP_1)
	v_fma_mix_f32 v30, v46, v3, v30 op_sel_hi:[1,1,0]
	v_fma_mix_f32 v30, v49, v3, v30 op_sel:[0,1,0] op_sel_hi:[1,1,0]
	s_delay_alu instid0(VALU_DEP_1) | instskip(NEXT) | instid1(VALU_DEP_1)
	v_fma_mixlo_f16 v30, v30, v19, 0 op_sel_hi:[0,1,0]
	v_add_f16_e32 v30, v59, v30
	v_fma_mix_f32 v59, v31, v0, 0 op_sel_hi:[1,1,0]
	s_delay_alu instid0(VALU_DEP_1) | instskip(NEXT) | instid1(VALU_DEP_1)
	v_fma_mix_f32 v0, v23, v0, v59 op_sel:[0,1,0] op_sel_hi:[1,1,0]
	v_fma_mix_f32 v0, v13, v1, v0 op_sel_hi:[1,1,0]
	s_delay_alu instid0(VALU_DEP_1) | instskip(NEXT) | instid1(VALU_DEP_1)
	v_fma_mix_f32 v0, v12, v1, v0 op_sel:[0,1,0] op_sel_hi:[1,1,0]
	v_fma_mix_f32 v0, v10, v2, v0 op_sel_hi:[1,1,0]
	s_delay_alu instid0(VALU_DEP_1) | instskip(NEXT) | instid1(VALU_DEP_1)
	v_fma_mix_f32 v0, v9, v2, v0 op_sel:[0,1,0] op_sel_hi:[1,1,0]
	v_fma_mix_f32 v0, v8, v3, v0 op_sel_hi:[1,1,0]
	s_delay_alu instid0(VALU_DEP_1) | instskip(NEXT) | instid1(VALU_DEP_1)
	v_fma_mix_f32 v0, v6, v3, v0 op_sel:[0,1,0] op_sel_hi:[1,1,0]
	v_fma_mixlo_f16 v0, v0, v19, 0 op_sel:[0,1,0] op_sel_hi:[0,1,0]
	s_delay_alu instid0(VALU_DEP_1) | instskip(NEXT) | instid1(VALU_DEP_1)
	;; [unrolled: 63-line block ×3, first 2 shown]
	v_add_f16_e32 v0, v4, v0
	v_pack_b32_f16 v23, v5, v0
	s_cbranch_scc1 .LBB34_18
.LBB34_16:                              ; =>This Inner Loop Header: Depth=1
	s_cmp_lg_u32 s15, s18
	s_cbranch_scc1 .LBB34_15
; %bb.17:                               ;   in Loop: Header=BB34_16 Depth=1
	s_add_co_i32 s17, s17, 1
	s_add_co_i32 s18, s18, s0
	s_mul_i32 s5, s17, s4
	s_delay_alu instid0(SALU_CYCLE_1) | instskip(SKIP_3) | instid1(SALU_CYCLE_1)
	s_ashr_i32 s19, s5, 31
	s_wait_xcnt 0x0
	v_add_nc_u32_e32 v0, s5, v16
	s_lshr_b32 s19, s19, 30
	s_add_co_i32 s19, s5, s19
	s_delay_alu instid0(SALU_CYCLE_1) | instskip(NEXT) | instid1(SALU_CYCLE_1)
	s_ashr_i32 s5, s19, 2
	v_add_nc_u32_e32 v2, s5, v24
	global_load_b32 v2, v2, s[2:3] scale_offset
	s_wait_loadcnt 0x0
	v_dual_lshrrev_b32 v28, 24, v2 :: v_dual_ashrrev_i32 v1, 31, v0
	v_and_b32_e32 v17, 0xff, v2
	v_bfe_u32 v26, v2, 8, 8
	v_bfe_u32 v27, v2, 16, 8
	s_delay_alu instid0(VALU_DEP_4)
	v_lshl_add_u64 v[0:1], v[0:1], 1, s[8:9]
	global_load_b64 v[18:19], v[0:1], off
	s_branch .LBB34_15
.LBB34_18:
	v_mad_u32 v0, s14, s4, v16
	s_mov_b32 s0, 0
	s_delay_alu instid0(VALU_DEP_1) | instskip(SKIP_1) | instid1(VALU_DEP_1)
	v_ashrrev_i32_e32 v1, 31, v0
	s_wait_kmcnt 0x0
	v_lshl_add_u64 v[2:3], v[0:1], 1, s[10:11]
	global_load_b32 v5, v[2:3], off
.LBB34_19:                              ; =>This Inner Loop Header: Depth=1
	s_wait_loadcnt 0x0
	v_pk_add_f16 v4, v15, v5
	global_atomic_cmpswap_b32 v1, v[2:3], v[4:5], off th:TH_ATOMIC_RETURN scope:SCOPE_DEV
	s_wait_loadcnt 0x0
	v_cmp_eq_u32_e32 vcc_lo, v5, v1
	v_mov_b32_e32 v5, v1
	s_or_b32 s0, vcc_lo, s0
	s_delay_alu instid0(SALU_CYCLE_1)
	s_and_not1_b32 exec_lo, exec_lo, s0
	s_cbranch_execnz .LBB34_19
; %bb.20:
	s_or_b32 exec_lo, exec_lo, s0
	global_load_b32 v5, v[2:3], off offset:4
	s_mov_b32 s0, 0
.LBB34_21:                              ; =>This Inner Loop Header: Depth=1
	s_wait_loadcnt 0x0
	v_pk_add_f16 v4, v14, v5
	global_atomic_cmpswap_b32 v1, v[2:3], v[4:5], off offset:4 th:TH_ATOMIC_RETURN scope:SCOPE_DEV
	s_wait_loadcnt 0x0
	v_cmp_eq_u32_e32 vcc_lo, v5, v1
	v_mov_b32_e32 v5, v1
	s_or_b32 s0, vcc_lo, s0
	s_delay_alu instid0(SALU_CYCLE_1)
	s_and_not1_b32 exec_lo, exec_lo, s0
	s_cbranch_execnz .LBB34_21
; %bb.22:
	s_or_b32 exec_lo, exec_lo, s0
	v_add_nc_u32_e32 v0, s4, v0
	s_mov_b32 s0, 0
	s_delay_alu instid0(VALU_DEP_1) | instskip(NEXT) | instid1(VALU_DEP_1)
	v_ashrrev_i32_e32 v1, 31, v0
	v_lshl_add_u64 v[2:3], v[0:1], 1, s[10:11]
	global_load_b32 v5, v[2:3], off
.LBB34_23:                              ; =>This Inner Loop Header: Depth=1
	s_wait_loadcnt 0x0
	v_pk_add_f16 v4, v34, v5
	global_atomic_cmpswap_b32 v1, v[2:3], v[4:5], off th:TH_ATOMIC_RETURN scope:SCOPE_DEV
	s_wait_loadcnt 0x0
	v_cmp_eq_u32_e32 vcc_lo, v5, v1
	v_mov_b32_e32 v5, v1
	s_or_b32 s0, vcc_lo, s0
	s_delay_alu instid0(SALU_CYCLE_1)
	s_and_not1_b32 exec_lo, exec_lo, s0
	s_cbranch_execnz .LBB34_23
; %bb.24:
	s_or_b32 exec_lo, exec_lo, s0
	global_load_b32 v5, v[2:3], off offset:4
	s_mov_b32 s0, 0
.LBB34_25:                              ; =>This Inner Loop Header: Depth=1
	s_wait_loadcnt 0x0
	v_pk_add_f16 v4, v22, v5
	global_atomic_cmpswap_b32 v1, v[2:3], v[4:5], off offset:4 th:TH_ATOMIC_RETURN scope:SCOPE_DEV
	s_wait_loadcnt 0x0
	v_cmp_eq_u32_e32 vcc_lo, v5, v1
	v_mov_b32_e32 v5, v1
	s_or_b32 s0, vcc_lo, s0
	s_delay_alu instid0(SALU_CYCLE_1)
	s_and_not1_b32 exec_lo, exec_lo, s0
	s_cbranch_execnz .LBB34_25
; %bb.26:
	s_or_b32 exec_lo, exec_lo, s0
	v_add_nc_u32_e32 v0, s4, v0
	s_mov_b32 s0, 0
	s_delay_alu instid0(VALU_DEP_1) | instskip(NEXT) | instid1(VALU_DEP_1)
	v_ashrrev_i32_e32 v1, 31, v0
	;; [unrolled: 34-line block ×4, first 2 shown]
	v_lshl_add_u64 v[0:1], v[0:1], 1, s[10:11]
	global_load_b32 v3, v[0:1], off
.LBB34_35:                              ; =>This Inner Loop Header: Depth=1
	s_wait_loadcnt 0x0
	v_pk_add_f16 v2, v36, v3
	global_atomic_cmpswap_b32 v2, v[0:1], v[2:3], off th:TH_ATOMIC_RETURN scope:SCOPE_DEV
	s_wait_loadcnt 0x0
	v_cmp_eq_u32_e32 vcc_lo, v3, v2
	v_mov_b32_e32 v3, v2
	s_or_b32 s0, vcc_lo, s0
	s_delay_alu instid0(SALU_CYCLE_1)
	s_and_not1_b32 exec_lo, exec_lo, s0
	s_cbranch_execnz .LBB34_35
; %bb.36:
	s_or_b32 exec_lo, exec_lo, s0
	global_load_b32 v3, v[0:1], off offset:4
	s_mov_b32 s0, 0
.LBB34_37:                              ; =>This Inner Loop Header: Depth=1
	s_wait_loadcnt 0x0
	v_pk_add_f16 v2, v23, v3
	global_atomic_cmpswap_b32 v2, v[0:1], v[2:3], off offset:4 th:TH_ATOMIC_RETURN scope:SCOPE_DEV
	s_wait_loadcnt 0x0
	v_cmp_eq_u32_e32 vcc_lo, v3, v2
	v_mov_b32_e32 v3, v2
	s_or_b32 s0, vcc_lo, s0
	s_delay_alu instid0(SALU_CYCLE_1)
	s_and_not1_b32 exec_lo, exec_lo, s0
	s_cbranch_execnz .LBB34_37
.LBB34_38:
	s_endpgm
	.section	.rodata,"a",@progbits
	.p2align	6, 0x0
	.amdhsa_kernel _ZN4vllm4gptq33gemm_half_q_half_gptq_8bit_kernelILb1ELi5EEEvPK6__halfPKjS6_S4_PS2_iiiibPKi
		.amdhsa_group_segment_fixed_size 1280
		.amdhsa_private_segment_fixed_size 0
		.amdhsa_kernarg_size 72
		.amdhsa_user_sgpr_count 2
		.amdhsa_user_sgpr_dispatch_ptr 0
		.amdhsa_user_sgpr_queue_ptr 0
		.amdhsa_user_sgpr_kernarg_segment_ptr 1
		.amdhsa_user_sgpr_dispatch_id 0
		.amdhsa_user_sgpr_kernarg_preload_length 0
		.amdhsa_user_sgpr_kernarg_preload_offset 0
		.amdhsa_user_sgpr_private_segment_size 0
		.amdhsa_wavefront_size32 1
		.amdhsa_uses_dynamic_stack 0
		.amdhsa_enable_private_segment 0
		.amdhsa_system_sgpr_workgroup_id_x 1
		.amdhsa_system_sgpr_workgroup_id_y 1
		.amdhsa_system_sgpr_workgroup_id_z 1
		.amdhsa_system_sgpr_workgroup_info 0
		.amdhsa_system_vgpr_workitem_id 0
		.amdhsa_next_free_vgpr 94
		.amdhsa_next_free_sgpr 21
		.amdhsa_named_barrier_count 0
		.amdhsa_reserve_vcc 1
		.amdhsa_float_round_mode_32 0
		.amdhsa_float_round_mode_16_64 0
		.amdhsa_float_denorm_mode_32 3
		.amdhsa_float_denorm_mode_16_64 3
		.amdhsa_fp16_overflow 0
		.amdhsa_memory_ordered 1
		.amdhsa_forward_progress 1
		.amdhsa_inst_pref_size 106
		.amdhsa_round_robin_scheduling 0
		.amdhsa_exception_fp_ieee_invalid_op 0
		.amdhsa_exception_fp_denorm_src 0
		.amdhsa_exception_fp_ieee_div_zero 0
		.amdhsa_exception_fp_ieee_overflow 0
		.amdhsa_exception_fp_ieee_underflow 0
		.amdhsa_exception_fp_ieee_inexact 0
		.amdhsa_exception_int_div_zero 0
	.end_amdhsa_kernel
	.section	.text._ZN4vllm4gptq33gemm_half_q_half_gptq_8bit_kernelILb1ELi5EEEvPK6__halfPKjS6_S4_PS2_iiiibPKi,"axG",@progbits,_ZN4vllm4gptq33gemm_half_q_half_gptq_8bit_kernelILb1ELi5EEEvPK6__halfPKjS6_S4_PS2_iiiibPKi,comdat
.Lfunc_end34:
	.size	_ZN4vllm4gptq33gemm_half_q_half_gptq_8bit_kernelILb1ELi5EEEvPK6__halfPKjS6_S4_PS2_iiiibPKi, .Lfunc_end34-_ZN4vllm4gptq33gemm_half_q_half_gptq_8bit_kernelILb1ELi5EEEvPK6__halfPKjS6_S4_PS2_iiiibPKi
                                        ; -- End function
	.set _ZN4vllm4gptq33gemm_half_q_half_gptq_8bit_kernelILb1ELi5EEEvPK6__halfPKjS6_S4_PS2_iiiibPKi.num_vgpr, 94
	.set _ZN4vllm4gptq33gemm_half_q_half_gptq_8bit_kernelILb1ELi5EEEvPK6__halfPKjS6_S4_PS2_iiiibPKi.num_agpr, 0
	.set _ZN4vllm4gptq33gemm_half_q_half_gptq_8bit_kernelILb1ELi5EEEvPK6__halfPKjS6_S4_PS2_iiiibPKi.numbered_sgpr, 21
	.set _ZN4vllm4gptq33gemm_half_q_half_gptq_8bit_kernelILb1ELi5EEEvPK6__halfPKjS6_S4_PS2_iiiibPKi.num_named_barrier, 0
	.set _ZN4vllm4gptq33gemm_half_q_half_gptq_8bit_kernelILb1ELi5EEEvPK6__halfPKjS6_S4_PS2_iiiibPKi.private_seg_size, 0
	.set _ZN4vllm4gptq33gemm_half_q_half_gptq_8bit_kernelILb1ELi5EEEvPK6__halfPKjS6_S4_PS2_iiiibPKi.uses_vcc, 1
	.set _ZN4vllm4gptq33gemm_half_q_half_gptq_8bit_kernelILb1ELi5EEEvPK6__halfPKjS6_S4_PS2_iiiibPKi.uses_flat_scratch, 0
	.set _ZN4vllm4gptq33gemm_half_q_half_gptq_8bit_kernelILb1ELi5EEEvPK6__halfPKjS6_S4_PS2_iiiibPKi.has_dyn_sized_stack, 0
	.set _ZN4vllm4gptq33gemm_half_q_half_gptq_8bit_kernelILb1ELi5EEEvPK6__halfPKjS6_S4_PS2_iiiibPKi.has_recursion, 0
	.set _ZN4vllm4gptq33gemm_half_q_half_gptq_8bit_kernelILb1ELi5EEEvPK6__halfPKjS6_S4_PS2_iiiibPKi.has_indirect_call, 0
	.section	.AMDGPU.csdata,"",@progbits
; Kernel info:
; codeLenInByte = 13560
; TotalNumSgprs: 23
; NumVgprs: 94
; ScratchSize: 0
; MemoryBound: 0
; FloatMode: 240
; IeeeMode: 1
; LDSByteSize: 1280 bytes/workgroup (compile time only)
; SGPRBlocks: 0
; VGPRBlocks: 5
; NumSGPRsForWavesPerEU: 23
; NumVGPRsForWavesPerEU: 94
; NamedBarCnt: 0
; Occupancy: 10
; WaveLimiterHint : 0
; COMPUTE_PGM_RSRC2:SCRATCH_EN: 0
; COMPUTE_PGM_RSRC2:USER_SGPR: 2
; COMPUTE_PGM_RSRC2:TRAP_HANDLER: 0
; COMPUTE_PGM_RSRC2:TGID_X_EN: 1
; COMPUTE_PGM_RSRC2:TGID_Y_EN: 1
; COMPUTE_PGM_RSRC2:TGID_Z_EN: 1
; COMPUTE_PGM_RSRC2:TIDIG_COMP_CNT: 0
	.section	.text._ZN4vllm4gptq33gemm_half_q_half_gptq_2bit_kernelILb1ELi6EEEvPK6__halfPKjS6_S4_PS2_iiiibPKi,"axG",@progbits,_ZN4vllm4gptq33gemm_half_q_half_gptq_2bit_kernelILb1ELi6EEEvPK6__halfPKjS6_S4_PS2_iiiibPKi,comdat
	.protected	_ZN4vllm4gptq33gemm_half_q_half_gptq_2bit_kernelILb1ELi6EEEvPK6__halfPKjS6_S4_PS2_iiiibPKi ; -- Begin function _ZN4vllm4gptq33gemm_half_q_half_gptq_2bit_kernelILb1ELi6EEEvPK6__halfPKjS6_S4_PS2_iiiibPKi
	.globl	_ZN4vllm4gptq33gemm_half_q_half_gptq_2bit_kernelILb1ELi6EEEvPK6__halfPKjS6_S4_PS2_iiiibPKi
	.p2align	8
	.type	_ZN4vllm4gptq33gemm_half_q_half_gptq_2bit_kernelILb1ELi6EEEvPK6__halfPKjS6_S4_PS2_iiiibPKi,@function
_ZN4vllm4gptq33gemm_half_q_half_gptq_2bit_kernelILb1ELi6EEEvPK6__halfPKjS6_S4_PS2_iiiibPKi: ; @_ZN4vllm4gptq33gemm_half_q_half_gptq_2bit_kernelILb1ELi6EEEvPK6__halfPKjS6_S4_PS2_iiiibPKi
; %bb.0:
	s_load_b128 s[4:7], s[0:1], 0x2c
	s_bfe_u32 s2, ttmp6, 0x40014
	s_lshr_b32 s3, ttmp7, 16
	s_add_co_i32 s2, s2, 1
	s_bfe_u32 s9, ttmp6, 0x40010
	s_mul_i32 s2, s3, s2
	s_bfe_u32 s8, ttmp6, 0x40008
	s_and_b32 s10, ttmp7, 0xffff
	s_add_co_i32 s9, s9, 1
	s_add_co_i32 s8, s8, s2
	s_mul_i32 s2, s10, s9
	s_bfe_u32 s9, ttmp6, 0x40004
	s_getreg_b32 s17, hwreg(HW_REG_IB_STS2, 6, 4)
	s_add_co_i32 s9, s9, s2
	s_cmp_eq_u32 s17, 0
	s_mov_b32 s12, exec_lo
	s_cselect_b32 s2, s3, s8
	s_cselect_b32 s14, s10, s9
	s_lshl_b32 s15, s2, 7
	s_mul_i32 s14, s14, 6
	s_add_co_i32 s2, s15, 0x80
	s_delay_alu instid0(SALU_CYCLE_1) | instskip(SKIP_3) | instid1(VALU_DEP_1)
	v_cvt_f64_u32_e32 v[2:3], s2
	s_load_b64 s[2:3], s[0:1], 0x10
	s_wait_kmcnt 0x0
	v_cvt_f64_i32_e32 v[4:5], s5
	v_min_num_f64_e32 v[2:3], v[2:3], v[4:5]
	s_delay_alu instid0(VALU_DEP_1) | instskip(SKIP_1) | instid1(VALU_DEP_2)
	v_cvt_i32_f64_e32 v1, v[2:3]
	v_add_nc_u32_e32 v2, s15, v0
	v_readfirstlane_b32 s16, v1
	s_delay_alu instid0(VALU_DEP_2)
	v_cmpx_lt_u32_e64 v2, v1
	s_cbranch_execz .LBB35_14
; %bb.1:
	s_clause 0x1
	s_load_b64 s[10:11], s[0:1], 0x40
	s_load_b64 s[8:9], s[0:1], 0x0
	v_mov_b32_e32 v3, 0
	s_delay_alu instid0(VALU_DEP_1)
	v_mov_b64_e32 v[6:7], v[2:3]
	s_wait_kmcnt 0x0
	v_lshl_add_u64 v[4:5], v[2:3], 2, s[10:11]
	s_cmp_lg_u64 s[10:11], 0
	s_cselect_b32 s13, -1, 0
	s_cmp_eq_u64 s[10:11], 0
	s_cbranch_scc1 .LBB35_3
; %bb.2:
	global_load_b32 v6, v[4:5], off
	s_wait_loadcnt 0x0
	v_ashrrev_i32_e32 v7, 31, v6
.LBB35_3:
	s_mul_i32 s10, s14, s5
	v_cndmask_b32_e64 v8, 0, 1, s13
	s_ashr_i32 s11, s10, 31
	v_lshlrev_b32_e32 v1, 1, v0
	s_lshl_b64 s[18:19], s[10:11], 1
	s_and_not1_b32 vcc_lo, exec_lo, s13
	s_add_nc_u64 s[18:19], s[8:9], s[18:19]
	s_delay_alu instid0(SALU_CYCLE_1)
	v_lshl_add_u64 v[6:7], v[6:7], 1, s[18:19]
	global_load_u16 v9, v[6:7], off
	s_wait_xcnt 0x0
	v_mov_b64_e32 v[6:7], v[2:3]
	s_wait_loadcnt 0x0
	ds_store_b16 v1, v9
	s_cbranch_vccnz .LBB35_5
; %bb.4:
	global_load_b32 v6, v[4:5], off
	s_wait_loadcnt 0x0
	v_ashrrev_i32_e32 v7, 31, v6
.LBB35_5:
	s_add_co_i32 s10, s10, s5
	v_cmp_ne_u32_e32 vcc_lo, 1, v8
	s_ashr_i32 s11, s10, 31
	s_delay_alu instid0(SALU_CYCLE_1) | instskip(SKIP_2) | instid1(SALU_CYCLE_1)
	s_lshl_b64 s[18:19], s[10:11], 1
	s_and_b32 vcc_lo, exec_lo, vcc_lo
	s_add_nc_u64 s[18:19], s[8:9], s[18:19]
	v_lshl_add_u64 v[6:7], v[6:7], 1, s[18:19]
	global_load_u16 v9, v[6:7], off
	s_wait_xcnt 0x0
	v_mov_b64_e32 v[6:7], v[2:3]
	s_wait_loadcnt 0x0
	ds_store_b16 v1, v9 offset:256
	s_cbranch_vccnz .LBB35_7
; %bb.6:
	global_load_b32 v6, v[4:5], off
	s_wait_loadcnt 0x0
	v_ashrrev_i32_e32 v7, 31, v6
.LBB35_7:
	s_add_co_i32 s10, s10, s5
	v_cmp_ne_u32_e32 vcc_lo, 1, v8
	s_ashr_i32 s11, s10, 31
	s_delay_alu instid0(SALU_CYCLE_1) | instskip(SKIP_2) | instid1(SALU_CYCLE_1)
	s_lshl_b64 s[18:19], s[10:11], 1
	s_and_b32 vcc_lo, exec_lo, vcc_lo
	s_add_nc_u64 s[18:19], s[8:9], s[18:19]
	v_lshl_add_u64 v[6:7], v[6:7], 1, s[18:19]
	global_load_u16 v9, v[6:7], off
	s_wait_xcnt 0x0
	v_mov_b64_e32 v[6:7], v[2:3]
	s_wait_loadcnt 0x0
	ds_store_b16 v1, v9 offset:512
	;; [unrolled: 19-line block ×3, first 2 shown]
	s_cbranch_vccnz .LBB35_11
; %bb.10:
	global_load_b32 v6, v[4:5], off
	s_wait_loadcnt 0x0
	v_ashrrev_i32_e32 v7, 31, v6
.LBB35_11:
	s_add_co_i32 s10, s10, s5
	v_cmp_ne_u32_e32 vcc_lo, 1, v8
	s_ashr_i32 s11, s10, 31
	s_delay_alu instid0(SALU_CYCLE_1) | instskip(SKIP_2) | instid1(SALU_CYCLE_1)
	s_lshl_b64 s[18:19], s[10:11], 1
	s_and_b32 vcc_lo, exec_lo, vcc_lo
	s_add_nc_u64 s[18:19], s[8:9], s[18:19]
	v_lshl_add_u64 v[6:7], v[6:7], 1, s[18:19]
	global_load_u16 v6, v[6:7], off
	s_wait_loadcnt 0x0
	ds_store_b16 v1, v6 offset:1024
	s_cbranch_vccnz .LBB35_13
; %bb.12:
	global_load_b32 v2, v[4:5], off
	s_wait_loadcnt 0x0
	v_ashrrev_i32_e32 v3, 31, v2
.LBB35_13:
	s_add_co_i32 s10, s10, s5
	s_delay_alu instid0(SALU_CYCLE_1) | instskip(NEXT) | instid1(SALU_CYCLE_1)
	s_ashr_i32 s11, s10, 31
	s_lshl_b64 s[10:11], s[10:11], 1
	s_delay_alu instid0(SALU_CYCLE_1) | instskip(NEXT) | instid1(SALU_CYCLE_1)
	s_add_nc_u64 s[8:9], s[8:9], s[10:11]
	v_lshl_add_u64 v[2:3], v[2:3], 1, s[8:9]
	global_load_u16 v2, v[2:3], off
	s_wait_loadcnt 0x0
	ds_store_b16 v1, v2 offset:1280
.LBB35_14:
	s_or_b32 exec_lo, exec_lo, s12
	s_clause 0x1
	s_load_b64 s[12:13], s[0:1], 0x8
	s_load_b128 s[8:11], s[0:1], 0x18
	s_wait_xcnt 0x0
	s_bfe_u32 s0, ttmp6, 0x4000c
	s_and_b32 s1, ttmp6, 15
	s_add_co_i32 s0, s0, 1
	v_lshlrev_b32_e32 v1, 2, v0
	s_mul_i32 s0, ttmp9, s0
	s_delay_alu instid0(SALU_CYCLE_1)
	s_add_co_i32 s1, s1, s0
	s_cmp_eq_u32 s17, 0
	s_cselect_b32 s0, ttmp9, s1
	s_mov_b32 s1, 0
	v_lshl_add_u32 v4, s0, 9, v1
	s_mov_b32 s0, exec_lo
	s_delay_alu instid0(VALU_DEP_1)
	v_cmpx_gt_i32_e64 s4, v4
	s_cbranch_execz .LBB35_44
; %bb.15:
	s_abs_i32 s17, s6
	v_dual_mov_b32 v31, 0 :: v_dual_mov_b32 v30, 0
	s_cvt_f32_u32 s0, s17
	v_dual_mov_b32 v29, 0 :: v_dual_mov_b32 v28, 0
	v_dual_mov_b32 v27, 0 :: v_dual_mov_b32 v26, 0
	s_delay_alu instid0(SALU_CYCLE_1) | instskip(SKIP_3) | instid1(TRANS32_DEP_1)
	v_rcp_iflag_f32_e32 v1, s0
	v_dual_mov_b32 v25, 0 :: v_dual_mov_b32 v24, 0
	v_dual_mov_b32 v23, 0 :: v_dual_mov_b32 v22, 0
	;; [unrolled: 1-line block ×3, first 2 shown]
	v_readfirstlane_b32 s0, v1
	s_cmp_ge_i32 s15, s16
	s_wait_dscnt 0x0
	s_barrier_signal -1
	s_barrier_wait -1
	s_cbranch_scc1 .LBB35_20
; %bb.16:
	s_mul_f32 s0, s0, 0x4f7ffffe
	s_ashr_i32 s6, s6, 31
	v_dual_mov_b32 v22, 0 :: v_dual_ashrrev_i32 v5, 31, v4
	v_mov_b32_e32 v23, 0
	s_cvt_u32_f32 s18, s0
	s_sub_co_i32 s0, 0, s17
	v_dual_mov_b32 v24, 0 :: v_dual_mov_b32 v25, 0
	s_delay_alu instid0(SALU_CYCLE_1)
	s_mul_i32 s19, s0, s18
	s_abs_i32 s0, s5
	s_mul_hi_u32 s20, s18, s19
	s_mov_b32 s19, s1
	s_add_co_i32 s18, s18, s20
	s_ashr_i32 s5, s5, 31
	s_mul_u64 s[18:19], s[0:1], s[18:19]
	s_xor_b32 s5, s5, s6
	s_mul_i32 s18, s19, s17
	s_add_co_i32 s6, s19, 1
	s_sub_co_i32 s0, s0, s18
	v_dual_mov_b32 v26, 0 :: v_dual_mov_b32 v27, 0
	s_sub_co_i32 s18, s0, s17
	s_cmp_ge_u32 s0, s17
	v_dual_mov_b32 v28, 0 :: v_dual_mov_b32 v29, 0
	s_cselect_b32 s6, s6, s19
	s_cselect_b32 s0, s18, s0
	s_add_co_i32 s18, s6, 1
	s_cmp_ge_u32 s0, s17
	s_mov_b32 s19, 0x30003
	s_cselect_b32 s0, s18, s6
	s_mov_b32 s18, 0x10001
	s_xor_b32 s0, s0, s5
	v_mov_b32_e32 v20, 0
	s_sub_co_i32 s0, s0, s5
	s_bitcmp1_b32 s7, 0
	s_cvt_f32_u32 s5, s0
	s_cselect_b32 s6, -1, 0
	s_sub_co_i32 s7, 0, s0
	s_xor_b32 s20, s6, -1
	v_rcp_iflag_f32_e32 v1, s5
	v_cndmask_b32_e64 v34, 0, 1, s20
	s_mov_b32 s20, 0xc000c0
	v_dual_mov_b32 v21, 0 :: v_dual_mov_b32 v31, 0
	s_delay_alu instid0(TRANS32_DEP_1) | instskip(SKIP_1) | instid1(SALU_CYCLE_3)
	v_readfirstlane_b32 s5, v1
	s_mul_f32 s5, s5, 0x4f7ffffe
	s_cvt_u32_f32 s5, s5
	s_delay_alu instid0(SALU_CYCLE_3) | instskip(NEXT) | instid1(SALU_CYCLE_1)
	s_mul_i32 s7, s7, s5
	s_mul_hi_u32 s7, s5, s7
	s_delay_alu instid0(SALU_CYCLE_1) | instskip(NEXT) | instid1(SALU_CYCLE_1)
	s_add_co_i32 s5, s5, s7
	s_mul_hi_u32 s5, s15, s5
	s_delay_alu instid0(SALU_CYCLE_1) | instskip(NEXT) | instid1(SALU_CYCLE_1)
	s_mul_i32 s7, s5, s0
	s_sub_co_i32 s6, s15, s7
	s_add_co_i32 s7, s5, 1
	s_sub_co_i32 s17, s6, s0
	s_cmp_ge_u32 s6, s0
	s_cselect_b32 s5, s7, s5
	s_cselect_b32 s6, s17, s6
	s_add_co_i32 s7, s5, 1
	s_cmp_ge_u32 s6, s0
	s_cselect_b32 s17, s7, s5
	s_delay_alu instid0(SALU_CYCLE_1) | instskip(NEXT) | instid1(SALU_CYCLE_1)
	s_mul_i32 s5, s17, s4
	v_dual_lshrrev_b32 v1, 28, v5 :: v_dual_add_nc_u32 v2, s5, v4
	s_ashr_i32 s6, s5, 31
	s_delay_alu instid0(SALU_CYCLE_1) | instskip(NEXT) | instid1(VALU_DEP_1)
	s_lshr_b32 s6, s6, 28
	v_add_nc_u32_e32 v1, v4, v1
	s_add_co_i32 s6, s5, s6
	v_ashrrev_i32_e32 v3, 31, v2
	s_ashr_i32 s6, s6, 4
	s_lshr_b32 s5, s15, 4
	v_ashrrev_i32_e32 v32, 4, v1
	s_wait_kmcnt 0x0
	v_lshl_add_u64 v[2:3], v[2:3], 1, s[8:9]
	s_delay_alu instid0(VALU_DEP_2)
	v_add_nc_u32_e32 v1, s6, v32
	s_mul_i32 s6, s4, s5
	global_load_b64 v[6:7], v[2:3], off
	s_ashr_i32 s7, s6, 31
	s_wait_xcnt 0x0
	v_lshlrev_b32_e32 v2, 3, v0
	global_load_b32 v10, v1, s[2:3] scale_offset
	s_lshl_b64 s[6:7], s[6:7], 2
	v_mov_b32_e32 v30, 0
	s_add_nc_u64 s[6:7], s[12:13], s[6:7]
	v_and_b32_e32 v33, 24, v2
	s_wait_xcnt 0x0
	v_lshl_add_u64 v[0:1], v[4:5], 2, s[6:7]
	s_ashr_i32 s5, s4, 31
	s_add_co_i32 s12, s0, s15
	s_lshl_b64 s[6:7], s[4:5], 2
	s_mov_b32 s5, 0xc000c
	v_add_nc_u64_e32 v[8:9], 8, v[0:1]
	s_mov_b32 s13, 0x300030
	s_wait_loadcnt 0x0
	v_lshrrev_b32_e32 v2, v2, v10
	v_bfe_u32 v5, v10, v33, 2
	s_delay_alu instid0(VALU_DEP_2)
	v_bfe_u32 v35, v2, 2, 2
	v_bfe_u32 v36, v2, 4, 2
	;; [unrolled: 1-line block ×3, first 2 shown]
	s_branch .LBB35_18
.LBB35_17:                              ;   in Loop: Header=BB35_18 Depth=1
	global_load_b128 v[0:3], v[8:9], off offset:-8
	v_dual_add_nc_u32 v10, v5, v34 :: v_dual_add_nc_u32 v11, v35, v34
	v_dual_add_nc_u32 v12, v36, v34 :: v_dual_add_nc_u32 v13, v37, v34
	v_mov_b32_e32 v14, s1
	s_delay_alu instid0(VALU_DEP_3) | instskip(NEXT) | instid1(VALU_DEP_4)
	v_cvt_f32_i32_e32 v15, v10
	v_cvt_f32_i32_e32 v16, v11
	v_and_b32_e32 v11, 0x1bff, v11
	v_cvt_f32_i32_e32 v38, v13
	v_and_b32_e32 v10, 0x1bff, v10
	v_cvt_f16_f32_e32 v59, v15
	v_cvt_f32_i32_e32 v17, v12
	v_and_b32_e32 v12, 0x1bff, v12
	v_cvt_f16_f32_e32 v38, v38
	v_mad_u32_u24 v39, v11, s18, 0xe400e400
	v_sub_f16_e32 v11, 0xdc00, v59
	v_mad_u32_u24 v40, v10, s18, 0xe400e400
	v_mad_u32_u24 v10, v12, s18, 0xe400e400
	v_sub_f16_e32 v41, 0xdc00, v38
	v_cvt_f16_f32_e32 v60, v16
	v_and_b32_e32 v12, 0xffff, v11
	v_cvt_f16_f32_e32 v17, v17
	v_and_b32_e32 v13, 0x1bff, v13
	v_and_b32_e32 v42, 0xffff, v41
	v_sub_f16_e32 v15, 0xdc00, v60
	v_mul_u32_u24_e32 v41, 0x10001, v12
	v_sub_f16_e32 v16, 0xdc00, v17
	v_mad_u32_u24 v11, v13, s18, 0xe400e400
	v_mul_u32_u24_e32 v12, 0x10001, v42
	v_and_b32_e32 v15, 0xffff, v15
	s_add_co_i32 s21, s1, 0x400
	v_and_b32_e32 v16, 0xffff, v16
	s_add_co_i32 s22, s1, 0x518
	s_wait_xcnt 0x0
	v_add_nc_u64_e32 v[8:9], s[6:7], v[8:9]
	v_mul_u32_u24_e32 v15, 0x10001, v15
	s_add_co_i32 s15, s15, 16
	v_mul_u32_u24_e32 v13, 0x10001, v16
	s_wait_loadcnt 0x0
	v_lshrrev_b32_e32 v42, 8, v0
	ds_load_2addr_b32 v[18:19], v14 offset1:1
	ds_load_2addr_b32 v[44:45], v14 offset0:64 offset1:65
	ds_load_2addr_b32 v[46:47], v14 offset0:128 offset1:129
	v_and_or_b32 v43, v0, s19, 0x64006400
	v_and_or_b32 v49, v1, s19, 0x64006400
	v_and_or_b32 v48, v0, s5, 0x64006400
	v_and_or_b32 v50, v1, s5, 0x64006400
	v_and_or_b32 v71, v1, s13, 0x64006400
	v_and_or_b32 v73, v1, s20, 0x64006400
	v_dual_lshrrev_b32 v16, 8, v1 :: v_dual_lshrrev_b32 v1, 8, v2
	v_and_or_b32 v51, v2, s19, 0x64006400
	v_and_or_b32 v52, v2, s5, 0x64006400
	;; [unrolled: 1-line block ×5, first 2 shown]
	v_pk_add_f16 v58, v40, v43
	v_pk_add_f16 v72, v39, v49
	v_and_or_b32 v69, v0, s13, 0x64006400
	v_and_or_b32 v70, v0, s20, 0x64006400
	;; [unrolled: 1-line block ×5, first 2 shown]
	v_lshrrev_b32_e32 v0, 8, v3
	v_pk_fma_f16 v48, 0x3400, v48, v41 op_sel_hi:[0,1,1]
	v_pk_fma_f16 v74, 0x3400, v50, v15 op_sel_hi:[0,1,1]
	v_pk_add_f16 v51, v10, v51
	v_pk_add_f16 v80, v11, v2
	s_wait_dscnt 0x2
	v_pk_fma_f16 v2, v58, v18, 0
	v_pk_fma_f16 v3, v72, v18, 0
	v_pk_fma_f16 v79, 0x3400, v52, v13 op_sel_hi:[0,1,1]
	v_pk_fma_f16 v81, 0x3400, v53, v12 op_sel_hi:[0,1,1]
	s_wait_dscnt 0x1
	v_pk_fma_f16 v52, v51, v44, 0
	s_wait_dscnt 0x0
	v_pk_fma_f16 v53, v58, v46, 0
	v_pk_fma_f16 v65, v48, v19, v2
	;; [unrolled: 1-line block ×10, first 2 shown]
	ds_load_2addr_b32 v[2:3], v14 offset0:192 offset1:193
	v_pk_fma_f16 v18, v80, v18, 0
	v_pk_fma_f16 v67, v79, v19, v43
	;; [unrolled: 1-line block ×10, first 2 shown]
	v_sub_f16_e32 v19, 0xcc00, v60
	v_pk_fma_f16 v55, v81, v47, v18
	s_delay_alu instid0(VALU_DEP_2) | instskip(SKIP_2) | instid1(VALU_DEP_2)
	v_and_b32_e32 v19, 0xffff, v19
	s_wait_dscnt 0x0
	v_pk_fma_f16 v18, v58, v2, 0
	v_mul_u32_u24_e32 v19, 0x10001, v19
	s_delay_alu instid0(VALU_DEP_2) | instskip(SKIP_1) | instid1(VALU_DEP_1)
	v_pk_fma_f16 v43, v48, v3, v18
	v_pk_fma_f16 v18, v72, v2, 0
	;; [unrolled: 1-line block ×5, first 2 shown]
	s_delay_alu instid0(VALU_DEP_2) | instskip(NEXT) | instid1(VALU_DEP_2)
	v_pk_fma_f16 v49, v79, v3, v18
	v_pk_fma_f16 v56, v81, v3, v2
	v_mov_b32_e32 v2, s21
	s_add_co_i32 s21, s1, 0x500
	ds_load_2addr_b32 v[2:3], v2 offset1:1
	s_wait_dscnt 0x0
	v_pk_fma_f16 v18, v58, v2, 0
	s_delay_alu instid0(VALU_DEP_1) | instskip(SKIP_1) | instid1(VALU_DEP_1)
	v_pk_fma_f16 v44, v48, v3, v18
	v_pk_fma_f16 v18, v72, v2, 0
	;; [unrolled: 1-line block ×5, first 2 shown]
	s_delay_alu instid0(VALU_DEP_2) | instskip(NEXT) | instid1(VALU_DEP_2)
	v_pk_fma_f16 v50, v79, v3, v18
	v_pk_fma_f16 v57, v81, v3, v2
	v_mov_b32_e32 v2, s21
	s_add_co_i32 s21, s1, 0x408
	ds_load_2addr_b32 v[2:3], v2 offset1:1
	s_wait_dscnt 0x0
	v_pk_fma_f16 v18, v58, v2, 0
	s_delay_alu instid0(VALU_DEP_1) | instskip(SKIP_1) | instid1(VALU_DEP_1)
	v_pk_fma_f16 v45, v48, v3, v18
	v_pk_fma_f16 v18, v72, v2, 0
	;; [unrolled: 1-line block ×5, first 2 shown]
	s_delay_alu instid0(VALU_DEP_2) | instskip(NEXT) | instid1(VALU_DEP_2)
	v_pk_fma_f16 v51, v79, v3, v18
	v_pk_fma_f16 v58, v81, v3, v2
	v_sub_f16_e32 v2, 0xd400, v59
	v_sub_f16_e32 v3, 0xcc00, v59
	;; [unrolled: 1-line block ×6, first 2 shown]
	v_and_b32_e32 v2, 0xffff, v2
	v_and_b32_e32 v3, 0xffff, v3
	;; [unrolled: 1-line block ×6, first 2 shown]
	v_mul_u32_u24_e32 v60, 0x10001, v2
	v_mul_u32_u24_e32 v59, 0x10001, v3
	v_mul_u32_u24_e32 v2, 0x10001, v79
	v_mul_u32_u24_e32 v38, 0x10001, v18
	v_mul_u32_u24_e32 v18, 0x10001, v72
	v_pk_fma_f16 v72, 0x2c00, v69, v60 op_sel_hi:[0,1,1]
	v_pk_fma_f16 v69, 0x2400, v70, v59 op_sel_hi:[0,1,1]
	v_pk_fma_f16 v70, 0x2400, v73, v19 op_sel_hi:[0,1,1]
	v_pk_fma_f16 v73, 0x2400, v78, v2 op_sel_hi:[0,1,1]
	ds_load_2addr_b32 v[78:79], v14 offset0:2 offset1:3
	v_sub_f16_e32 v17, 0xcc00, v17
	v_mul_u32_u24_e32 v3, 0x10001, v74
	v_pk_fma_f16 v74, 0x2c00, v71, v38 op_sel_hi:[0,1,1]
	v_pk_fma_f16 v75, 0x2c00, v75, v18 op_sel_hi:[0,1,1]
	s_delay_alu instid0(VALU_DEP_4) | instskip(NEXT) | instid1(VALU_DEP_1)
	v_and_b32_e32 v17, 0xffff, v17
	v_mul_u32_u24_e32 v17, 0x10001, v17
	s_delay_alu instid0(VALU_DEP_1)
	v_pk_fma_f16 v71, 0x2400, v76, v17 op_sel_hi:[0,1,1]
	v_pk_fma_f16 v76, 0x2c00, v77, v3 op_sel_hi:[0,1,1]
	s_wait_dscnt 0x0
	v_pk_fma_f16 v66, v74, v78, v66
	v_pk_fma_f16 v67, v75, v78, v67
	v_pk_fma_f16 v65, v72, v78, v65
	v_pk_fma_f16 v68, v76, v78, v68
	s_delay_alu instid0(VALU_DEP_4) | instskip(NEXT) | instid1(VALU_DEP_4)
	v_pk_fma_f16 v78, v70, v79, v66
	v_pk_fma_f16 v80, v71, v79, v67
	ds_load_2addr_b32 v[66:67], v14 offset0:66 offset1:67
	v_pk_fma_f16 v77, v69, v79, v65
	v_pk_fma_f16 v68, v73, v79, v68
	s_wait_dscnt 0x0
	v_pk_fma_f16 v62, v74, v66, v62
	v_pk_fma_f16 v63, v75, v66, v63
	v_pk_fma_f16 v61, v72, v66, v61
	v_pk_fma_f16 v64, v76, v66, v64
	s_delay_alu instid0(VALU_DEP_4) | instskip(NEXT) | instid1(VALU_DEP_4)
	v_pk_fma_f16 v79, v70, v67, v62
	v_pk_fma_f16 v81, v71, v67, v63
	ds_load_2addr_b32 v[62:63], v14 offset0:130 offset1:131
	v_pk_fma_f16 v66, v69, v67, v61
	v_pk_fma_f16 v67, v73, v67, v64
	;; [unrolled: 11-line block ×3, first 2 shown]
	s_wait_dscnt 0x0
	v_pk_fma_f16 v43, v72, v52, v43
	v_pk_fma_f16 v46, v74, v52, v46
	;; [unrolled: 1-line block ×4, first 2 shown]
	s_delay_alu instid0(VALU_DEP_4)
	v_pk_fma_f16 v56, v69, v53, v43
	v_mov_b32_e32 v43, s21
	v_pk_fma_f16 v86, v70, v53, v46
	v_pk_fma_f16 v62, v71, v53, v49
	;; [unrolled: 1-line block ×3, first 2 shown]
	s_add_co_i32 s21, s1, 0x508
	ds_load_2addr_b32 v[52:53], v43 offset1:1
	s_wait_dscnt 0x0
	v_pk_fma_f16 v43, v72, v52, v44
	v_pk_fma_f16 v44, v74, v52, v47
	;; [unrolled: 1-line block ×4, first 2 shown]
	s_delay_alu instid0(VALU_DEP_4) | instskip(SKIP_1) | instid1(VALU_DEP_4)
	v_pk_fma_f16 v57, v69, v53, v43
	v_mov_b32_e32 v43, s21
	v_pk_fma_f16 v64, v71, v53, v46
	s_delay_alu instid0(VALU_DEP_4)
	v_pk_fma_f16 v65, v73, v53, v47
	v_pk_fma_f16 v87, v70, v53, v44
	s_add_co_i32 s21, s1, 0x410
	ds_load_2addr_b32 v[46:47], v43 offset1:1
	s_wait_dscnt 0x0
	v_pk_fma_f16 v43, v72, v46, v45
	v_pk_fma_f16 v44, v74, v46, v48
	;; [unrolled: 1-line block ×4, first 2 shown]
	ds_load_2addr_b32 v[50:51], v14 offset0:4 offset1:5
	v_pk_fma_f16 v58, v69, v47, v43
	v_pk_fma_f16 v72, v70, v47, v44
	;; [unrolled: 1-line block ×3, first 2 shown]
	v_and_or_b32 v43, v42, s19, 0x64006400
	v_and_or_b32 v44, v42, s5, 0x64006400
	;; [unrolled: 1-line block ×4, first 2 shown]
	v_pk_fma_f16 v69, v73, v47, v46
	v_pk_add_f16 v71, v40, v43
	v_and_or_b32 v43, v16, s19, 0x64006400
	v_pk_fma_f16 v61, 0x3400, v44, v41 op_sel_hi:[0,1,1]
	v_and_or_b32 v44, v16, s5, 0x64006400
	v_pk_fma_f16 v41, 0x2c00, v45, v60 op_sel_hi:[0,1,1]
	v_and_or_b32 v45, v16, s13, 0x64006400
	v_and_or_b32 v16, v16, s20, 0x64006400
	v_pk_fma_f16 v40, 0x2400, v42, v59 op_sel_hi:[0,1,1]
	v_pk_add_f16 v59, v39, v43
	v_pk_fma_f16 v15, 0x3400, v44, v15 op_sel_hi:[0,1,1]
	v_and_or_b32 v39, v1, s19, 0x64006400
	v_pk_fma_f16 v42, 0x2400, v16, v19 op_sel_hi:[0,1,1]
	v_and_or_b32 v16, v1, s13, 0x64006400
	;; [unrolled: 2-line block ×3, first 2 shown]
	v_pk_add_f16 v73, v10, v39
	v_and_or_b32 v10, v0, s19, 0x64006400
	v_pk_fma_f16 v45, 0x2c00, v16, v18 op_sel_hi:[0,1,1]
	ds_load_2addr_b32 v[18:19], v14 offset0:68 offset1:69
	v_pk_fma_f16 v46, 0x3400, v38, v13 op_sel_hi:[0,1,1]
	v_and_or_b32 v1, v1, s20, 0x64006400
	v_pk_add_f16 v74, v11, v10
	v_and_or_b32 v10, v0, s5, 0x64006400
	s_wait_dscnt 0x1
	v_pk_fma_f16 v11, v59, v50, v78
	v_mov_b32_e32 v16, s21
	v_pk_fma_f16 v38, 0x2400, v1, v17 op_sel_hi:[0,1,1]
	v_pk_fma_f16 v13, v74, v50, v68
	v_pk_fma_f16 v47, 0x3400, v10, v12 op_sel_hi:[0,1,1]
	v_pk_fma_f16 v10, v71, v50, v77
	v_pk_fma_f16 v12, v73, v50, v80
	;; [unrolled: 1-line block ×3, first 2 shown]
	s_add_co_i32 s21, s1, 0x510
	s_delay_alu instid0(VALU_DEP_3) | instskip(NEXT) | instid1(VALU_DEP_3)
	v_pk_fma_f16 v48, v61, v51, v10
	v_pk_fma_f16 v50, v46, v51, v12
	;; [unrolled: 1-line block ×3, first 2 shown]
	ds_load_2addr_b32 v[10:11], v14 offset0:132 offset1:133
	s_wait_dscnt 0x1
	v_pk_fma_f16 v1, v71, v18, v66
	v_pk_fma_f16 v12, v59, v18, v79
	;; [unrolled: 1-line block ×4, first 2 shown]
	v_and_or_b32 v18, v0, s13, 0x64006400
	v_and_or_b32 v0, v0, s20, 0x64006400
	v_pk_fma_f16 v53, v15, v19, v12
	v_pk_fma_f16 v54, v46, v19, v13
	ds_load_2addr_b32 v[12:13], v14 offset0:196 offset1:197
	v_pk_fma_f16 v52, v61, v19, v1
	v_pk_fma_f16 v39, 0x2400, v0, v2 op_sel_hi:[0,1,1]
	v_mov_b32_e32 v0, s21
	s_add_co_i32 s21, s1, 0x418
	v_pk_fma_f16 v55, v47, v19, v17
	v_pk_fma_f16 v43, 0x2c00, v18, v3 op_sel_hi:[0,1,1]
	ds_load_2addr_b32 v[16:17], v16 offset1:1
	v_mov_b32_e32 v18, s21
	ds_load_2addr_b32 v[0:1], v0 offset1:1
	s_wait_dscnt 0x3
	v_pk_fma_f16 v2, v71, v10, v82
	v_pk_fma_f16 v3, v59, v10, v83
	s_add_co_i32 s1, s1, 32
	s_cmp_ge_i32 s15, s16
	s_wait_dscnt 0x2
	v_pk_fma_f16 v19, v71, v12, v56
	v_pk_fma_f16 v56, v61, v11, v2
	;; [unrolled: 1-line block ×3, first 2 shown]
	s_delay_alu instid0(VALU_DEP_3)
	v_pk_fma_f16 v60, v61, v13, v19
	ds_load_2addr_b32 v[18:19], v18 offset1:1
	s_wait_dscnt 0x2
	v_pk_fma_f16 v66, v71, v16, v57
	v_pk_fma_f16 v57, v15, v11, v3
	ds_load_2addr_b32 v[2:3], v14 offset0:6 offset1:7
	s_wait_dscnt 0x2
	v_pk_fma_f16 v75, v71, v0, v58
	v_pk_fma_f16 v58, v73, v10, v84
	;; [unrolled: 1-line block ×5, first 2 shown]
	v_mov_b32_e32 v72, s22
	v_pk_fma_f16 v58, v46, v11, v58
	v_pk_fma_f16 v59, v47, v11, v10
	;; [unrolled: 1-line block ×9, first 2 shown]
	ds_load_2addr_b32 v[10:11], v14 offset0:70 offset1:71
	v_pk_fma_f16 v65, v61, v17, v66
	v_pk_fma_f16 v66, v15, v17, v68
	v_pk_fma_f16 v67, v46, v17, v12
	v_pk_fma_f16 v68, v47, v17, v16
	ds_load_2addr_b32 v[12:13], v14 offset0:134 offset1:135
	ds_load_2addr_b32 v[16:17], v14 offset0:198 offset1:199
	v_pk_fma_f16 v70, v73, v0, v70
	v_pk_fma_f16 v0, v74, v0, v69
	;; [unrolled: 1-line block ×3, first 2 shown]
	ds_load_2addr_b32 v[14:15], v72 offset1:1
	v_pk_fma_f16 v61, v61, v1, v75
	v_pk_fma_f16 v46, v46, v1, v70
	;; [unrolled: 1-line block ×3, first 2 shown]
	s_wait_dscnt 0x4
	v_pk_fma_f16 v1, v41, v2, v48
	v_pk_fma_f16 v47, v44, v2, v49
	;; [unrolled: 1-line block ×4, first 2 shown]
	s_delay_alu instid0(VALU_DEP_4)
	v_pk_fma_f16 v1, v40, v3, v1
	s_wait_dscnt 0x3
	v_pk_fma_f16 v49, v41, v10, v52
	v_pk_fma_f16 v50, v44, v10, v53
	;; [unrolled: 1-line block ×5, first 2 shown]
	s_wait_dscnt 0x2
	v_pk_fma_f16 v52, v41, v12, v56
	v_pk_fma_f16 v53, v44, v12, v57
	;; [unrolled: 1-line block ×4, first 2 shown]
	s_wait_dscnt 0x1
	v_pk_fma_f16 v55, v41, v16, v60
	v_pk_fma_f16 v56, v44, v16, v62
	;; [unrolled: 1-line block ×8, first 2 shown]
	s_wait_dscnt 0x0
	v_pk_fma_f16 v41, v41, v14, v61
	v_pk_fma_f16 v44, v44, v14, v69
	;; [unrolled: 1-line block ×24, first 2 shown]
	v_pack_b32_f16 v41, v1, v14
	v_perm_b32 v1, v14, v1, 0x7060302
	v_pack_b32_f16 v14, v3, v46
	v_perm_b32 v3, v46, v3, 0x7060302
	;; [unrolled: 2-line block ×7, first 2 shown]
	v_pk_add_f16 v1, v41, v1
	v_pk_add_f16 v3, v14, v3
	;; [unrolled: 1-line block ×5, first 2 shown]
	v_pk_fma_f16 v31, v1, v6, v31
	v_pk_fma_f16 v29, v3, v6, v29
	v_pk_add_f16 v1, v40, v2
	v_pack_b32_f16 v2, v47, v10
	v_perm_b32 v3, v10, v47, 0x7060302
	v_pk_fma_f16 v10, v38, v15, v45
	v_pk_fma_f16 v0, v39, v15, v0
	v_pk_fma_f16 v27, v11, v6, v27
	v_pk_fma_f16 v25, v13, v6, v25
	v_pk_fma_f16 v23, v14, v6, v23
	v_pk_fma_f16 v30, v1, v7, v30
	v_pk_add_f16 v1, v2, v3
	v_pack_b32_f16 v2, v49, v12
	v_perm_b32 v3, v12, v49, 0x7060302
	v_pack_b32_f16 v11, v51, v16
	v_perm_b32 v12, v16, v51, 0x7060302
	;; [unrolled: 2-line block ×4, first 2 shown]
	v_pk_add_f16 v17, v48, v19
	v_pk_add_f16 v2, v2, v3
	;; [unrolled: 1-line block ×5, first 2 shown]
	v_pk_fma_f16 v21, v17, v6, v21
	v_pk_fma_f16 v28, v1, v7, v28
	;; [unrolled: 1-line block ×6, first 2 shown]
	s_cbranch_scc1 .LBB35_20
.LBB35_18:                              ; =>This Inner Loop Header: Depth=1
	s_cmp_lg_u32 s15, s12
	s_cbranch_scc1 .LBB35_17
; %bb.19:                               ;   in Loop: Header=BB35_18 Depth=1
	s_add_co_i32 s17, s17, 1
	s_add_co_i32 s12, s12, s0
	s_mul_i32 s21, s17, s4
	s_delay_alu instid0(SALU_CYCLE_1) | instskip(SKIP_2) | instid1(SALU_CYCLE_1)
	s_ashr_i32 s22, s21, 31
	v_add_nc_u32_e32 v0, s21, v4
	s_lshr_b32 s22, s22, 28
	s_add_co_i32 s22, s21, s22
	s_delay_alu instid0(SALU_CYCLE_1) | instskip(NEXT) | instid1(SALU_CYCLE_1)
	s_ashr_i32 s22, s22, 4
	v_add_nc_u32_e32 v1, s22, v32
	global_load_b32 v2, v1, s[2:3] scale_offset
	s_wait_xcnt 0x0
	v_ashrrev_i32_e32 v1, 31, v0
	s_delay_alu instid0(VALU_DEP_1)
	v_lshl_add_u64 v[0:1], v[0:1], 1, s[8:9]
	global_load_b64 v[6:7], v[0:1], off
	s_wait_loadcnt 0x1
	s_wait_xcnt 0x0
	v_lshrrev_b32_e32 v0, v33, v2
	v_bfe_u32 v5, v2, v33, 2
	s_delay_alu instid0(VALU_DEP_2)
	v_bfe_u32 v35, v0, 2, 2
	v_bfe_u32 v36, v0, 4, 2
	v_bfe_u32 v37, v0, 6, 2
	s_branch .LBB35_17
.LBB35_20:
	v_mad_u32 v0, s14, s4, v4
	s_mov_b32 s0, 0
	s_delay_alu instid0(VALU_DEP_1) | instskip(SKIP_1) | instid1(VALU_DEP_1)
	v_ashrrev_i32_e32 v1, 31, v0
	s_wait_kmcnt 0x0
	v_lshl_add_u64 v[2:3], v[0:1], 1, s[10:11]
	global_load_b32 v5, v[2:3], off
.LBB35_21:                              ; =>This Inner Loop Header: Depth=1
	s_wait_loadcnt 0x0
	v_pk_add_f16 v4, v31, v5
	global_atomic_cmpswap_b32 v1, v[2:3], v[4:5], off th:TH_ATOMIC_RETURN scope:SCOPE_DEV
	s_wait_loadcnt 0x0
	v_cmp_eq_u32_e32 vcc_lo, v5, v1
	v_mov_b32_e32 v5, v1
	s_or_b32 s0, vcc_lo, s0
	s_delay_alu instid0(SALU_CYCLE_1)
	s_and_not1_b32 exec_lo, exec_lo, s0
	s_cbranch_execnz .LBB35_21
; %bb.22:
	s_or_b32 exec_lo, exec_lo, s0
	global_load_b32 v5, v[2:3], off offset:4
	s_mov_b32 s0, 0
.LBB35_23:                              ; =>This Inner Loop Header: Depth=1
	s_wait_loadcnt 0x0
	v_pk_add_f16 v4, v30, v5
	global_atomic_cmpswap_b32 v1, v[2:3], v[4:5], off offset:4 th:TH_ATOMIC_RETURN scope:SCOPE_DEV
	s_wait_loadcnt 0x0
	v_cmp_eq_u32_e32 vcc_lo, v5, v1
	v_mov_b32_e32 v5, v1
	s_or_b32 s0, vcc_lo, s0
	s_delay_alu instid0(SALU_CYCLE_1)
	s_and_not1_b32 exec_lo, exec_lo, s0
	s_cbranch_execnz .LBB35_23
; %bb.24:
	s_or_b32 exec_lo, exec_lo, s0
	v_add_nc_u32_e32 v0, s4, v0
	s_mov_b32 s0, 0
	s_delay_alu instid0(VALU_DEP_1) | instskip(NEXT) | instid1(VALU_DEP_1)
	v_ashrrev_i32_e32 v1, 31, v0
	v_lshl_add_u64 v[2:3], v[0:1], 1, s[10:11]
	global_load_b32 v5, v[2:3], off
.LBB35_25:                              ; =>This Inner Loop Header: Depth=1
	s_wait_loadcnt 0x0
	v_pk_add_f16 v4, v29, v5
	global_atomic_cmpswap_b32 v1, v[2:3], v[4:5], off th:TH_ATOMIC_RETURN scope:SCOPE_DEV
	s_wait_loadcnt 0x0
	v_cmp_eq_u32_e32 vcc_lo, v5, v1
	v_mov_b32_e32 v5, v1
	s_or_b32 s0, vcc_lo, s0
	s_delay_alu instid0(SALU_CYCLE_1)
	s_and_not1_b32 exec_lo, exec_lo, s0
	s_cbranch_execnz .LBB35_25
; %bb.26:
	s_or_b32 exec_lo, exec_lo, s0
	global_load_b32 v5, v[2:3], off offset:4
	s_mov_b32 s0, 0
.LBB35_27:                              ; =>This Inner Loop Header: Depth=1
	s_wait_loadcnt 0x0
	v_pk_add_f16 v4, v28, v5
	global_atomic_cmpswap_b32 v1, v[2:3], v[4:5], off offset:4 th:TH_ATOMIC_RETURN scope:SCOPE_DEV
	s_wait_loadcnt 0x0
	v_cmp_eq_u32_e32 vcc_lo, v5, v1
	v_mov_b32_e32 v5, v1
	s_or_b32 s0, vcc_lo, s0
	s_delay_alu instid0(SALU_CYCLE_1)
	s_and_not1_b32 exec_lo, exec_lo, s0
	s_cbranch_execnz .LBB35_27
; %bb.28:
	s_or_b32 exec_lo, exec_lo, s0
	v_add_nc_u32_e32 v0, s4, v0
	s_mov_b32 s0, 0
	s_delay_alu instid0(VALU_DEP_1) | instskip(NEXT) | instid1(VALU_DEP_1)
	v_ashrrev_i32_e32 v1, 31, v0
	;; [unrolled: 34-line block ×5, first 2 shown]
	v_lshl_add_u64 v[0:1], v[0:1], 1, s[10:11]
	global_load_b32 v3, v[0:1], off
.LBB35_41:                              ; =>This Inner Loop Header: Depth=1
	s_wait_loadcnt 0x0
	v_pk_add_f16 v2, v21, v3
	global_atomic_cmpswap_b32 v2, v[0:1], v[2:3], off th:TH_ATOMIC_RETURN scope:SCOPE_DEV
	s_wait_loadcnt 0x0
	v_cmp_eq_u32_e32 vcc_lo, v3, v2
	v_mov_b32_e32 v3, v2
	s_or_b32 s0, vcc_lo, s0
	s_delay_alu instid0(SALU_CYCLE_1)
	s_and_not1_b32 exec_lo, exec_lo, s0
	s_cbranch_execnz .LBB35_41
; %bb.42:
	s_or_b32 exec_lo, exec_lo, s0
	global_load_b32 v3, v[0:1], off offset:4
	s_mov_b32 s0, 0
.LBB35_43:                              ; =>This Inner Loop Header: Depth=1
	s_wait_loadcnt 0x0
	v_pk_add_f16 v2, v20, v3
	global_atomic_cmpswap_b32 v2, v[0:1], v[2:3], off offset:4 th:TH_ATOMIC_RETURN scope:SCOPE_DEV
	s_wait_loadcnt 0x0
	v_cmp_eq_u32_e32 vcc_lo, v3, v2
	v_mov_b32_e32 v3, v2
	s_or_b32 s0, vcc_lo, s0
	s_delay_alu instid0(SALU_CYCLE_1)
	s_and_not1_b32 exec_lo, exec_lo, s0
	s_cbranch_execnz .LBB35_43
.LBB35_44:
	s_endpgm
	.section	.rodata,"a",@progbits
	.p2align	6, 0x0
	.amdhsa_kernel _ZN4vllm4gptq33gemm_half_q_half_gptq_2bit_kernelILb1ELi6EEEvPK6__halfPKjS6_S4_PS2_iiiibPKi
		.amdhsa_group_segment_fixed_size 1536
		.amdhsa_private_segment_fixed_size 0
		.amdhsa_kernarg_size 72
		.amdhsa_user_sgpr_count 2
		.amdhsa_user_sgpr_dispatch_ptr 0
		.amdhsa_user_sgpr_queue_ptr 0
		.amdhsa_user_sgpr_kernarg_segment_ptr 1
		.amdhsa_user_sgpr_dispatch_id 0
		.amdhsa_user_sgpr_kernarg_preload_length 0
		.amdhsa_user_sgpr_kernarg_preload_offset 0
		.amdhsa_user_sgpr_private_segment_size 0
		.amdhsa_wavefront_size32 1
		.amdhsa_uses_dynamic_stack 0
		.amdhsa_enable_private_segment 0
		.amdhsa_system_sgpr_workgroup_id_x 1
		.amdhsa_system_sgpr_workgroup_id_y 1
		.amdhsa_system_sgpr_workgroup_id_z 1
		.amdhsa_system_sgpr_workgroup_info 0
		.amdhsa_system_vgpr_workitem_id 0
		.amdhsa_next_free_vgpr 88
		.amdhsa_next_free_sgpr 23
		.amdhsa_named_barrier_count 0
		.amdhsa_reserve_vcc 1
		.amdhsa_float_round_mode_32 0
		.amdhsa_float_round_mode_16_64 0
		.amdhsa_float_denorm_mode_32 3
		.amdhsa_float_denorm_mode_16_64 3
		.amdhsa_fp16_overflow 0
		.amdhsa_memory_ordered 1
		.amdhsa_forward_progress 1
		.amdhsa_inst_pref_size 49
		.amdhsa_round_robin_scheduling 0
		.amdhsa_exception_fp_ieee_invalid_op 0
		.amdhsa_exception_fp_denorm_src 0
		.amdhsa_exception_fp_ieee_div_zero 0
		.amdhsa_exception_fp_ieee_overflow 0
		.amdhsa_exception_fp_ieee_underflow 0
		.amdhsa_exception_fp_ieee_inexact 0
		.amdhsa_exception_int_div_zero 0
	.end_amdhsa_kernel
	.section	.text._ZN4vllm4gptq33gemm_half_q_half_gptq_2bit_kernelILb1ELi6EEEvPK6__halfPKjS6_S4_PS2_iiiibPKi,"axG",@progbits,_ZN4vllm4gptq33gemm_half_q_half_gptq_2bit_kernelILb1ELi6EEEvPK6__halfPKjS6_S4_PS2_iiiibPKi,comdat
.Lfunc_end35:
	.size	_ZN4vllm4gptq33gemm_half_q_half_gptq_2bit_kernelILb1ELi6EEEvPK6__halfPKjS6_S4_PS2_iiiibPKi, .Lfunc_end35-_ZN4vllm4gptq33gemm_half_q_half_gptq_2bit_kernelILb1ELi6EEEvPK6__halfPKjS6_S4_PS2_iiiibPKi
                                        ; -- End function
	.set _ZN4vllm4gptq33gemm_half_q_half_gptq_2bit_kernelILb1ELi6EEEvPK6__halfPKjS6_S4_PS2_iiiibPKi.num_vgpr, 88
	.set _ZN4vllm4gptq33gemm_half_q_half_gptq_2bit_kernelILb1ELi6EEEvPK6__halfPKjS6_S4_PS2_iiiibPKi.num_agpr, 0
	.set _ZN4vllm4gptq33gemm_half_q_half_gptq_2bit_kernelILb1ELi6EEEvPK6__halfPKjS6_S4_PS2_iiiibPKi.numbered_sgpr, 23
	.set _ZN4vllm4gptq33gemm_half_q_half_gptq_2bit_kernelILb1ELi6EEEvPK6__halfPKjS6_S4_PS2_iiiibPKi.num_named_barrier, 0
	.set _ZN4vllm4gptq33gemm_half_q_half_gptq_2bit_kernelILb1ELi6EEEvPK6__halfPKjS6_S4_PS2_iiiibPKi.private_seg_size, 0
	.set _ZN4vllm4gptq33gemm_half_q_half_gptq_2bit_kernelILb1ELi6EEEvPK6__halfPKjS6_S4_PS2_iiiibPKi.uses_vcc, 1
	.set _ZN4vllm4gptq33gemm_half_q_half_gptq_2bit_kernelILb1ELi6EEEvPK6__halfPKjS6_S4_PS2_iiiibPKi.uses_flat_scratch, 0
	.set _ZN4vllm4gptq33gemm_half_q_half_gptq_2bit_kernelILb1ELi6EEEvPK6__halfPKjS6_S4_PS2_iiiibPKi.has_dyn_sized_stack, 0
	.set _ZN4vllm4gptq33gemm_half_q_half_gptq_2bit_kernelILb1ELi6EEEvPK6__halfPKjS6_S4_PS2_iiiibPKi.has_recursion, 0
	.set _ZN4vllm4gptq33gemm_half_q_half_gptq_2bit_kernelILb1ELi6EEEvPK6__halfPKjS6_S4_PS2_iiiibPKi.has_indirect_call, 0
	.section	.AMDGPU.csdata,"",@progbits
; Kernel info:
; codeLenInByte = 6268
; TotalNumSgprs: 25
; NumVgprs: 88
; ScratchSize: 0
; MemoryBound: 0
; FloatMode: 240
; IeeeMode: 1
; LDSByteSize: 1536 bytes/workgroup (compile time only)
; SGPRBlocks: 0
; VGPRBlocks: 5
; NumSGPRsForWavesPerEU: 25
; NumVGPRsForWavesPerEU: 88
; NamedBarCnt: 0
; Occupancy: 10
; WaveLimiterHint : 0
; COMPUTE_PGM_RSRC2:SCRATCH_EN: 0
; COMPUTE_PGM_RSRC2:USER_SGPR: 2
; COMPUTE_PGM_RSRC2:TRAP_HANDLER: 0
; COMPUTE_PGM_RSRC2:TGID_X_EN: 1
; COMPUTE_PGM_RSRC2:TGID_Y_EN: 1
; COMPUTE_PGM_RSRC2:TGID_Z_EN: 1
; COMPUTE_PGM_RSRC2:TIDIG_COMP_CNT: 0
	.section	.text._ZN4vllm4gptq33gemm_half_q_half_gptq_3bit_kernelILb1ELi6EEEvPK6__halfPKjS6_S4_PS2_iiiibPKi,"axG",@progbits,_ZN4vllm4gptq33gemm_half_q_half_gptq_3bit_kernelILb1ELi6EEEvPK6__halfPKjS6_S4_PS2_iiiibPKi,comdat
	.protected	_ZN4vllm4gptq33gemm_half_q_half_gptq_3bit_kernelILb1ELi6EEEvPK6__halfPKjS6_S4_PS2_iiiibPKi ; -- Begin function _ZN4vllm4gptq33gemm_half_q_half_gptq_3bit_kernelILb1ELi6EEEvPK6__halfPKjS6_S4_PS2_iiiibPKi
	.globl	_ZN4vllm4gptq33gemm_half_q_half_gptq_3bit_kernelILb1ELi6EEEvPK6__halfPKjS6_S4_PS2_iiiibPKi
	.p2align	8
	.type	_ZN4vllm4gptq33gemm_half_q_half_gptq_3bit_kernelILb1ELi6EEEvPK6__halfPKjS6_S4_PS2_iiiibPKi,@function
_ZN4vllm4gptq33gemm_half_q_half_gptq_3bit_kernelILb1ELi6EEEvPK6__halfPKjS6_S4_PS2_iiiibPKi: ; @_ZN4vllm4gptq33gemm_half_q_half_gptq_3bit_kernelILb1ELi6EEEvPK6__halfPKjS6_S4_PS2_iiiibPKi
; %bb.0:
	s_clause 0x1
	s_load_b128 s[4:7], s[0:1], 0x2c
	s_load_b64 s[12:13], s[0:1], 0x10
	s_bfe_u32 s2, ttmp6, 0x40014
	s_lshr_b32 s3, ttmp7, 16
	s_add_co_i32 s2, s2, 1
	s_bfe_u32 s9, ttmp6, 0x40010
	s_mul_i32 s2, s3, s2
	s_bfe_u32 s8, ttmp6, 0x40008
	s_and_b32 s10, ttmp7, 0xffff
	s_add_co_i32 s9, s9, 1
	s_add_co_i32 s8, s8, s2
	s_mul_i32 s2, s10, s9
	s_bfe_u32 s9, ttmp6, 0x40004
	s_getreg_b32 s19, hwreg(HW_REG_IB_STS2, 6, 4)
	s_add_co_i32 s9, s9, s2
	s_cmp_eq_u32 s19, 0
	s_cselect_b32 s2, s3, s8
	s_cselect_b32 s16, s10, s9
	s_lshl_b32 s17, s2, 7
	s_wait_kmcnt 0x0
	v_cvt_f64_i32_e32 v[4:5], s5
	s_add_co_i32 s2, s17, 0x80
	s_mul_i32 s16, s16, 6
	v_cvt_f64_u32_e32 v[2:3], s2
	s_mov_b32 s10, exec_lo
	s_delay_alu instid0(VALU_DEP_1) | instskip(NEXT) | instid1(VALU_DEP_1)
	v_min_num_f64_e32 v[2:3], v[2:3], v[4:5]
	v_cvt_i32_f64_e32 v1, v[2:3]
	v_add_nc_u32_e32 v2, s17, v0
	s_delay_alu instid0(VALU_DEP_2) | instskip(NEXT) | instid1(VALU_DEP_2)
	v_readfirstlane_b32 s18, v1
	v_cmpx_lt_u32_e64 v2, v1
	s_cbranch_execz .LBB36_14
; %bb.1:
	s_clause 0x1
	s_load_b64 s[8:9], s[0:1], 0x40
	s_load_b64 s[2:3], s[0:1], 0x0
	v_mov_b32_e32 v3, 0
	s_delay_alu instid0(VALU_DEP_1)
	v_mov_b64_e32 v[6:7], v[2:3]
	s_wait_kmcnt 0x0
	v_lshl_add_u64 v[4:5], v[2:3], 2, s[8:9]
	s_cmp_lg_u64 s[8:9], 0
	s_cselect_b32 s11, -1, 0
	s_cmp_eq_u64 s[8:9], 0
	s_cbranch_scc1 .LBB36_3
; %bb.2:
	global_load_b32 v6, v[4:5], off
	s_wait_loadcnt 0x0
	v_ashrrev_i32_e32 v7, 31, v6
.LBB36_3:
	s_mul_i32 s8, s16, s5
	v_cndmask_b32_e64 v8, 0, 1, s11
	s_ashr_i32 s9, s8, 31
	v_lshlrev_b32_e32 v1, 1, v0
	s_lshl_b64 s[14:15], s[8:9], 1
	s_and_not1_b32 vcc_lo, exec_lo, s11
	s_add_nc_u64 s[14:15], s[2:3], s[14:15]
	s_delay_alu instid0(SALU_CYCLE_1)
	v_lshl_add_u64 v[6:7], v[6:7], 1, s[14:15]
	global_load_u16 v9, v[6:7], off
	s_wait_xcnt 0x0
	v_mov_b64_e32 v[6:7], v[2:3]
	s_wait_loadcnt 0x0
	ds_store_b16 v1, v9
	s_cbranch_vccnz .LBB36_5
; %bb.4:
	global_load_b32 v6, v[4:5], off
	s_wait_loadcnt 0x0
	v_ashrrev_i32_e32 v7, 31, v6
.LBB36_5:
	s_add_co_i32 s8, s8, s5
	v_cmp_ne_u32_e32 vcc_lo, 1, v8
	s_ashr_i32 s9, s8, 31
	s_delay_alu instid0(SALU_CYCLE_1) | instskip(SKIP_2) | instid1(SALU_CYCLE_1)
	s_lshl_b64 s[14:15], s[8:9], 1
	s_and_b32 vcc_lo, exec_lo, vcc_lo
	s_add_nc_u64 s[14:15], s[2:3], s[14:15]
	v_lshl_add_u64 v[6:7], v[6:7], 1, s[14:15]
	global_load_u16 v9, v[6:7], off
	s_wait_xcnt 0x0
	v_mov_b64_e32 v[6:7], v[2:3]
	s_wait_loadcnt 0x0
	ds_store_b16 v1, v9 offset:256
	s_cbranch_vccnz .LBB36_7
; %bb.6:
	global_load_b32 v6, v[4:5], off
	s_wait_loadcnt 0x0
	v_ashrrev_i32_e32 v7, 31, v6
.LBB36_7:
	s_add_co_i32 s8, s8, s5
	v_cmp_ne_u32_e32 vcc_lo, 1, v8
	s_ashr_i32 s9, s8, 31
	s_delay_alu instid0(SALU_CYCLE_1) | instskip(SKIP_2) | instid1(SALU_CYCLE_1)
	s_lshl_b64 s[14:15], s[8:9], 1
	s_and_b32 vcc_lo, exec_lo, vcc_lo
	s_add_nc_u64 s[14:15], s[2:3], s[14:15]
	v_lshl_add_u64 v[6:7], v[6:7], 1, s[14:15]
	global_load_u16 v9, v[6:7], off
	s_wait_xcnt 0x0
	v_mov_b64_e32 v[6:7], v[2:3]
	s_wait_loadcnt 0x0
	ds_store_b16 v1, v9 offset:512
	;; [unrolled: 19-line block ×3, first 2 shown]
	s_cbranch_vccnz .LBB36_11
; %bb.10:
	global_load_b32 v6, v[4:5], off
	s_wait_loadcnt 0x0
	v_ashrrev_i32_e32 v7, 31, v6
.LBB36_11:
	s_add_co_i32 s8, s8, s5
	v_cmp_ne_u32_e32 vcc_lo, 1, v8
	s_ashr_i32 s9, s8, 31
	s_delay_alu instid0(SALU_CYCLE_1) | instskip(SKIP_2) | instid1(SALU_CYCLE_1)
	s_lshl_b64 s[14:15], s[8:9], 1
	s_and_b32 vcc_lo, exec_lo, vcc_lo
	s_add_nc_u64 s[14:15], s[2:3], s[14:15]
	v_lshl_add_u64 v[6:7], v[6:7], 1, s[14:15]
	global_load_u16 v6, v[6:7], off
	s_wait_loadcnt 0x0
	ds_store_b16 v1, v6 offset:1024
	s_cbranch_vccnz .LBB36_13
; %bb.12:
	global_load_b32 v2, v[4:5], off
	s_wait_loadcnt 0x0
	v_ashrrev_i32_e32 v3, 31, v2
.LBB36_13:
	s_add_co_i32 s8, s8, s5
	s_delay_alu instid0(SALU_CYCLE_1) | instskip(NEXT) | instid1(SALU_CYCLE_1)
	s_ashr_i32 s9, s8, 31
	s_lshl_b64 s[8:9], s[8:9], 1
	s_delay_alu instid0(SALU_CYCLE_1) | instskip(NEXT) | instid1(SALU_CYCLE_1)
	s_add_nc_u64 s[2:3], s[2:3], s[8:9]
	v_lshl_add_u64 v[2:3], v[2:3], 1, s[2:3]
	global_load_u16 v2, v[2:3], off
	s_wait_loadcnt 0x0
	ds_store_b16 v1, v2 offset:1280
.LBB36_14:
	s_or_b32 exec_lo, exec_lo, s10
	s_clause 0x1
	s_load_b64 s[14:15], s[0:1], 0x8
	s_load_b128 s[8:11], s[0:1], 0x18
	s_wait_xcnt 0x0
	s_bfe_u32 s0, ttmp6, 0x4000c
	s_and_b32 s1, ttmp6, 15
	s_add_co_i32 s0, s0, 1
	v_lshlrev_b32_e32 v0, 2, v0
	s_mul_i32 s0, ttmp9, s0
	s_delay_alu instid0(SALU_CYCLE_1) | instskip(SKIP_2) | instid1(SALU_CYCLE_1)
	s_add_co_i32 s1, s1, s0
	s_cmp_eq_u32 s19, 0
	s_cselect_b32 s0, ttmp9, s1
	v_lshl_add_u32 v12, s0, 9, v0
	s_mov_b32 s0, exec_lo
	s_delay_alu instid0(VALU_DEP_1)
	v_cmpx_gt_i32_e64 s4, v12
	s_cbranch_execz .LBB36_76
; %bb.15:
	s_abs_i32 s0, s6
	s_abs_i32 s3, s5
	s_cvt_f32_u32 s1, s0
	s_sub_co_i32 s2, 0, s0
	v_and_b32_e32 v2, 28, v0
	s_wait_dscnt 0x0
	v_rcp_iflag_f32_e32 v1, s1
	s_barrier_signal -1
	s_barrier_wait -1
	v_cmp_lt_u32_e32 vcc_lo, 4, v2
                                        ; implicit-def: $vgpr0
	s_delay_alu instid0(TRANS32_DEP_1) | instskip(SKIP_1) | instid1(SALU_CYCLE_3)
	v_readfirstlane_b32 s1, v1
	s_mul_f32 s1, s1, 0x4f7ffffe
	s_cvt_u32_f32 s1, s1
	s_delay_alu instid0(SALU_CYCLE_3) | instskip(NEXT) | instid1(SALU_CYCLE_1)
	s_mul_i32 s2, s2, s1
	s_mul_hi_u32 s2, s1, s2
	s_delay_alu instid0(SALU_CYCLE_1) | instskip(SKIP_4) | instid1(SALU_CYCLE_1)
	s_add_co_i32 s1, s1, s2
	s_xor_b32 s2, s5, s6
	s_mul_hi_u32 s1, s3, s1
	s_ashr_i32 s2, s2, 31
	s_mul_i32 s5, s1, s0
	s_sub_co_i32 s3, s3, s5
	s_add_co_i32 s5, s1, 1
	s_sub_co_i32 s6, s3, s0
	s_cmp_ge_u32 s3, s0
	s_cselect_b32 s1, s5, s1
	s_cselect_b32 s3, s6, s3
	s_add_co_i32 s5, s1, 1
	s_cmp_ge_u32 s3, s0
	s_cselect_b32 s0, s5, s1
	s_delay_alu instid0(SALU_CYCLE_1) | instskip(NEXT) | instid1(SALU_CYCLE_1)
	s_xor_b32 s0, s0, s2
	s_sub_co_i32 s3, s0, s2
	s_delay_alu instid0(SALU_CYCLE_1) | instskip(SKIP_1) | instid1(SALU_CYCLE_2)
	s_cvt_f32_u32 s0, s3
	s_sub_co_i32 s1, 0, s3
	v_rcp_iflag_f32_e32 v1, s0
	v_nop
	s_delay_alu instid0(TRANS32_DEP_1) | instskip(SKIP_1) | instid1(SALU_CYCLE_3)
	v_readfirstlane_b32 s0, v1
                                        ; implicit-def: $vgpr1
	s_mul_f32 s0, s0, 0x4f7ffffe
	s_cvt_u32_f32 s0, s0
	s_delay_alu instid0(SALU_CYCLE_3) | instskip(NEXT) | instid1(SALU_CYCLE_1)
	s_mul_i32 s1, s1, s0
	s_mul_hi_u32 s1, s0, s1
	s_delay_alu instid0(SALU_CYCLE_1) | instskip(NEXT) | instid1(SALU_CYCLE_1)
	s_add_co_i32 s0, s0, s1
	s_mul_hi_u32 s0, s17, s0
	s_delay_alu instid0(SALU_CYCLE_1) | instskip(SKIP_2) | instid1(SALU_CYCLE_1)
	s_mul_i32 s1, s0, s3
	s_add_co_i32 s2, s0, 1
	s_sub_co_i32 s1, s17, s1
	s_sub_co_i32 s5, s1, s3
	s_cmp_ge_u32 s1, s3
	s_cselect_b32 s0, s2, s0
	s_cselect_b32 s1, s5, s1
	s_add_co_i32 s2, s0, 1
	s_cmp_ge_u32 s1, s3
	s_cselect_b32 s19, s2, s0
	s_and_saveexec_b32 s0, vcc_lo
	s_delay_alu instid0(SALU_CYCLE_1)
	s_xor_b32 s1, exec_lo, s0
	s_cbranch_execz .LBB36_29
; %bb.16:
	s_mov_b32 s2, exec_lo
                                        ; implicit-def: $vgpr1
                                        ; implicit-def: $vgpr0
	v_cmpx_ne_u32_e32 8, v2
	s_xor_b32 s2, exec_lo, s2
	s_cbranch_execz .LBB36_26
; %bb.17:
	s_mov_b32 s5, exec_lo
                                        ; implicit-def: $vgpr1
                                        ; implicit-def: $vgpr0
	v_cmpx_lt_u32_e32 16, v2
	s_xor_b32 s5, exec_lo, s5
	s_cbranch_execz .LBB36_23
; %bb.18:
	v_lshl_add_u32 v0, v12, 1, v12
	s_mul_i32 s6, s19, s4
	s_delay_alu instid0(SALU_CYCLE_1) | instskip(NEXT) | instid1(SALU_CYCLE_1)
	s_ashr_i32 s0, s6, 31
	s_lshr_b32 s0, s0, 27
	s_delay_alu instid0(VALU_DEP_1) | instskip(SKIP_1) | instid1(SALU_CYCLE_1)
	v_ashrrev_i32_e32 v1, 31, v0
	s_add_co_i32 s0, s6, s0
	s_ashr_i32 s0, s0, 5
	s_delay_alu instid0(VALU_DEP_1) | instskip(NEXT) | instid1(VALU_DEP_1)
	v_lshrrev_b32_e32 v1, 27, v1
	v_add_nc_u32_e32 v0, v0, v1
                                        ; implicit-def: $vgpr1
	s_delay_alu instid0(VALU_DEP_1) | instskip(NEXT) | instid1(VALU_DEP_1)
	v_ashrrev_i32_e32 v0, 5, v0
	v_mad_u32 v0, s0, 3, v0
	v_cmp_ne_u32_e64 s0, 20, v2
	global_load_b32 v3, v0, s[12:13] scale_offset
	s_wait_xcnt 0x0
	s_and_saveexec_b32 s20, s0
	s_delay_alu instid0(SALU_CYCLE_1)
	s_xor_b32 s0, exec_lo, s20
	s_cbranch_execz .LBB36_20
; %bb.19:
	v_mad_u32_u24 v0, v2, 3, 0xffffffc0
	s_wait_loadcnt 0x0
	s_delay_alu instid0(VALU_DEP_1)
	v_lshrrev_b32_e32 v1, v0, v3
                                        ; implicit-def: $vgpr0
                                        ; implicit-def: $vgpr3
.LBB36_20:
	s_and_not1_saveexec_b32 s0, s0
	s_cbranch_execz .LBB36_22
; %bb.21:
	v_ashrrev_i32_e32 v1, 31, v0
	s_delay_alu instid0(VALU_DEP_1) | instskip(SKIP_3) | instid1(VALU_DEP_1)
	v_lshl_add_u64 v[0:1], v[0:1], 2, s[12:13]
	global_load_b32 v0, v[0:1], off offset:4
	s_wait_loadcnt 0x0
	v_alignbit_b32 v0, v0, v3, 28
	v_and_b32_e32 v1, 0xfff, v0
.LBB36_22:
	s_or_b32 exec_lo, exec_lo, s0
	v_mov_b32_e32 v0, s6
.LBB36_23:
	s_and_not1_saveexec_b32 s0, s5
	s_cbranch_execz .LBB36_25
; %bb.24:
	v_lshl_add_u32 v0, v12, 1, v12
	s_mul_i32 s5, s19, s4
	s_delay_alu instid0(SALU_CYCLE_1) | instskip(NEXT) | instid1(SALU_CYCLE_1)
	s_ashr_i32 s6, s5, 31
	s_lshr_b32 s6, s6, 27
	s_delay_alu instid0(VALU_DEP_1) | instskip(SKIP_1) | instid1(SALU_CYCLE_1)
	v_ashrrev_i32_e32 v1, 31, v0
	s_add_co_i32 s6, s5, s6
	s_ashr_i32 s6, s6, 5
	s_delay_alu instid0(VALU_DEP_1) | instskip(NEXT) | instid1(VALU_DEP_1)
	v_lshrrev_b32_e32 v1, 27, v1
	v_add_nc_u32_e32 v0, v0, v1
	v_mad_u32_u24 v1, v2, 3, 0xffffffe0
	s_delay_alu instid0(VALU_DEP_2) | instskip(NEXT) | instid1(VALU_DEP_1)
	v_ashrrev_i32_e32 v0, 5, v0
	v_mad_u32 v0, s6, 3, v0
	global_load_b32 v0, v0, s[12:13] scale_offset
	s_wait_loadcnt 0x0
	v_dual_mov_b32 v0, s5 :: v_dual_lshrrev_b32 v1, v1, v0
.LBB36_25:
	s_or_b32 exec_lo, exec_lo, s0
.LBB36_26:
	s_and_not1_saveexec_b32 s0, s2
	s_cbranch_execz .LBB36_28
; %bb.27:
	v_lshl_add_u32 v0, v12, 1, v12
	s_mul_i32 s2, s19, s4
	s_delay_alu instid0(SALU_CYCLE_1) | instskip(NEXT) | instid1(SALU_CYCLE_1)
	s_ashr_i32 s5, s2, 31
	s_lshr_b32 s5, s5, 27
	s_delay_alu instid0(VALU_DEP_1) | instskip(SKIP_1) | instid1(SALU_CYCLE_1)
	v_ashrrev_i32_e32 v1, 31, v0
	s_add_co_i32 s5, s2, s5
	s_ashr_i32 s5, s5, 5
	s_delay_alu instid0(VALU_DEP_1) | instskip(NEXT) | instid1(VALU_DEP_1)
	v_lshrrev_b32_e32 v1, 27, v1
	v_add_nc_u32_e32 v0, v0, v1
	s_delay_alu instid0(VALU_DEP_1) | instskip(NEXT) | instid1(VALU_DEP_1)
	v_ashrrev_i32_e32 v0, 5, v0
	v_mad_u32 v0, s5, 3, v0
	s_delay_alu instid0(VALU_DEP_1) | instskip(NEXT) | instid1(VALU_DEP_1)
	v_ashrrev_i32_e32 v1, 31, v0
	v_lshl_add_u64 v[0:1], v[0:1], 2, s[12:13]
	global_load_b64 v[0:1], v[0:1], off
	s_wait_loadcnt 0x0
	v_perm_b32 v0, v0, v1, 0x2010007
	s_delay_alu instid0(VALU_DEP_1)
	v_and_b32_e32 v1, 0xfff, v0
	v_mov_b32_e32 v0, s2
.LBB36_28:
	s_or_b32 exec_lo, exec_lo, s0
.LBB36_29:
	s_or_saveexec_b32 s0, s1
	s_wait_loadcnt 0x0
	v_lshl_add_u32 v3, v12, 1, v12
	v_mul_u32_u24_e32 v30, 3, v2
	s_delay_alu instid0(VALU_DEP_2)
	v_ashrrev_i32_e32 v4, 31, v3
	s_xor_b32 exec_lo, exec_lo, s0
	s_cbranch_execz .LBB36_31
; %bb.30:
	s_delay_alu instid0(VALU_DEP_1) | instskip(SKIP_1) | instid1(SALU_CYCLE_1)
	v_lshrrev_b32_e32 v0, 27, v4
	s_mul_i32 s1, s19, s4
	s_ashr_i32 s2, s1, 31
	s_delay_alu instid0(SALU_CYCLE_1) | instskip(NEXT) | instid1(VALU_DEP_1)
	s_lshr_b32 s2, s2, 27
	v_add_nc_u32_e32 v0, v3, v0
	s_add_co_i32 s2, s1, s2
	s_delay_alu instid0(SALU_CYCLE_1) | instskip(NEXT) | instid1(VALU_DEP_1)
	s_ashr_i32 s2, s2, 5
	v_ashrrev_i32_e32 v0, 5, v0
	s_delay_alu instid0(VALU_DEP_1)
	v_mad_u32 v0, s2, 3, v0
	global_load_b32 v0, v0, s[12:13] scale_offset
	s_wait_loadcnt 0x0
	v_dual_mov_b32 v0, s1 :: v_dual_lshrrev_b32 v1, v30, v0
.LBB36_31:
	s_or_b32 exec_lo, exec_lo, s0
	v_dual_mov_b32 v33, 0 :: v_dual_mov_b32 v32, 0
	v_dual_mov_b32 v31, 0 :: v_dual_mov_b32 v29, 0
	;; [unrolled: 1-line block ×6, first 2 shown]
	s_cmp_ge_i32 s17, s18
	s_mov_b32 s20, 0
	s_cbranch_scc1 .LBB36_52
; %bb.32:
	v_dual_add_nc_u32 v6, v0, v12 :: v_dual_ashrrev_i32 v13, 31, v12
	s_lshr_b32 s0, s17, 5
	s_add_co_i32 s21, s3, s17
	s_mul_i32 s0, s0, s4
	s_delay_alu instid0(VALU_DEP_1)
	v_dual_ashrrev_i32 v7, 31, v6 :: v_dual_lshrrev_b32 v0, 27, v4
	s_mul_i32 s22, s0, 3
	v_bfe_u32 v38, v1, 9, 3
	s_ashr_i32 s23, s22, 31
	s_wait_kmcnt 0x0
	v_lshl_add_u64 v[6:7], v[6:7], 1, s[8:9]
	s_bitcmp1_b32 s7, 0
	v_dual_add_nc_u32 v0, v3, v0 :: v_dual_bitop2_b32 v41, 7, v1 bitop3:0x40
	s_cselect_b32 s0, -1, 0
	global_load_b64 v[16:17], v[6:7], off
	s_lshl_b64 s[6:7], s[22:23], 2
	s_xor_b32 s0, s0, -1
	s_add_nc_u64 s[6:7], s[14:15], s[6:7]
	v_cndmask_b32_e64 v34, 0, 1, s0
	v_bfe_u32 v39, v1, 6, 3
	v_bfe_u32 v40, v1, 3, 3
	v_cmp_ne_u32_e64 s0, 8, v2
	v_cmp_lt_u32_e64 s1, 16, v2
	v_cmp_ne_u32_e64 s2, 20, v2
	v_ashrrev_i32_e32 v35, 5, v0
	v_mad_u32_u24 v36, v2, 3, 0xffffffc0
	v_mad_u32_u24 v37, v2, 3, 0xffffffe0
	v_lshl_add_u64 v[14:15], v[12:13], 2, s[6:7]
	v_dual_mov_b32 v13, 0 :: v_dual_mov_b32 v22, 0
	v_dual_mov_b32 v23, 0 :: v_dual_mov_b32 v24, 0
	;; [unrolled: 1-line block ×6, first 2 shown]
	s_ashr_i32 s5, s4, 31
	s_mov_b32 s22, 0x70007
	s_mul_u64 s[6:7], s[4:5], 12
	s_lshl_b64 s[14:15], s[4:5], 2
	s_mov_b32 s5, 0x10001
	s_mov_b32 s23, 0x380038
	;; [unrolled: 1-line block ×3, first 2 shown]
	s_branch .LBB36_35
.LBB36_33:                              ;   in Loop: Header=BB36_35 Depth=1
	s_or_b32 exec_lo, exec_lo, s26
	s_delay_alu instid0(VALU_DEP_1) | instskip(SKIP_3) | instid1(VALU_DEP_4)
	v_dual_add_nc_u32 v0, s25, v12 :: v_dual_bitop2_b32 v41, 7, v2 bitop3:0x40
	v_bfe_u32 v40, v2, 3, 3
	v_bfe_u32 v39, v2, 6, 3
	;; [unrolled: 1-line block ×3, first 2 shown]
	v_ashrrev_i32_e32 v1, 31, v0
	s_add_co_i32 s21, s21, s3
	s_delay_alu instid0(VALU_DEP_1)
	v_lshl_add_u64 v[0:1], v[0:1], 1, s[8:9]
	s_wait_loadcnt 0x1
	global_load_b64 v[16:17], v[0:1], off
.LBB36_34:                              ;   in Loop: Header=BB36_35 Depth=1
	global_load_b128 v[8:11], v[14:15], off
	s_wait_xcnt 0x1
	v_add_nc_u32_e32 v0, v41, v34
	s_add_co_i32 s25, s20, 0x400
	v_mov_b32_e32 v110, s20
	s_add_co_i32 s17, s17, 32
	s_delay_alu instid0(VALU_DEP_2) | instskip(SKIP_1) | instid1(VALU_DEP_2)
	v_cvt_f32_u32_e32 v1, v0
	v_mad_u32_u24 v44, v0, s5, 0xe400e400
	v_cvt_f16_f32_e32 v1, v1
	s_delay_alu instid0(VALU_DEP_1) | instskip(SKIP_1) | instid1(VALU_DEP_2)
	v_sub_f16_e32 v2, 0xd800, v1
	v_sub_f16_e32 v1, 0xcc00, v1
	v_and_b32_e32 v0, 0xffff, v2
	s_delay_alu instid0(VALU_DEP_1) | instskip(NEXT) | instid1(VALU_DEP_3)
	v_mul_u32_u24_e32 v45, 0x10001, v0
	v_and_b32_e32 v0, 0xffff, v1
	s_delay_alu instid0(VALU_DEP_1) | instskip(SKIP_1) | instid1(VALU_DEP_1)
	v_mul_u32_u24_e32 v46, 0x10001, v0
	v_add_nc_u32_e32 v0, v40, v34
	v_cvt_f32_u32_e32 v1, v0
	v_mad_u32_u24 v47, v0, s5, 0xe400e400
	s_delay_alu instid0(VALU_DEP_2) | instskip(NEXT) | instid1(VALU_DEP_1)
	v_cvt_f16_f32_e32 v1, v1
	v_sub_f16_e32 v2, 0xd800, v1
	v_sub_f16_e32 v1, 0xcc00, v1
	s_delay_alu instid0(VALU_DEP_2) | instskip(NEXT) | instid1(VALU_DEP_1)
	v_and_b32_e32 v0, 0xffff, v2
	v_mul_u32_u24_e32 v48, 0x10001, v0
	s_delay_alu instid0(VALU_DEP_3) | instskip(NEXT) | instid1(VALU_DEP_1)
	v_and_b32_e32 v0, 0xffff, v1
	v_mul_u32_u24_e32 v49, 0x10001, v0
	v_add_nc_u32_e32 v0, v39, v34
	s_delay_alu instid0(VALU_DEP_1) | instskip(SKIP_1) | instid1(VALU_DEP_2)
	v_cvt_f32_u32_e32 v1, v0
	v_mad_u32_u24 v21, v0, s5, 0xe400e400
	v_cvt_f16_f32_e32 v1, v1
	s_delay_alu instid0(VALU_DEP_1) | instskip(SKIP_1) | instid1(VALU_DEP_2)
	v_sub_f16_e32 v2, 0xd800, v1
	v_sub_f16_e32 v1, 0xcc00, v1
	v_and_b32_e32 v0, 0xffff, v2
	s_delay_alu instid0(VALU_DEP_1) | instskip(NEXT) | instid1(VALU_DEP_3)
	v_mul_u32_u24_e32 v42, 0x10001, v0
	v_and_b32_e32 v0, 0xffff, v1
	s_delay_alu instid0(VALU_DEP_1) | instskip(SKIP_1) | instid1(VALU_DEP_1)
	v_mul_u32_u24_e32 v43, 0x10001, v0
	v_add_nc_u32_e32 v0, v38, v34
	v_cvt_f32_u32_e32 v1, v0
	v_mad_u32_u24 v18, v0, s5, 0xe400e400
	s_delay_alu instid0(VALU_DEP_2) | instskip(NEXT) | instid1(VALU_DEP_1)
	v_cvt_f16_f32_e32 v1, v1
	v_sub_f16_e32 v2, 0xd800, v1
	v_sub_f16_e32 v1, 0xcc00, v1
	s_delay_alu instid0(VALU_DEP_2) | instskip(NEXT) | instid1(VALU_DEP_1)
	v_and_b32_e32 v0, 0xffff, v2
	v_mul_u32_u24_e32 v19, 0x10001, v0
	s_delay_alu instid0(VALU_DEP_3) | instskip(NEXT) | instid1(VALU_DEP_1)
	v_and_b32_e32 v0, 0xffff, v1
	v_mul_u32_u24_e32 v20, 0x10001, v0
	v_add_nc_u64_e32 v[0:1], s[14:15], v[14:15]
	global_load_b128 v[4:7], v[0:1], off
	s_wait_xcnt 0x0
	v_add_nc_u64_e32 v[0:1], s[14:15], v[0:1]
	v_add_nc_u64_e32 v[14:15], s[6:7], v[14:15]
	s_wait_loadcnt 0x3
	global_load_b128 v[0:3], v[0:1], off
	s_wait_loadcnt 0x2
	v_and_or_b32 v50, v8, s22, 0x64006400
	v_and_or_b32 v51, v8, s23, 0x64006400
	v_dual_lshrrev_b32 v52, 6, v8 :: v_dual_lshrrev_b32 v8, 15, v8
	s_delay_alu instid0(VALU_DEP_3) | instskip(NEXT) | instid1(VALU_DEP_3)
	v_pk_add_f16 v112, v44, v50
	v_pk_fma_f16 v111, 0x3000, v51, v45 op_sel_hi:[0,1,1]
	s_delay_alu instid0(VALU_DEP_3) | instskip(SKIP_2) | instid1(VALU_DEP_3)
	v_and_or_b32 v53, v52, s22, 0x64006400
	v_and_or_b32 v54, v52, s23, 0x64006400
	;; [unrolled: 1-line block ×3, first 2 shown]
	v_pk_add_f16 v109, v44, v53
	s_delay_alu instid0(VALU_DEP_3) | instskip(NEXT) | instid1(VALU_DEP_3)
	v_pk_fma_f16 v108, 0x3000, v54, v45 op_sel_hi:[0,1,1]
	v_pk_fma_f16 v107, 0x2400, v52, v46 op_sel_hi:[0,1,1]
	s_wait_loadcnt 0x1
	v_and_or_b32 v55, v4, s22, 0x64006400
	v_and_or_b32 v56, v4, s23, 0x64006400
	v_dual_lshrrev_b32 v57, 6, v4 :: v_dual_lshrrev_b32 v4, 14, v4
	v_and_or_b32 v50, v5, s23, 0x64006400
	v_lshrrev_b32_e32 v51, 6, v5
	v_pk_add_f16 v106, v44, v55
	s_delay_alu instid0(VALU_DEP_4)
	v_and_or_b32 v58, v57, s22, 0x64006400
	v_and_b32_e32 v4, 0x20002, v4
	s_wait_loadcnt 0x0
	v_and_or_b32 v60, v0, s22, 0x64006400
	v_and_or_b32 v61, v0, s23, 0x64006400
	v_dual_lshrrev_b32 v62, 6, v0 :: v_dual_lshrrev_b32 v0, 13, v0
	v_and_or_b32 v59, v57, s23, 0x64006400
	v_and_or_b32 v57, v57, s24, 0x64006400
	;; [unrolled: 1-line block ×3, first 2 shown]
	s_delay_alu instid0(VALU_DEP_4)
	v_and_or_b32 v63, v62, s22, 0x64006400
	v_and_or_b32 v64, v62, s23, 0x64006400
	;; [unrolled: 1-line block ×3, first 2 shown]
	v_and_b32_e32 v0, 0x40004, v0
	v_pk_fma_f16 v102, 0x2400, v57, v46 op_sel_hi:[0,1,1]
	v_pk_fma_f16 v105, 0x3000, v56, v45 op_sel_hi:[0,1,1]
	v_lshrrev_b32_e32 v8, 6, v9
	v_pk_fma_f16 v96, 0x2400, v62, v46 op_sel_hi:[0,1,1]
	v_or3_b32 v0, v4, v0, 0x64006400
	v_and_or_b32 v46, v5, s22, 0x64006400
	v_lshrrev_b32_e32 v5, 14, v5
	v_and_or_b32 v4, v9, s23, 0x64006400
	v_and_or_b32 v54, v1, s22, 0x64006400
	v_pk_add_f16 v97, v44, v0
	v_and_or_b32 v0, v9, s22, 0x64006400
	v_lshrrev_b32_e32 v9, 15, v9
	v_and_b32_e32 v5, 0x20002, v5
	v_and_or_b32 v55, v1, s23, 0x64006400
	v_dual_lshrrev_b32 v56, 6, v1 :: v_dual_lshrrev_b32 v1, 13, v1
	v_pk_add_f16 v104, v44, v58
	s_delay_alu instid0(VALU_DEP_4)
	v_and_or_b32 v5, 0x10001, v9, v5
	v_pk_fma_f16 v103, 0x3000, v59, v45 op_sel_hi:[0,1,1]
	v_pk_add_f16 v101, v44, v60
	v_and_b32_e32 v1, 0x40004, v1
	v_pk_fma_f16 v100, 0x3000, v61, v45 op_sel_hi:[0,1,1]
	v_pk_add_f16 v99, v44, v63
	v_pk_fma_f16 v98, 0x3000, v64, v45 op_sel_hi:[0,1,1]
	v_and_or_b32 v44, v8, s22, 0x64006400
	v_and_or_b32 v45, v8, s23, 0x64006400
	v_or3_b32 v1, v5, v1, 0x64006400
	v_and_or_b32 v8, v8, s24, 0x64006400
	v_and_or_b32 v52, v51, s22, 0x64006400
	;; [unrolled: 1-line block ×7, first 2 shown]
	v_pk_add_f16 v95, v47, v0
	v_pk_fma_f16 v94, 0x3000, v4, v48 op_sel_hi:[0,1,1]
	v_pk_add_f16 v93, v47, v44
	v_pk_fma_f16 v92, 0x3000, v45, v48 op_sel_hi:[0,1,1]
	v_pk_add_f16 v87, v47, v1
	v_and_or_b32 v0, v10, s22, 0x64006400
	v_and_or_b32 v1, v10, s23, 0x64006400
	v_dual_lshrrev_b32 v4, 6, v10 :: v_dual_lshrrev_b32 v9, 15, v10
	v_and_or_b32 v10, v6, s22, 0x64006400
	v_and_or_b32 v44, v6, s23, 0x64006400
	v_dual_lshrrev_b32 v45, 6, v6 :: v_dual_lshrrev_b32 v6, 14, v6
	v_pk_fma_f16 v91, 0x2400, v8, v49 op_sel_hi:[0,1,1]
	v_pk_fma_f16 v89, 0x3000, v50, v48 op_sel_hi:[0,1,1]
	;; [unrolled: 1-line block ×7, first 2 shown]
	v_and_b32_e32 v6, 0x20002, v6
	v_and_or_b32 v48, v2, s22, 0x64006400
	v_and_or_b32 v49, v2, s23, 0x64006400
	v_dual_lshrrev_b32 v50, 6, v2 :: v_dual_lshrrev_b32 v2, 13, v2
	v_pk_add_f16 v63, v21, v0
	v_pk_fma_f16 v64, 0x3000, v1, v42 op_sel_hi:[0,1,1]
	v_and_or_b32 v0, v11, s22, 0x64006400
	v_and_or_b32 v1, v11, s23, 0x64006400
	;; [unrolled: 1-line block ×3, first 2 shown]
	v_and_b32_e32 v2, 0x40004, v2
	v_and_or_b32 v6, 0x10001, v9, v6
	v_pk_add_f16 v62, v18, v0
	v_pk_fma_f16 v61, 0x3000, v1, v19 op_sel_hi:[0,1,1]
	ds_load_2addr_b32 v[0:1], v110 offset1:1
	v_pk_add_f16 v90, v47, v46
	v_pk_add_f16 v88, v47, v52
	v_pk_add_f16 v82, v47, v54
	v_pk_add_f16 v84, v47, v57
	v_and_or_b32 v5, v4, s22, 0x64006400
	v_and_or_b32 v4, v4, s24, 0x64006400
	v_and_or_b32 v46, v45, s22, 0x64006400
	v_and_or_b32 v47, v45, s23, 0x64006400
	v_and_or_b32 v45, v45, s24, 0x64006400
	v_and_or_b32 v51, v50, s22, 0x64006400
	v_and_or_b32 v52, v50, s23, 0x64006400
	v_and_or_b32 v50, v50, s24, 0x64006400
	v_or3_b32 v2, v6, v2, 0x64006400
	v_pk_fma_f16 v66, 0x3000, v8, v42 op_sel_hi:[0,1,1]
	v_pk_add_f16 v68, v21, v10
	v_and_or_b32 v8, v7, s22, 0x64006400
	v_and_or_b32 v9, v7, s23, 0x64006400
	v_dual_lshrrev_b32 v10, 6, v7 :: v_dual_lshrrev_b32 v7, 14, v7
	v_pk_fma_f16 v67, 0x2400, v4, v43 op_sel_hi:[0,1,1]
	v_pk_fma_f16 v69, 0x3000, v44, v42 op_sel_hi:[0,1,1]
	v_pk_fma_f16 v71, 0x3000, v47, v42 op_sel_hi:[0,1,1]
	v_pk_fma_f16 v72, 0x2400, v45, v43 op_sel_hi:[0,1,1]
	v_pk_fma_f16 v74, 0x3000, v49, v42 op_sel_hi:[0,1,1]
	v_pk_fma_f16 v76, 0x3000, v52, v42 op_sel_hi:[0,1,1]
	v_pk_fma_f16 v77, 0x2400, v50, v43 op_sel_hi:[0,1,1]
	v_pk_add_f16 v78, v21, v2
	v_dual_lshrrev_b32 v2, 6, v11 :: v_dual_lshrrev_b32 v6, 15, v11
	v_and_b32_e32 v7, 0x20002, v7
	v_and_or_b32 v42, v3, s22, 0x64006400
	v_and_or_b32 v43, v3, s23, 0x64006400
	v_dual_lshrrev_b32 v44, 6, v3 :: v_dual_lshrrev_b32 v3, 13, v3
	v_pk_add_f16 v65, v21, v5
	v_and_or_b32 v4, v2, s22, 0x64006400
	v_and_or_b32 v5, v2, s23, 0x64006400
	v_and_or_b32 v2, v2, s24, 0x64006400
	v_and_b32_e32 v3, 0x40004, v3
	v_and_or_b32 v6, 0x10001, v6, v7
	v_and_or_b32 v45, v44, s22, 0x64006400
	v_and_or_b32 v56, v44, s23, 0x64006400
	v_and_or_b32 v44, v44, s24, 0x64006400
	v_pk_fma_f16 v53, 0x2400, v2, v20 op_sel_hi:[0,1,1]
	v_or3_b32 v3, v6, v3, 0x64006400
	s_wait_dscnt 0x0
	v_pk_fma_f16 v2, v112, v0, 0
	v_pk_add_f16 v70, v21, v46
	v_pk_add_f16 v55, v18, v4
	v_pk_fma_f16 v46, 0x3000, v43, v19 op_sel_hi:[0,1,1]
	v_pk_fma_f16 v43, 0x2400, v44, v20 op_sel_hi:[0,1,1]
	v_pk_add_f16 v44, v18, v3
	v_pk_fma_f16 v4, v111, v1, v2
	ds_load_2addr_b32 v[2:3], v110 offset0:2 offset1:3
	v_pk_fma_f16 v54, 0x3000, v5, v19 op_sel_hi:[0,1,1]
	v_pk_add_f16 v52, v18, v8
	v_pk_add_f16 v73, v21, v48
	;; [unrolled: 1-line block ×3, first 2 shown]
	v_and_or_b32 v11, v10, s22, 0x64006400
	v_and_or_b32 v21, v10, s23, 0x64006400
	;; [unrolled: 1-line block ×3, first 2 shown]
	v_pk_fma_f16 v51, 0x3000, v9, v19 op_sel_hi:[0,1,1]
	v_pk_add_f16 v47, v18, v42
	v_pk_add_f16 v50, v18, v11
	;; [unrolled: 1-line block ×3, first 2 shown]
	v_pk_fma_f16 v48, 0x2400, v10, v20 op_sel_hi:[0,1,1]
	v_pk_fma_f16 v49, 0x3000, v21, v19 op_sel_hi:[0,1,1]
	;; [unrolled: 1-line block ×3, first 2 shown]
	s_wait_dscnt 0x0
	v_pk_fma_f16 v4, v109, v2, v4
	s_delay_alu instid0(VALU_DEP_1) | instskip(SKIP_3) | instid1(VALU_DEP_1)
	v_pk_fma_f16 v6, v108, v3, v4
	ds_load_2addr_b32 v[4:5], v110 offset0:4 offset1:5
	s_wait_dscnt 0x0
	v_pk_fma_f16 v6, v107, v4, v6
	v_pk_fma_f16 v8, v106, v5, v6
	ds_load_2addr_b32 v[6:7], v110 offset0:6 offset1:7
	s_wait_dscnt 0x0
	v_pk_fma_f16 v8, v105, v6, v8
	s_delay_alu instid0(VALU_DEP_1) | instskip(SKIP_3) | instid1(VALU_DEP_1)
	v_pk_fma_f16 v10, v104, v7, v8
	ds_load_2addr_b32 v[8:9], v110 offset0:8 offset1:9
	s_wait_dscnt 0x0
	v_pk_fma_f16 v10, v103, v8, v10
	v_pk_fma_f16 v18, v102, v9, v10
	ds_load_2addr_b32 v[10:11], v110 offset0:10 offset1:11
	;; [unrolled: 9-line block ×3, first 2 shown]
	s_wait_dscnt 0x0
	v_pk_fma_f16 v56, v96, v20, v56
	s_delay_alu instid0(VALU_DEP_1) | instskip(SKIP_1) | instid1(VALU_DEP_1)
	v_pk_fma_f16 v114, v97, v21, v56
	v_pk_fma_f16 v56, v95, v0, 0
	;; [unrolled: 1-line block ×3, first 2 shown]
	s_delay_alu instid0(VALU_DEP_1) | instskip(NEXT) | instid1(VALU_DEP_1)
	v_pk_fma_f16 v56, v93, v2, v56
	v_pk_fma_f16 v56, v92, v3, v56
	s_delay_alu instid0(VALU_DEP_1) | instskip(NEXT) | instid1(VALU_DEP_1)
	v_pk_fma_f16 v56, v91, v4, v56
	v_pk_fma_f16 v56, v90, v5, v56
	;; [unrolled: 3-line block ×7, first 2 shown]
	v_pk_fma_f16 v56, v63, v0, 0
	v_pk_fma_f16 v0, v62, v0, 0
	s_delay_alu instid0(VALU_DEP_2) | instskip(NEXT) | instid1(VALU_DEP_2)
	v_pk_fma_f16 v56, v64, v1, v56
	v_pk_fma_f16 v0, v61, v1, v0
	s_delay_alu instid0(VALU_DEP_2) | instskip(NEXT) | instid1(VALU_DEP_2)
	;; [unrolled: 3-line block ×15, first 2 shown]
	v_pk_fma_f16 v56, v78, v21, v56
	v_pk_fma_f16 v57, v44, v21, v0
	ds_load_2addr_b32 v[0:1], v110 offset0:64 offset1:65
	s_wait_dscnt 0x0
	v_pk_fma_f16 v2, v112, v0, 0
	s_delay_alu instid0(VALU_DEP_1) | instskip(SKIP_3) | instid1(VALU_DEP_1)
	v_pk_fma_f16 v4, v111, v1, v2
	ds_load_2addr_b32 v[2:3], v110 offset0:66 offset1:67
	s_wait_dscnt 0x0
	v_pk_fma_f16 v4, v109, v2, v4
	v_pk_fma_f16 v6, v108, v3, v4
	ds_load_2addr_b32 v[4:5], v110 offset0:68 offset1:69
	s_wait_dscnt 0x0
	v_pk_fma_f16 v6, v107, v4, v6
	s_delay_alu instid0(VALU_DEP_1) | instskip(SKIP_3) | instid1(VALU_DEP_1)
	v_pk_fma_f16 v8, v106, v5, v6
	ds_load_2addr_b32 v[6:7], v110 offset0:70 offset1:71
	s_wait_dscnt 0x0
	;; [unrolled: 9-line block ×4, first 2 shown]
	v_pk_fma_f16 v58, v96, v20, v58
	v_pk_fma_f16 v116, v97, v21, v58
	;; [unrolled: 1-line block ×3, first 2 shown]
	s_delay_alu instid0(VALU_DEP_1) | instskip(NEXT) | instid1(VALU_DEP_1)
	v_pk_fma_f16 v58, v94, v1, v58
	v_pk_fma_f16 v58, v93, v2, v58
	s_delay_alu instid0(VALU_DEP_1) | instskip(NEXT) | instid1(VALU_DEP_1)
	v_pk_fma_f16 v58, v92, v3, v58
	v_pk_fma_f16 v58, v91, v4, v58
	;; [unrolled: 3-line block ×7, first 2 shown]
	s_delay_alu instid0(VALU_DEP_1) | instskip(SKIP_2) | instid1(VALU_DEP_2)
	v_pk_fma_f16 v117, v87, v21, v58
	v_pk_fma_f16 v58, v63, v0, 0
	;; [unrolled: 1-line block ×4, first 2 shown]
	s_delay_alu instid0(VALU_DEP_2) | instskip(NEXT) | instid1(VALU_DEP_2)
	v_pk_fma_f16 v0, v61, v1, v0
	v_pk_fma_f16 v58, v65, v2, v58
	s_delay_alu instid0(VALU_DEP_2) | instskip(NEXT) | instid1(VALU_DEP_2)
	v_pk_fma_f16 v0, v55, v2, v0
	v_pk_fma_f16 v58, v66, v3, v58
	;; [unrolled: 3-line block ×10, first 2 shown]
	s_delay_alu instid0(VALU_DEP_2) | instskip(SKIP_3) | instid1(VALU_DEP_2)
	v_pk_fma_f16 v0, v46, v11, v0
	ds_load_2addr_b32 v[10:11], v110 offset0:132 offset1:133
	v_pk_fma_f16 v58, v75, v18, v58
	v_pk_fma_f16 v0, v45, v18, v0
	;; [unrolled: 1-line block ×3, first 2 shown]
	s_delay_alu instid0(VALU_DEP_2) | instskip(SKIP_3) | instid1(VALU_DEP_2)
	v_pk_fma_f16 v0, v42, v19, v0
	ds_load_2addr_b32 v[18:19], v110 offset0:130 offset1:131
	v_pk_fma_f16 v58, v77, v20, v58
	v_pk_fma_f16 v0, v43, v20, v0
	;; [unrolled: 1-line block ×3, first 2 shown]
	s_delay_alu instid0(VALU_DEP_2) | instskip(SKIP_3) | instid1(VALU_DEP_1)
	v_pk_fma_f16 v59, v44, v21, v0
	ds_load_2addr_b32 v[20:21], v110 offset0:128 offset1:129
	s_wait_dscnt 0x0
	v_pk_fma_f16 v0, v112, v20, 0
	v_pk_fma_f16 v0, v111, v21, v0
	s_delay_alu instid0(VALU_DEP_1) | instskip(NEXT) | instid1(VALU_DEP_1)
	v_pk_fma_f16 v0, v109, v18, v0
	v_pk_fma_f16 v0, v108, v19, v0
	s_delay_alu instid0(VALU_DEP_1) | instskip(NEXT) | instid1(VALU_DEP_1)
	v_pk_fma_f16 v0, v107, v10, v0
	v_pk_fma_f16 v2, v106, v11, v0
	ds_load_2addr_b32 v[0:1], v110 offset0:134 offset1:135
	s_wait_dscnt 0x0
	v_pk_fma_f16 v2, v105, v0, v2
	s_delay_alu instid0(VALU_DEP_1) | instskip(SKIP_3) | instid1(VALU_DEP_1)
	v_pk_fma_f16 v4, v104, v1, v2
	ds_load_2addr_b32 v[2:3], v110 offset0:136 offset1:137
	s_wait_dscnt 0x0
	v_pk_fma_f16 v4, v103, v2, v4
	v_pk_fma_f16 v6, v102, v3, v4
	ds_load_2addr_b32 v[4:5], v110 offset0:138 offset1:139
	s_wait_dscnt 0x0
	v_pk_fma_f16 v6, v101, v4, v6
	s_delay_alu instid0(VALU_DEP_1) | instskip(SKIP_3) | instid1(VALU_DEP_1)
	v_pk_fma_f16 v8, v100, v5, v6
	ds_load_2addr_b32 v[6:7], v110 offset0:140 offset1:141
	s_wait_dscnt 0x0
	v_pk_fma_f16 v8, v99, v6, v8
	v_pk_fma_f16 v60, v98, v7, v8
	ds_load_2addr_b32 v[8:9], v110 offset0:142 offset1:143
	s_wait_dscnt 0x0
	v_pk_fma_f16 v60, v96, v8, v60
	s_delay_alu instid0(VALU_DEP_1) | instskip(SKIP_1) | instid1(VALU_DEP_1)
	v_pk_fma_f16 v118, v97, v9, v60
	v_pk_fma_f16 v60, v95, v20, 0
	;; [unrolled: 1-line block ×3, first 2 shown]
	s_delay_alu instid0(VALU_DEP_1) | instskip(NEXT) | instid1(VALU_DEP_1)
	v_pk_fma_f16 v60, v93, v18, v60
	v_pk_fma_f16 v60, v92, v19, v60
	s_delay_alu instid0(VALU_DEP_1) | instskip(NEXT) | instid1(VALU_DEP_1)
	v_pk_fma_f16 v60, v91, v10, v60
	v_pk_fma_f16 v60, v90, v11, v60
	;; [unrolled: 3-line block ×7, first 2 shown]
	v_pk_fma_f16 v60, v63, v20, 0
	v_pk_fma_f16 v20, v62, v20, 0
	s_delay_alu instid0(VALU_DEP_2) | instskip(NEXT) | instid1(VALU_DEP_2)
	v_pk_fma_f16 v60, v64, v21, v60
	v_pk_fma_f16 v20, v61, v21, v20
	s_delay_alu instid0(VALU_DEP_2) | instskip(NEXT) | instid1(VALU_DEP_2)
	;; [unrolled: 3-line block ×9, first 2 shown]
	v_pk_fma_f16 v60, v72, v3, v60
	v_pk_fma_f16 v0, v48, v3, v0
	ds_load_2addr_b32 v[2:3], v110 offset0:192 offset1:193
	v_pk_fma_f16 v60, v73, v4, v60
	v_pk_fma_f16 v0, v47, v4, v0
	s_delay_alu instid0(VALU_DEP_2) | instskip(NEXT) | instid1(VALU_DEP_2)
	v_pk_fma_f16 v60, v74, v5, v60
	v_pk_fma_f16 v0, v46, v5, v0
	s_delay_alu instid0(VALU_DEP_2) | instskip(NEXT) | instid1(VALU_DEP_2)
	;; [unrolled: 3-line block ×5, first 2 shown]
	v_pk_fma_f16 v60, v78, v9, v60
	v_pk_fma_f16 v79, v44, v9, v0
	s_wait_dscnt 0x0
	v_pk_fma_f16 v0, v112, v2, 0
	s_delay_alu instid0(VALU_DEP_1) | instskip(SKIP_3) | instid1(VALU_DEP_1)
	v_pk_fma_f16 v4, v111, v3, v0
	ds_load_2addr_b32 v[0:1], v110 offset0:194 offset1:195
	s_wait_dscnt 0x0
	v_pk_fma_f16 v4, v109, v0, v4
	v_pk_fma_f16 v6, v108, v1, v4
	ds_load_2addr_b32 v[4:5], v110 offset0:196 offset1:197
	s_wait_dscnt 0x0
	v_pk_fma_f16 v6, v107, v4, v6
	s_delay_alu instid0(VALU_DEP_1) | instskip(SKIP_3) | instid1(VALU_DEP_1)
	v_pk_fma_f16 v8, v106, v5, v6
	ds_load_2addr_b32 v[6:7], v110 offset0:198 offset1:199
	s_wait_dscnt 0x0
	v_pk_fma_f16 v8, v105, v6, v8
	v_pk_fma_f16 v10, v104, v7, v8
	ds_load_2addr_b32 v[8:9], v110 offset0:200 offset1:201
	s_wait_dscnt 0x0
	v_pk_fma_f16 v10, v103, v8, v10
	s_delay_alu instid0(VALU_DEP_1) | instskip(SKIP_3) | instid1(VALU_DEP_1)
	v_pk_fma_f16 v18, v102, v9, v10
	ds_load_2addr_b32 v[10:11], v110 offset0:202 offset1:203
	s_wait_dscnt 0x0
	v_pk_fma_f16 v18, v101, v10, v18
	v_pk_fma_f16 v20, v100, v11, v18
	ds_load_2addr_b32 v[18:19], v110 offset0:204 offset1:205
	s_wait_dscnt 0x0
	v_pk_fma_f16 v20, v99, v18, v20
	s_delay_alu instid0(VALU_DEP_1) | instskip(SKIP_3) | instid1(VALU_DEP_1)
	v_pk_fma_f16 v113, v98, v19, v20
	ds_load_2addr_b32 v[20:21], v110 offset0:206 offset1:207
	s_wait_dscnt 0x0
	v_pk_fma_f16 v110, v96, v20, v113
	v_pk_fma_f16 v122, v97, v21, v110
	;; [unrolled: 1-line block ×3, first 2 shown]
	s_delay_alu instid0(VALU_DEP_1) | instskip(NEXT) | instid1(VALU_DEP_1)
	v_pk_fma_f16 v110, v94, v3, v110
	v_pk_fma_f16 v110, v93, v0, v110
	s_delay_alu instid0(VALU_DEP_1) | instskip(NEXT) | instid1(VALU_DEP_1)
	v_pk_fma_f16 v110, v92, v1, v110
	v_pk_fma_f16 v110, v91, v4, v110
	;; [unrolled: 3-line block ×7, first 2 shown]
	s_delay_alu instid0(VALU_DEP_1) | instskip(SKIP_2) | instid1(VALU_DEP_2)
	v_pk_fma_f16 v123, v87, v21, v110
	v_pk_fma_f16 v110, v63, v2, 0
	;; [unrolled: 1-line block ×4, first 2 shown]
	s_delay_alu instid0(VALU_DEP_2) | instskip(NEXT) | instid1(VALU_DEP_2)
	v_pk_fma_f16 v2, v61, v3, v2
	v_pk_fma_f16 v110, v65, v0, v110
	s_delay_alu instid0(VALU_DEP_2) | instskip(NEXT) | instid1(VALU_DEP_2)
	v_pk_fma_f16 v0, v55, v0, v2
	v_pk_fma_f16 v110, v66, v1, v110
	;; [unrolled: 3-line block ×14, first 2 shown]
	s_delay_alu instid0(VALU_DEP_2)
	v_pk_fma_f16 v113, v44, v21, v0
	v_mov_b32_e32 v0, s25
	s_add_co_i32 s25, s20, 0x408
	ds_load_2addr_b32 v[0:1], v0 offset1:1
	s_wait_dscnt 0x0
	v_pk_fma_f16 v2, v112, v0, 0
	s_delay_alu instid0(VALU_DEP_1)
	v_pk_fma_f16 v4, v111, v1, v2
	v_mov_b32_e32 v2, s25
	s_add_co_i32 s25, s20, 0x410
	ds_load_2addr_b32 v[2:3], v2 offset1:1
	s_wait_dscnt 0x0
	v_pk_fma_f16 v4, v109, v2, v4
	s_delay_alu instid0(VALU_DEP_1)
	;; [unrolled: 7-line block ×7, first 2 shown]
	v_pk_fma_f16 v120, v98, v19, v20
	v_mov_b32_e32 v20, s25
	s_add_co_i32 s25, s20, 0x500
	ds_load_2addr_b32 v[20:21], v20 offset1:1
	s_wait_dscnt 0x0
	v_pk_fma_f16 v120, v96, v20, v120
	s_delay_alu instid0(VALU_DEP_1) | instskip(SKIP_1) | instid1(VALU_DEP_1)
	v_pk_fma_f16 v124, v97, v21, v120
	v_pk_fma_f16 v120, v95, v0, 0
	;; [unrolled: 1-line block ×3, first 2 shown]
	s_delay_alu instid0(VALU_DEP_1) | instskip(NEXT) | instid1(VALU_DEP_1)
	v_pk_fma_f16 v120, v93, v2, v120
	v_pk_fma_f16 v120, v92, v3, v120
	s_delay_alu instid0(VALU_DEP_1) | instskip(NEXT) | instid1(VALU_DEP_1)
	v_pk_fma_f16 v120, v91, v4, v120
	v_pk_fma_f16 v120, v90, v5, v120
	;; [unrolled: 3-line block ×7, first 2 shown]
	v_pk_fma_f16 v120, v63, v0, 0
	v_pk_fma_f16 v0, v62, v0, 0
	s_delay_alu instid0(VALU_DEP_2) | instskip(NEXT) | instid1(VALU_DEP_2)
	v_pk_fma_f16 v120, v64, v1, v120
	v_pk_fma_f16 v0, v61, v1, v0
	s_delay_alu instid0(VALU_DEP_2) | instskip(NEXT) | instid1(VALU_DEP_2)
	;; [unrolled: 3-line block ×15, first 2 shown]
	v_pk_fma_f16 v120, v78, v21, v120
	v_pk_fma_f16 v121, v44, v21, v0
	v_mov_b32_e32 v0, s25
	s_add_co_i32 s25, s20, 0x508
	s_delay_alu instid0(SALU_CYCLE_1)
	v_mov_b32_e32 v1, s25
	s_add_co_i32 s25, s20, 0x510
	ds_load_2addr_b32 v[20:21], v0 offset1:1
	ds_load_2addr_b32 v[18:19], v1 offset1:1
	v_mov_b32_e32 v1, s25
	s_add_co_i32 s25, s20, 0x518
	ds_load_2addr_b32 v[10:11], v1 offset1:1
	v_mov_b32_e32 v1, s25
	s_add_co_i32 s25, s20, 0x520
	;; [unrolled: 3-line block ×3, first 2 shown]
	s_wait_dscnt 0x3
	v_pk_fma_f16 v0, v112, v20, 0
	ds_load_2addr_b32 v[6:7], v1 offset1:1
	v_mov_b32_e32 v1, s25
	v_pk_fma_f16 v95, v95, v20, 0
	v_pk_fma_f16 v63, v63, v20, 0
	;; [unrolled: 1-line block ×4, first 2 shown]
	ds_load_2addr_b32 v[4:5], v1 offset1:1
	v_pk_fma_f16 v94, v94, v21, v95
	v_pk_fma_f16 v63, v64, v21, v63
	s_wait_dscnt 0x4
	v_pk_fma_f16 v0, v109, v18, v0
	v_pk_fma_f16 v20, v61, v21, v20
	s_add_co_i32 s25, s20, 0x530
	v_pk_fma_f16 v93, v93, v18, v94
	v_pk_fma_f16 v63, v65, v18, v63
	;; [unrolled: 1-line block ×4, first 2 shown]
	s_delay_alu instid0(VALU_DEP_4) | instskip(NEXT) | instid1(VALU_DEP_4)
	v_pk_fma_f16 v92, v92, v19, v93
	v_pk_fma_f16 v63, v66, v19, v63
	s_wait_dscnt 0x3
	v_pk_fma_f16 v0, v107, v10, v0
	v_pk_fma_f16 v18, v54, v19, v18
	v_pk_fma_f16 v91, v91, v10, v92
	v_pk_fma_f16 v63, v67, v10, v63
	s_delay_alu instid0(VALU_DEP_4) | instskip(NEXT) | instid1(VALU_DEP_4)
	v_pk_fma_f16 v0, v106, v11, v0
	v_pk_fma_f16 v10, v53, v10, v18
	s_delay_alu instid0(VALU_DEP_4) | instskip(NEXT) | instid1(VALU_DEP_4)
	v_pk_fma_f16 v90, v90, v11, v91
	v_pk_fma_f16 v63, v68, v11, v63
	s_wait_dscnt 0x2
	v_pk_fma_f16 v0, v105, v8, v0
	v_pk_fma_f16 v10, v52, v11, v10
	v_pk_fma_f16 v89, v89, v8, v90
	v_pk_fma_f16 v63, v69, v8, v63
	s_delay_alu instid0(VALU_DEP_4) | instskip(NEXT) | instid1(VALU_DEP_4)
	v_pk_fma_f16 v0, v104, v9, v0
	v_pk_fma_f16 v8, v51, v8, v10
	;; [unrolled: 11-line block ×3, first 2 shown]
	s_delay_alu instid0(VALU_DEP_4) | instskip(NEXT) | instid1(VALU_DEP_4)
	v_pk_fma_f16 v80, v81, v7, v80
	v_pk_fma_f16 v63, v72, v7, v63
	s_wait_dscnt 0x0
	v_pk_fma_f16 v0, v101, v4, v0
	v_pk_fma_f16 v6, v48, v7, v6
	v_pack_b32_f16 v81, v114, v115
	v_pk_fma_f16 v80, v82, v4, v80
	v_pk_fma_f16 v63, v73, v4, v63
	;; [unrolled: 1-line block ×3, first 2 shown]
	v_mov_b32_e32 v0, s25
	s_add_co_i32 s25, s20, 0x538
	v_pk_fma_f16 v4, v47, v4, v6
	v_pk_fma_f16 v80, v83, v5, v80
	;; [unrolled: 1-line block ×3, first 2 shown]
	ds_load_2addr_b32 v[0:1], v0 offset1:1
	v_perm_b32 v82, v115, v114, 0x7060302
	v_pk_fma_f16 v4, v46, v5, v4
	s_add_co_i32 s20, s20, 64
	s_cmp_ge_i32 s17, s18
	s_delay_alu instid0(VALU_DEP_2) | instskip(SKIP_1) | instid1(VALU_DEP_2)
	v_pk_add_f16 v81, v81, v82
	v_perm_b32 v82, v117, v116, 0x7060302
	v_pk_fma_f16 v33, v81, v16, v33
	v_pack_b32_f16 v81, v116, v117
	s_delay_alu instid0(VALU_DEP_1)
	v_pk_add_f16 v81, v81, v82
	v_perm_b32 v82, v119, v118, 0x7060302
	s_wait_dscnt 0x0
	v_pk_fma_f16 v2, v99, v0, v2
	v_pk_fma_f16 v80, v84, v0, v80
	;; [unrolled: 1-line block ×6, first 2 shown]
	v_mov_b32_e32 v2, s25
	v_pk_fma_f16 v80, v85, v1, v80
	v_pk_fma_f16 v63, v76, v1, v63
	;; [unrolled: 1-line block ×3, first 2 shown]
	v_pack_b32_f16 v1, v56, v57
	ds_load_2addr_b32 v[2:3], v2 offset1:1
	v_pack_b32_f16 v81, v118, v119
	s_delay_alu instid0(VALU_DEP_1) | instskip(SKIP_1) | instid1(VALU_DEP_2)
	v_pk_add_f16 v81, v81, v82
	v_perm_b32 v82, v123, v122, 0x7060302
	v_pk_fma_f16 v28, v81, v16, v28
	v_pack_b32_f16 v81, v122, v123
	s_delay_alu instid0(VALU_DEP_1)
	v_pk_add_f16 v81, v81, v82
	v_perm_b32 v82, v125, v124, 0x7060302
	s_wait_dscnt 0x0
	v_pk_fma_f16 v96, v96, v2, v98
	v_pk_fma_f16 v80, v86, v2, v80
	;; [unrolled: 1-line block ×4, first 2 shown]
	v_perm_b32 v2, v57, v56, 0x7060302
	v_pk_fma_f16 v26, v81, v16, v26
	v_pack_b32_f16 v81, v124, v125
	v_pk_fma_f16 v96, v97, v3, v96
	v_pk_fma_f16 v80, v87, v3, v80
	v_pk_add_f16 v1, v1, v2
	v_perm_b32 v2, v59, v58, 0x7060302
	v_pk_add_f16 v81, v81, v82
	v_pk_fma_f16 v63, v78, v3, v63
	v_pk_fma_f16 v0, v44, v3, v0
	;; [unrolled: 1-line block ×3, first 2 shown]
	v_pack_b32_f16 v1, v58, v59
	v_pk_fma_f16 v24, v81, v16, v24
	v_pack_b32_f16 v81, v96, v80
	v_perm_b32 v80, v80, v96, 0x7060302
	s_delay_alu instid0(VALU_DEP_4) | instskip(SKIP_1) | instid1(VALU_DEP_3)
	v_pk_add_f16 v1, v1, v2
	v_perm_b32 v2, v79, v60, 0x7060302
	v_pk_add_f16 v80, v81, v80
	s_delay_alu instid0(VALU_DEP_3) | instskip(SKIP_1) | instid1(VALU_DEP_3)
	v_pk_fma_f16 v29, v1, v17, v29
	v_pack_b32_f16 v1, v60, v79
	v_pk_fma_f16 v22, v80, v16, v22
	s_delay_alu instid0(VALU_DEP_2) | instskip(SKIP_1) | instid1(VALU_DEP_2)
	v_pk_add_f16 v1, v1, v2
	v_perm_b32 v2, v113, v110, 0x7060302
	v_pk_fma_f16 v27, v1, v17, v27
	v_pack_b32_f16 v1, v110, v113
	s_delay_alu instid0(VALU_DEP_1) | instskip(SKIP_1) | instid1(VALU_DEP_2)
	v_pk_add_f16 v1, v1, v2
	v_perm_b32 v2, v121, v120, 0x7060302
	v_pk_fma_f16 v25, v1, v17, v25
	v_pack_b32_f16 v1, v120, v121
	s_delay_alu instid0(VALU_DEP_1) | instskip(NEXT) | instid1(VALU_DEP_1)
	v_pk_add_f16 v1, v1, v2
	v_pk_fma_f16 v23, v1, v17, v23
	v_pack_b32_f16 v1, v63, v0
	v_perm_b32 v0, v0, v63, 0x7060302
	s_delay_alu instid0(VALU_DEP_1) | instskip(NEXT) | instid1(VALU_DEP_1)
	v_pk_add_f16 v0, v1, v0
	v_pk_fma_f16 v13, v0, v17, v13
	s_cbranch_scc1 .LBB36_52
.LBB36_35:                              ; =>This Inner Loop Header: Depth=1
	s_cmp_lg_u32 s17, s21
	s_cbranch_scc1 .LBB36_34
; %bb.36:                               ;   in Loop: Header=BB36_35 Depth=1
	s_add_co_i32 s19, s19, 1
                                        ; implicit-def: $vgpr2
	s_delay_alu instid0(SALU_CYCLE_1) | instskip(NEXT) | instid1(SALU_CYCLE_1)
	s_mul_i32 s25, s19, s4
	s_ashr_i32 s26, s25, 31
	s_delay_alu instid0(SALU_CYCLE_1) | instskip(NEXT) | instid1(SALU_CYCLE_1)
	s_lshr_b32 s26, s26, 27
	s_add_co_i32 s26, s25, s26
	s_delay_alu instid0(SALU_CYCLE_1) | instskip(NEXT) | instid1(SALU_CYCLE_1)
	s_ashr_i32 s26, s26, 5
	v_mad_u32 v0, s26, 3, v35
	global_load_b32 v3, v0, s[12:13] scale_offset
	s_wait_xcnt 0x0
	s_and_saveexec_b32 s26, vcc_lo
	s_delay_alu instid0(SALU_CYCLE_1)
	s_xor_b32 s26, exec_lo, s26
	s_cbranch_execz .LBB36_50
; %bb.37:                               ;   in Loop: Header=BB36_35 Depth=1
	v_ashrrev_i32_e32 v1, 31, v0
                                        ; implicit-def: $vgpr2
	s_delay_alu instid0(VALU_DEP_1) | instskip(SKIP_1) | instid1(SALU_CYCLE_1)
	v_lshl_add_u64 v[0:1], v[0:1], 2, s[12:13]
	s_and_saveexec_b32 s27, s0
	s_xor_b32 s27, exec_lo, s27
	s_cbranch_execz .LBB36_47
; %bb.38:                               ;   in Loop: Header=BB36_35 Depth=1
                                        ; implicit-def: $vgpr2
	s_and_saveexec_b32 s28, s1
	s_delay_alu instid0(SALU_CYCLE_1)
	s_xor_b32 s28, exec_lo, s28
	s_cbranch_execz .LBB36_44
; %bb.39:                               ;   in Loop: Header=BB36_35 Depth=1
                                        ; implicit-def: $vgpr2
	s_and_saveexec_b32 s29, s2
	s_delay_alu instid0(SALU_CYCLE_1)
	s_xor_b32 s29, exec_lo, s29
	s_cbranch_execz .LBB36_41
; %bb.40:                               ;   in Loop: Header=BB36_35 Depth=1
	s_wait_loadcnt 0x0
	v_lshrrev_b32_e32 v2, v36, v3
                                        ; implicit-def: $vgpr0_vgpr1
                                        ; implicit-def: $vgpr3
.LBB36_41:                              ;   in Loop: Header=BB36_35 Depth=1
	s_and_not1_saveexec_b32 s29, s29
	s_cbranch_execz .LBB36_43
; %bb.42:                               ;   in Loop: Header=BB36_35 Depth=1
	global_load_b32 v0, v[0:1], off offset:4
	s_wait_loadcnt 0x0
	v_alignbit_b32 v0, v0, v3, 28
	s_delay_alu instid0(VALU_DEP_1)
	v_and_b32_e32 v2, 0xfff, v0
.LBB36_43:                              ;   in Loop: Header=BB36_35 Depth=1
	s_or_b32 exec_lo, exec_lo, s29
                                        ; implicit-def: $vgpr3
.LBB36_44:                              ;   in Loop: Header=BB36_35 Depth=1
	s_and_not1_saveexec_b32 s28, s28
	s_cbranch_execz .LBB36_46
; %bb.45:                               ;   in Loop: Header=BB36_35 Depth=1
	s_wait_loadcnt 0x0
	v_lshrrev_b32_e32 v2, v37, v3
.LBB36_46:                              ;   in Loop: Header=BB36_35 Depth=1
	s_or_b32 exec_lo, exec_lo, s28
                                        ; implicit-def: $vgpr0_vgpr1
                                        ; implicit-def: $vgpr3
.LBB36_47:                              ;   in Loop: Header=BB36_35 Depth=1
	s_and_not1_saveexec_b32 s27, s27
	s_cbranch_execz .LBB36_49
; %bb.48:                               ;   in Loop: Header=BB36_35 Depth=1
	global_load_b32 v0, v[0:1], off offset:4
	s_wait_loadcnt 0x0
	v_perm_b32 v0, v3, v0, 0x2010007
	s_delay_alu instid0(VALU_DEP_1)
	v_and_b32_e32 v2, 0xfff, v0
.LBB36_49:                              ;   in Loop: Header=BB36_35 Depth=1
	s_or_b32 exec_lo, exec_lo, s27
                                        ; implicit-def: $vgpr3
.LBB36_50:                              ;   in Loop: Header=BB36_35 Depth=1
	s_and_not1_saveexec_b32 s26, s26
	s_cbranch_execz .LBB36_33
; %bb.51:                               ;   in Loop: Header=BB36_35 Depth=1
	s_wait_loadcnt 0x0
	v_lshrrev_b32_e32 v2, v30, v3
	s_branch .LBB36_33
.LBB36_52:
	v_mad_u32 v0, s16, s4, v12
	s_mov_b32 s0, 0
	s_delay_alu instid0(VALU_DEP_1) | instskip(SKIP_1) | instid1(VALU_DEP_1)
	v_ashrrev_i32_e32 v1, 31, v0
	s_wait_kmcnt 0x0
	v_lshl_add_u64 v[2:3], v[0:1], 1, s[10:11]
	global_load_b32 v5, v[2:3], off
.LBB36_53:                              ; =>This Inner Loop Header: Depth=1
	s_wait_loadcnt 0x0
	v_pk_add_f16 v4, v33, v5
	global_atomic_cmpswap_b32 v1, v[2:3], v[4:5], off th:TH_ATOMIC_RETURN scope:SCOPE_DEV
	s_wait_loadcnt 0x0
	v_cmp_eq_u32_e32 vcc_lo, v5, v1
	v_mov_b32_e32 v5, v1
	s_or_b32 s0, vcc_lo, s0
	s_delay_alu instid0(SALU_CYCLE_1)
	s_and_not1_b32 exec_lo, exec_lo, s0
	s_cbranch_execnz .LBB36_53
; %bb.54:
	s_or_b32 exec_lo, exec_lo, s0
	global_load_b32 v5, v[2:3], off offset:4
	s_mov_b32 s0, 0
.LBB36_55:                              ; =>This Inner Loop Header: Depth=1
	s_wait_loadcnt 0x0
	v_pk_add_f16 v4, v32, v5
	global_atomic_cmpswap_b32 v1, v[2:3], v[4:5], off offset:4 th:TH_ATOMIC_RETURN scope:SCOPE_DEV
	s_wait_loadcnt 0x0
	v_cmp_eq_u32_e32 vcc_lo, v5, v1
	v_mov_b32_e32 v5, v1
	s_or_b32 s0, vcc_lo, s0
	s_delay_alu instid0(SALU_CYCLE_1)
	s_and_not1_b32 exec_lo, exec_lo, s0
	s_cbranch_execnz .LBB36_55
; %bb.56:
	s_or_b32 exec_lo, exec_lo, s0
	v_add_nc_u32_e32 v0, s4, v0
	s_mov_b32 s0, 0
	s_delay_alu instid0(VALU_DEP_1) | instskip(NEXT) | instid1(VALU_DEP_1)
	v_ashrrev_i32_e32 v1, 31, v0
	v_lshl_add_u64 v[2:3], v[0:1], 1, s[10:11]
	global_load_b32 v5, v[2:3], off
.LBB36_57:                              ; =>This Inner Loop Header: Depth=1
	s_wait_loadcnt 0x0
	v_pk_add_f16 v4, v31, v5
	global_atomic_cmpswap_b32 v1, v[2:3], v[4:5], off th:TH_ATOMIC_RETURN scope:SCOPE_DEV
	s_wait_loadcnt 0x0
	v_cmp_eq_u32_e32 vcc_lo, v5, v1
	v_mov_b32_e32 v5, v1
	s_or_b32 s0, vcc_lo, s0
	s_delay_alu instid0(SALU_CYCLE_1)
	s_and_not1_b32 exec_lo, exec_lo, s0
	s_cbranch_execnz .LBB36_57
; %bb.58:
	s_or_b32 exec_lo, exec_lo, s0
	global_load_b32 v5, v[2:3], off offset:4
	s_mov_b32 s0, 0
.LBB36_59:                              ; =>This Inner Loop Header: Depth=1
	s_wait_loadcnt 0x0
	v_pk_add_f16 v4, v29, v5
	global_atomic_cmpswap_b32 v1, v[2:3], v[4:5], off offset:4 th:TH_ATOMIC_RETURN scope:SCOPE_DEV
	s_wait_loadcnt 0x0
	v_cmp_eq_u32_e32 vcc_lo, v5, v1
	v_mov_b32_e32 v5, v1
	s_or_b32 s0, vcc_lo, s0
	s_delay_alu instid0(SALU_CYCLE_1)
	s_and_not1_b32 exec_lo, exec_lo, s0
	s_cbranch_execnz .LBB36_59
; %bb.60:
	s_or_b32 exec_lo, exec_lo, s0
	v_add_nc_u32_e32 v0, s4, v0
	s_mov_b32 s0, 0
	s_delay_alu instid0(VALU_DEP_1) | instskip(NEXT) | instid1(VALU_DEP_1)
	v_ashrrev_i32_e32 v1, 31, v0
	;; [unrolled: 34-line block ×5, first 2 shown]
	v_lshl_add_u64 v[0:1], v[0:1], 1, s[10:11]
	global_load_b32 v3, v[0:1], off
.LBB36_73:                              ; =>This Inner Loop Header: Depth=1
	s_wait_loadcnt 0x0
	v_pk_add_f16 v2, v22, v3
	global_atomic_cmpswap_b32 v2, v[0:1], v[2:3], off th:TH_ATOMIC_RETURN scope:SCOPE_DEV
	s_wait_loadcnt 0x0
	v_cmp_eq_u32_e32 vcc_lo, v3, v2
	v_mov_b32_e32 v3, v2
	s_or_b32 s0, vcc_lo, s0
	s_delay_alu instid0(SALU_CYCLE_1)
	s_and_not1_b32 exec_lo, exec_lo, s0
	s_cbranch_execnz .LBB36_73
; %bb.74:
	s_or_b32 exec_lo, exec_lo, s0
	global_load_b32 v3, v[0:1], off offset:4
	s_mov_b32 s0, 0
.LBB36_75:                              ; =>This Inner Loop Header: Depth=1
	s_wait_loadcnt 0x0
	v_pk_add_f16 v2, v13, v3
	global_atomic_cmpswap_b32 v2, v[0:1], v[2:3], off offset:4 th:TH_ATOMIC_RETURN scope:SCOPE_DEV
	s_wait_loadcnt 0x0
	v_cmp_eq_u32_e32 vcc_lo, v3, v2
	v_mov_b32_e32 v3, v2
	s_or_b32 s0, vcc_lo, s0
	s_delay_alu instid0(SALU_CYCLE_1)
	s_and_not1_b32 exec_lo, exec_lo, s0
	s_cbranch_execnz .LBB36_75
.LBB36_76:
	s_endpgm
	.section	.rodata,"a",@progbits
	.p2align	6, 0x0
	.amdhsa_kernel _ZN4vllm4gptq33gemm_half_q_half_gptq_3bit_kernelILb1ELi6EEEvPK6__halfPKjS6_S4_PS2_iiiibPKi
		.amdhsa_group_segment_fixed_size 1536
		.amdhsa_private_segment_fixed_size 0
		.amdhsa_kernarg_size 72
		.amdhsa_user_sgpr_count 2
		.amdhsa_user_sgpr_dispatch_ptr 0
		.amdhsa_user_sgpr_queue_ptr 0
		.amdhsa_user_sgpr_kernarg_segment_ptr 1
		.amdhsa_user_sgpr_dispatch_id 0
		.amdhsa_user_sgpr_kernarg_preload_length 0
		.amdhsa_user_sgpr_kernarg_preload_offset 0
		.amdhsa_user_sgpr_private_segment_size 0
		.amdhsa_wavefront_size32 1
		.amdhsa_uses_dynamic_stack 0
		.amdhsa_enable_private_segment 0
		.amdhsa_system_sgpr_workgroup_id_x 1
		.amdhsa_system_sgpr_workgroup_id_y 1
		.amdhsa_system_sgpr_workgroup_id_z 1
		.amdhsa_system_sgpr_workgroup_info 0
		.amdhsa_system_vgpr_workitem_id 0
		.amdhsa_next_free_vgpr 126
		.amdhsa_next_free_sgpr 30
		.amdhsa_named_barrier_count 0
		.amdhsa_reserve_vcc 1
		.amdhsa_float_round_mode_32 0
		.amdhsa_float_round_mode_16_64 0
		.amdhsa_float_denorm_mode_32 3
		.amdhsa_float_denorm_mode_16_64 3
		.amdhsa_fp16_overflow 0
		.amdhsa_memory_ordered 1
		.amdhsa_forward_progress 1
		.amdhsa_inst_pref_size 82
		.amdhsa_round_robin_scheduling 0
		.amdhsa_exception_fp_ieee_invalid_op 0
		.amdhsa_exception_fp_denorm_src 0
		.amdhsa_exception_fp_ieee_div_zero 0
		.amdhsa_exception_fp_ieee_overflow 0
		.amdhsa_exception_fp_ieee_underflow 0
		.amdhsa_exception_fp_ieee_inexact 0
		.amdhsa_exception_int_div_zero 0
	.end_amdhsa_kernel
	.section	.text._ZN4vllm4gptq33gemm_half_q_half_gptq_3bit_kernelILb1ELi6EEEvPK6__halfPKjS6_S4_PS2_iiiibPKi,"axG",@progbits,_ZN4vllm4gptq33gemm_half_q_half_gptq_3bit_kernelILb1ELi6EEEvPK6__halfPKjS6_S4_PS2_iiiibPKi,comdat
.Lfunc_end36:
	.size	_ZN4vllm4gptq33gemm_half_q_half_gptq_3bit_kernelILb1ELi6EEEvPK6__halfPKjS6_S4_PS2_iiiibPKi, .Lfunc_end36-_ZN4vllm4gptq33gemm_half_q_half_gptq_3bit_kernelILb1ELi6EEEvPK6__halfPKjS6_S4_PS2_iiiibPKi
                                        ; -- End function
	.set _ZN4vllm4gptq33gemm_half_q_half_gptq_3bit_kernelILb1ELi6EEEvPK6__halfPKjS6_S4_PS2_iiiibPKi.num_vgpr, 126
	.set _ZN4vllm4gptq33gemm_half_q_half_gptq_3bit_kernelILb1ELi6EEEvPK6__halfPKjS6_S4_PS2_iiiibPKi.num_agpr, 0
	.set _ZN4vllm4gptq33gemm_half_q_half_gptq_3bit_kernelILb1ELi6EEEvPK6__halfPKjS6_S4_PS2_iiiibPKi.numbered_sgpr, 30
	.set _ZN4vllm4gptq33gemm_half_q_half_gptq_3bit_kernelILb1ELi6EEEvPK6__halfPKjS6_S4_PS2_iiiibPKi.num_named_barrier, 0
	.set _ZN4vllm4gptq33gemm_half_q_half_gptq_3bit_kernelILb1ELi6EEEvPK6__halfPKjS6_S4_PS2_iiiibPKi.private_seg_size, 0
	.set _ZN4vllm4gptq33gemm_half_q_half_gptq_3bit_kernelILb1ELi6EEEvPK6__halfPKjS6_S4_PS2_iiiibPKi.uses_vcc, 1
	.set _ZN4vllm4gptq33gemm_half_q_half_gptq_3bit_kernelILb1ELi6EEEvPK6__halfPKjS6_S4_PS2_iiiibPKi.uses_flat_scratch, 0
	.set _ZN4vllm4gptq33gemm_half_q_half_gptq_3bit_kernelILb1ELi6EEEvPK6__halfPKjS6_S4_PS2_iiiibPKi.has_dyn_sized_stack, 0
	.set _ZN4vllm4gptq33gemm_half_q_half_gptq_3bit_kernelILb1ELi6EEEvPK6__halfPKjS6_S4_PS2_iiiibPKi.has_recursion, 0
	.set _ZN4vllm4gptq33gemm_half_q_half_gptq_3bit_kernelILb1ELi6EEEvPK6__halfPKjS6_S4_PS2_iiiibPKi.has_indirect_call, 0
	.section	.AMDGPU.csdata,"",@progbits
; Kernel info:
; codeLenInByte = 10464
; TotalNumSgprs: 32
; NumVgprs: 126
; ScratchSize: 0
; MemoryBound: 0
; FloatMode: 240
; IeeeMode: 1
; LDSByteSize: 1536 bytes/workgroup (compile time only)
; SGPRBlocks: 0
; VGPRBlocks: 7
; NumSGPRsForWavesPerEU: 32
; NumVGPRsForWavesPerEU: 126
; NamedBarCnt: 0
; Occupancy: 8
; WaveLimiterHint : 0
; COMPUTE_PGM_RSRC2:SCRATCH_EN: 0
; COMPUTE_PGM_RSRC2:USER_SGPR: 2
; COMPUTE_PGM_RSRC2:TRAP_HANDLER: 0
; COMPUTE_PGM_RSRC2:TGID_X_EN: 1
; COMPUTE_PGM_RSRC2:TGID_Y_EN: 1
; COMPUTE_PGM_RSRC2:TGID_Z_EN: 1
; COMPUTE_PGM_RSRC2:TIDIG_COMP_CNT: 0
	.section	.text._ZN4vllm4gptq33gemm_half_q_half_gptq_4bit_kernelILb1ELi6EEEvPK6__halfPKjS6_S4_PS2_iiiibPKi,"axG",@progbits,_ZN4vllm4gptq33gemm_half_q_half_gptq_4bit_kernelILb1ELi6EEEvPK6__halfPKjS6_S4_PS2_iiiibPKi,comdat
	.protected	_ZN4vllm4gptq33gemm_half_q_half_gptq_4bit_kernelILb1ELi6EEEvPK6__halfPKjS6_S4_PS2_iiiibPKi ; -- Begin function _ZN4vllm4gptq33gemm_half_q_half_gptq_4bit_kernelILb1ELi6EEEvPK6__halfPKjS6_S4_PS2_iiiibPKi
	.globl	_ZN4vllm4gptq33gemm_half_q_half_gptq_4bit_kernelILb1ELi6EEEvPK6__halfPKjS6_S4_PS2_iiiibPKi
	.p2align	8
	.type	_ZN4vllm4gptq33gemm_half_q_half_gptq_4bit_kernelILb1ELi6EEEvPK6__halfPKjS6_S4_PS2_iiiibPKi,@function
_ZN4vllm4gptq33gemm_half_q_half_gptq_4bit_kernelILb1ELi6EEEvPK6__halfPKjS6_S4_PS2_iiiibPKi: ; @_ZN4vllm4gptq33gemm_half_q_half_gptq_4bit_kernelILb1ELi6EEEvPK6__halfPKjS6_S4_PS2_iiiibPKi
; %bb.0:
	s_load_b128 s[4:7], s[0:1], 0x2c
	s_bfe_u32 s2, ttmp6, 0x40014
	s_lshr_b32 s3, ttmp7, 16
	s_add_co_i32 s2, s2, 1
	s_bfe_u32 s9, ttmp6, 0x40010
	s_mul_i32 s2, s3, s2
	s_bfe_u32 s8, ttmp6, 0x40008
	s_and_b32 s10, ttmp7, 0xffff
	s_add_co_i32 s9, s9, 1
	s_add_co_i32 s8, s8, s2
	s_mul_i32 s2, s10, s9
	s_bfe_u32 s9, ttmp6, 0x40004
	s_getreg_b32 s17, hwreg(HW_REG_IB_STS2, 6, 4)
	s_add_co_i32 s9, s9, s2
	s_cmp_eq_u32 s17, 0
	s_mov_b32 s12, exec_lo
	s_cselect_b32 s2, s3, s8
	s_cselect_b32 s14, s10, s9
	s_lshl_b32 s15, s2, 7
	s_mul_i32 s14, s14, 6
	s_add_co_i32 s2, s15, 0x80
	s_delay_alu instid0(SALU_CYCLE_1) | instskip(SKIP_3) | instid1(VALU_DEP_1)
	v_cvt_f64_u32_e32 v[2:3], s2
	s_load_b64 s[2:3], s[0:1], 0x10
	s_wait_kmcnt 0x0
	v_cvt_f64_i32_e32 v[4:5], s5
	v_min_num_f64_e32 v[2:3], v[2:3], v[4:5]
	s_delay_alu instid0(VALU_DEP_1) | instskip(SKIP_1) | instid1(VALU_DEP_2)
	v_cvt_i32_f64_e32 v1, v[2:3]
	v_add_nc_u32_e32 v2, s15, v0
	v_readfirstlane_b32 s16, v1
	s_delay_alu instid0(VALU_DEP_2)
	v_cmpx_lt_u32_e64 v2, v1
	s_cbranch_execz .LBB37_14
; %bb.1:
	s_clause 0x1
	s_load_b64 s[10:11], s[0:1], 0x40
	s_load_b64 s[8:9], s[0:1], 0x0
	v_mov_b32_e32 v3, 0
	s_delay_alu instid0(VALU_DEP_1)
	v_mov_b64_e32 v[6:7], v[2:3]
	s_wait_kmcnt 0x0
	v_lshl_add_u64 v[4:5], v[2:3], 2, s[10:11]
	s_cmp_lg_u64 s[10:11], 0
	s_cselect_b32 s13, -1, 0
	s_cmp_eq_u64 s[10:11], 0
	s_cbranch_scc1 .LBB37_3
; %bb.2:
	global_load_b32 v6, v[4:5], off
	s_wait_loadcnt 0x0
	v_ashrrev_i32_e32 v7, 31, v6
.LBB37_3:
	s_mul_i32 s10, s14, s5
	v_cndmask_b32_e64 v8, 0, 1, s13
	s_ashr_i32 s11, s10, 31
	v_lshlrev_b32_e32 v1, 1, v0
	s_lshl_b64 s[18:19], s[10:11], 1
	s_and_not1_b32 vcc_lo, exec_lo, s13
	s_add_nc_u64 s[18:19], s[8:9], s[18:19]
	s_delay_alu instid0(SALU_CYCLE_1)
	v_lshl_add_u64 v[6:7], v[6:7], 1, s[18:19]
	global_load_u16 v9, v[6:7], off
	s_wait_xcnt 0x0
	v_mov_b64_e32 v[6:7], v[2:3]
	s_wait_loadcnt 0x0
	ds_store_b16 v1, v9
	s_cbranch_vccnz .LBB37_5
; %bb.4:
	global_load_b32 v6, v[4:5], off
	s_wait_loadcnt 0x0
	v_ashrrev_i32_e32 v7, 31, v6
.LBB37_5:
	s_add_co_i32 s10, s10, s5
	v_cmp_ne_u32_e32 vcc_lo, 1, v8
	s_ashr_i32 s11, s10, 31
	s_delay_alu instid0(SALU_CYCLE_1) | instskip(SKIP_2) | instid1(SALU_CYCLE_1)
	s_lshl_b64 s[18:19], s[10:11], 1
	s_and_b32 vcc_lo, exec_lo, vcc_lo
	s_add_nc_u64 s[18:19], s[8:9], s[18:19]
	v_lshl_add_u64 v[6:7], v[6:7], 1, s[18:19]
	global_load_u16 v9, v[6:7], off
	s_wait_xcnt 0x0
	v_mov_b64_e32 v[6:7], v[2:3]
	s_wait_loadcnt 0x0
	ds_store_b16 v1, v9 offset:256
	s_cbranch_vccnz .LBB37_7
; %bb.6:
	global_load_b32 v6, v[4:5], off
	s_wait_loadcnt 0x0
	v_ashrrev_i32_e32 v7, 31, v6
.LBB37_7:
	s_add_co_i32 s10, s10, s5
	v_cmp_ne_u32_e32 vcc_lo, 1, v8
	s_ashr_i32 s11, s10, 31
	s_delay_alu instid0(SALU_CYCLE_1) | instskip(SKIP_2) | instid1(SALU_CYCLE_1)
	s_lshl_b64 s[18:19], s[10:11], 1
	s_and_b32 vcc_lo, exec_lo, vcc_lo
	s_add_nc_u64 s[18:19], s[8:9], s[18:19]
	v_lshl_add_u64 v[6:7], v[6:7], 1, s[18:19]
	global_load_u16 v9, v[6:7], off
	s_wait_xcnt 0x0
	v_mov_b64_e32 v[6:7], v[2:3]
	s_wait_loadcnt 0x0
	ds_store_b16 v1, v9 offset:512
	;; [unrolled: 19-line block ×3, first 2 shown]
	s_cbranch_vccnz .LBB37_11
; %bb.10:
	global_load_b32 v6, v[4:5], off
	s_wait_loadcnt 0x0
	v_ashrrev_i32_e32 v7, 31, v6
.LBB37_11:
	s_add_co_i32 s10, s10, s5
	v_cmp_ne_u32_e32 vcc_lo, 1, v8
	s_ashr_i32 s11, s10, 31
	s_delay_alu instid0(SALU_CYCLE_1) | instskip(SKIP_2) | instid1(SALU_CYCLE_1)
	s_lshl_b64 s[18:19], s[10:11], 1
	s_and_b32 vcc_lo, exec_lo, vcc_lo
	s_add_nc_u64 s[18:19], s[8:9], s[18:19]
	v_lshl_add_u64 v[6:7], v[6:7], 1, s[18:19]
	global_load_u16 v6, v[6:7], off
	s_wait_loadcnt 0x0
	ds_store_b16 v1, v6 offset:1024
	s_cbranch_vccnz .LBB37_13
; %bb.12:
	global_load_b32 v2, v[4:5], off
	s_wait_loadcnt 0x0
	v_ashrrev_i32_e32 v3, 31, v2
.LBB37_13:
	s_add_co_i32 s10, s10, s5
	s_delay_alu instid0(SALU_CYCLE_1) | instskip(NEXT) | instid1(SALU_CYCLE_1)
	s_ashr_i32 s11, s10, 31
	s_lshl_b64 s[10:11], s[10:11], 1
	s_delay_alu instid0(SALU_CYCLE_1) | instskip(NEXT) | instid1(SALU_CYCLE_1)
	s_add_nc_u64 s[8:9], s[8:9], s[10:11]
	v_lshl_add_u64 v[2:3], v[2:3], 1, s[8:9]
	global_load_u16 v2, v[2:3], off
	s_wait_loadcnt 0x0
	ds_store_b16 v1, v2 offset:1280
.LBB37_14:
	s_or_b32 exec_lo, exec_lo, s12
	s_clause 0x1
	s_load_b64 s[12:13], s[0:1], 0x8
	s_load_b128 s[8:11], s[0:1], 0x18
	s_wait_xcnt 0x0
	s_bfe_u32 s0, ttmp6, 0x4000c
	s_and_b32 s1, ttmp6, 15
	s_add_co_i32 s0, s0, 1
	v_lshlrev_b32_e32 v1, 2, v0
	s_mul_i32 s0, ttmp9, s0
	s_delay_alu instid0(SALU_CYCLE_1)
	s_add_co_i32 s1, s1, s0
	s_cmp_eq_u32 s17, 0
	s_cselect_b32 s0, ttmp9, s1
	s_mov_b32 s1, 0
	v_lshl_add_u32 v2, s0, 9, v1
	s_mov_b32 s0, exec_lo
	s_delay_alu instid0(VALU_DEP_1)
	v_cmpx_gt_i32_e64 s4, v2
	s_cbranch_execz .LBB37_44
; %bb.15:
	s_abs_i32 s17, s6
	v_mov_b32_e32 v5, 0
	s_cvt_f32_u32 s0, s17
	s_cmp_ge_i32 s15, s16
	s_wait_dscnt 0x0
	s_barrier_signal -1
	v_rcp_iflag_f32_e32 v1, s0
	v_dual_mov_b32 v4, v5 :: v_dual_mov_b32 v34, v5
	v_dual_mov_b32 v11, v5 :: v_dual_mov_b32 v33, v5
	v_dual_mov_b32 v32, v5 :: v_dual_mov_b32 v36, v5
	v_dual_mov_b32 v35, v5 :: v_dual_mov_b32 v37, v5
	s_delay_alu instid0(TRANS32_DEP_1)
	v_readfirstlane_b32 s0, v1
	v_dual_mov_b32 v38, v5 :: v_dual_mov_b32 v40, v5
	v_dual_mov_b32 v39, v5 :: v_dual_mov_b32 v42, v5
	;; [unrolled: 1-line block ×7, first 2 shown]
	v_mov_b32_e32 v52, v5
	s_barrier_wait -1
	s_cbranch_scc1 .LBB37_20
; %bb.16:
	s_mul_f32 s0, s0, 0x4f7ffffe
	v_dual_ashrrev_i32 v3, 31, v2 :: v_dual_lshlrev_b32 v0, 4, v0
	s_delay_alu instid0(SALU_CYCLE_2) | instskip(SKIP_1) | instid1(VALU_DEP_1)
	s_cvt_u32_f32 s18, s0
	s_sub_co_i32 s0, 0, s17
	v_and_b32_e32 v54, 16, v0
	s_delay_alu instid0(SALU_CYCLE_1)
	s_mul_i32 s19, s0, s18
	s_abs_i32 s0, s5
	s_mul_hi_u32 s20, s18, s19
	s_mov_b32 s19, s1
	s_add_co_i32 s18, s18, s20
	s_ashr_i32 s5, s5, 31
	s_mul_u64 s[18:19], s[0:1], s[18:19]
	s_ashr_i32 s1, s6, 31
	s_mul_i32 s6, s19, s17
	s_xor_b32 s1, s5, s1
	s_sub_co_i32 s0, s0, s6
	s_add_co_i32 s5, s19, 1
	s_sub_co_i32 s6, s0, s17
	s_cmp_ge_u32 s0, s17
	s_mov_b32 s20, 0x10001
	s_cselect_b32 s5, s5, s19
	s_cselect_b32 s0, s6, s0
	s_add_co_i32 s6, s5, 1
	s_cmp_ge_u32 s0, s17
	s_mov_b32 s19, 0
	s_cselect_b32 s0, s6, s5
	s_delay_alu instid0(SALU_CYCLE_1) | instskip(NEXT) | instid1(SALU_CYCLE_1)
	s_xor_b32 s0, s0, s1
	s_sub_co_i32 s17, s0, s1
	s_bitcmp1_b32 s7, 0
	s_cvt_f32_u32 s0, s17
	s_cselect_b32 s1, -1, 0
	s_sub_co_i32 s5, 0, s17
	s_xor_b32 s1, s1, -1
	v_rcp_iflag_f32_e32 v1, s0
	v_cndmask_b32_e64 v55, 0, 1, s1
	s_delay_alu instid0(TRANS32_DEP_1) | instskip(SKIP_1) | instid1(SALU_CYCLE_3)
	v_readfirstlane_b32 s0, v1
	s_mul_f32 s0, s0, 0x4f7ffffe
	s_cvt_u32_f32 s0, s0
	s_delay_alu instid0(SALU_CYCLE_3) | instskip(NEXT) | instid1(SALU_CYCLE_1)
	s_mul_i32 s5, s5, s0
	s_mul_hi_u32 s5, s0, s5
	s_delay_alu instid0(SALU_CYCLE_1) | instskip(NEXT) | instid1(SALU_CYCLE_1)
	s_add_co_i32 s0, s0, s5
	s_mul_hi_u32 s0, s15, s0
	s_delay_alu instid0(SALU_CYCLE_1) | instskip(SKIP_2) | instid1(SALU_CYCLE_1)
	s_mul_i32 s5, s0, s17
	s_add_co_i32 s6, s0, 1
	s_sub_co_i32 s5, s15, s5
	s_sub_co_i32 s7, s5, s17
	s_cmp_ge_u32 s5, s17
	s_cselect_b32 s0, s6, s0
	s_cselect_b32 s5, s7, s5
	s_add_co_i32 s6, s0, 1
	s_cmp_ge_u32 s5, s17
	s_cselect_b32 s18, s6, s0
	s_add_co_i32 s21, s17, s15
	s_mul_i32 s0, s18, s4
	s_delay_alu instid0(SALU_CYCLE_1) | instskip(SKIP_1) | instid1(SALU_CYCLE_1)
	v_dual_lshrrev_b32 v1, 29, v3 :: v_dual_add_nc_u32 v4, s0, v2
	s_ashr_i32 s5, s0, 31
	s_lshr_b32 s5, s5, 29
	s_delay_alu instid0(VALU_DEP_1)
	v_add_nc_u32_e32 v1, v2, v1
	s_add_co_i32 s5, s0, s5
	v_ashrrev_i32_e32 v5, 31, v4
	s_ashr_i32 s5, s5, 3
	s_lshr_b32 s0, s15, 3
	v_ashrrev_i32_e32 v49, 3, v1
	s_mul_i32 s6, s4, s0
	s_wait_kmcnt 0x0
	v_lshl_add_u64 v[4:5], v[4:5], 1, s[8:9]
	s_ashr_i32 s7, s6, 31
	v_add_nc_u32_e32 v1, s5, v49
	s_lshl_b64 s[6:7], s[6:7], 2
	global_load_b64 v[6:7], v[4:5], off
	s_wait_xcnt 0x0
	v_mov_b32_e32 v4, 0
	s_add_nc_u64 s[6:7], s[12:13], s[6:7]
	global_load_b32 v1, v1, s[2:3] scale_offset
	s_ashr_i32 s5, s4, 31
	s_mov_b32 s12, 0xf000f0
	s_lshl_b64 s[0:1], s[4:5], 4
	v_dual_mov_b32 v5, v4 :: v_dual_mov_b32 v52, v4
	v_dual_mov_b32 v53, v4 :: v_dual_mov_b32 v50, v4
	;; [unrolled: 1-line block ×11, first 2 shown]
	s_wait_loadcnt 0x1
	v_dual_mov_b32 v34, v4 :: v_dual_lshrrev_b32 v16, 16, v6
	v_lshrrev_b32_e32 v17, 16, v7
	v_cvt_f32_f16_e32 v56, v6
	s_wait_loadcnt 0x0
	v_lshrrev_b32_e32 v0, v0, v1
	v_cvt_f32_f16_e32 v6, v7
	v_cvt_f32_f16_e32 v57, v16
	;; [unrolled: 1-line block ×3, first 2 shown]
	s_delay_alu instid0(VALU_DEP_4) | instskip(NEXT) | instid1(VALU_DEP_1)
	v_lshrrev_b32_e32 v1, 12, v0
	v_dual_lshrrev_b32 v8, 8, v0 :: v_dual_bitop2_b32 v10, 15, v1 bitop3:0x40
	v_dual_lshrrev_b32 v9, 4, v0 :: v_dual_bitop2_b32 v12, 15, v0 bitop3:0x40
	v_lshl_add_u64 v[0:1], v[2:3], 2, s[6:7]
	s_delay_alu instid0(VALU_DEP_3) | instskip(NEXT) | instid1(VALU_DEP_3)
	v_dual_add_nc_u32 v3, v10, v55 :: v_dual_bitop2_b32 v8, 15, v8 bitop3:0x40
	v_and_b32_e32 v9, 15, v9
	s_lshl_b64 s[6:7], s[4:5], 2
	s_mov_b32 s5, 0xf000f
	s_delay_alu instid0(VALU_DEP_2) | instskip(SKIP_3) | instid1(VALU_DEP_3)
	v_mad_u32_u24 v61, v3, s20, 0xe400e400
	v_add_nc_u32_e32 v8, v8, v55
	v_dual_add_nc_u32 v10, v12, v55 :: v_dual_add_nc_u32 v9, v9, v55
	v_cvt_f32_ubyte0_e32 v12, v3
	v_cvt_f32_ubyte0_e32 v13, v8
	s_delay_alu instid0(VALU_DEP_3) | instskip(NEXT) | instid1(VALU_DEP_4)
	v_cvt_f32_ubyte0_e32 v14, v10
	v_cvt_f32_ubyte0_e32 v15, v9
	v_mad_u32_u24 v58, v10, s20, 0xe400e400
	v_mad_u32_u24 v59, v8, s20, 0xe400e400
	v_cvt_pk_f16_f32 v12, v13, v12
	v_mad_u32_u24 v60, v9, s20, 0xe400e400
	v_cvt_pk_f16_f32 v13, v14, v15
	s_delay_alu instid0(VALU_DEP_3) | instskip(NEXT) | instid1(VALU_DEP_2)
	v_pk_add_f16 v12, 0xd400, v12 op_sel_hi:[0,1] neg_lo:[0,1] neg_hi:[0,1]
	v_pk_add_f16 v10, 0xd400, v13 op_sel_hi:[0,1] neg_lo:[0,1] neg_hi:[0,1]
	s_delay_alu instid0(VALU_DEP_2) | instskip(NEXT) | instid1(VALU_DEP_2)
	v_and_b32_e32 v3, 0xffff, v12
	v_dual_lshrrev_b32 v8, 16, v12 :: v_dual_lshrrev_b32 v13, 16, v10
	v_and_b32_e32 v12, 0xffff, v10
	s_delay_alu instid0(VALU_DEP_3) | instskip(NEXT) | instid1(VALU_DEP_3)
	v_mul_u32_u24_e32 v10, 0x10001, v3
	v_mul_u32_u24_e32 v9, 0x10001, v8
	s_delay_alu instid0(VALU_DEP_4) | instskip(NEXT) | instid1(VALU_DEP_4)
	v_mul_u32_u24_e32 v3, 0x10001, v13
	v_mul_u32_u24_e32 v8, 0x10001, v12
	s_branch .LBB37_18
.LBB37_17:                              ;   in Loop: Header=BB37_18 Depth=1
	global_load_b128 v[12:15], v[0:1], off
	s_add_co_i32 s13, s19, 0x400
	s_add_co_i32 s15, s15, 32
	v_mov_b32_e32 v26, s19
	s_wait_loadcnt 0x0
	v_and_or_b32 v16, v12, s5, 0x64006400
	v_and_or_b32 v17, v12, s12, 0x64006400
	v_lshrrev_b32_e32 v12, 8, v12
	s_delay_alu instid0(VALU_DEP_3) | instskip(SKIP_1) | instid1(VALU_DEP_3)
	v_pk_add_f16 v19, v58, v16
	v_and_or_b32 v16, v13, s12, 0x64006400
	v_and_or_b32 v18, v12, s5, 0x64006400
	v_and_or_b32 v12, v12, s12, 0x64006400
	v_pk_fma_f16 v20, 0x2c00, v17, v8 op_sel_hi:[0,1,1]
	s_delay_alu instid0(VALU_DEP_4) | instskip(NEXT) | instid1(VALU_DEP_4)
	v_pk_fma_f16 v24, 0x2c00, v16, v3 op_sel_hi:[0,1,1]
	v_pk_add_f16 v21, v58, v18
	s_delay_alu instid0(VALU_DEP_4) | instskip(SKIP_2) | instid1(VALU_DEP_2)
	v_pk_fma_f16 v22, 0x2c00, v12, v8 op_sel_hi:[0,1,1]
	v_and_or_b32 v12, v13, s5, 0x64006400
	v_lshrrev_b32_e32 v13, 8, v13
	v_pk_add_f16 v23, v60, v12
	s_delay_alu instid0(VALU_DEP_2) | instskip(SKIP_2) | instid1(VALU_DEP_3)
	v_and_or_b32 v17, v13, s5, 0x64006400
	v_and_or_b32 v13, v13, s12, 0x64006400
	;; [unrolled: 1-line block ×3, first 2 shown]
	v_pk_add_f16 v25, v60, v17
	s_delay_alu instid0(VALU_DEP_3) | instskip(SKIP_4) | instid1(VALU_DEP_4)
	v_pk_fma_f16 v27, 0x2c00, v13, v3 op_sel_hi:[0,1,1]
	v_and_or_b32 v13, v14, s12, 0x64006400
	v_lshrrev_b32_e32 v14, 8, v14
	v_pk_add_f16 v28, v59, v12
	v_and_or_b32 v12, v15, s5, 0x64006400
	v_pk_fma_f16 v29, 0x2c00, v13, v10 op_sel_hi:[0,1,1]
	v_and_or_b32 v13, v15, s12, 0x64006400
	v_and_or_b32 v16, v14, s5, 0x64006400
	s_delay_alu instid0(VALU_DEP_4) | instskip(SKIP_1) | instid1(VALU_DEP_4)
	v_pk_add_f16 v62, v61, v12
	v_and_or_b32 v14, v14, s12, 0x64006400
	v_pk_fma_f16 v63, 0x2c00, v13, v9 op_sel_hi:[0,1,1]
	ds_load_2addr_b32 v[12:13], v26 offset1:1
	v_pk_add_f16 v30, v59, v16
	v_pk_fma_f16 v31, 0x2c00, v14, v10 op_sel_hi:[0,1,1]
	v_lshrrev_b32_e32 v14, 8, v15
	s_delay_alu instid0(VALU_DEP_1) | instskip(SKIP_1) | instid1(VALU_DEP_2)
	v_and_or_b32 v15, v14, s5, 0x64006400
	v_and_or_b32 v14, v14, s12, 0x64006400
	v_pk_add_f16 v64, v61, v15
	s_delay_alu instid0(VALU_DEP_2) | instskip(SKIP_2) | instid1(VALU_DEP_1)
	v_pk_fma_f16 v65, 0x2c00, v14, v9 op_sel_hi:[0,1,1]
	s_wait_dscnt 0x0
	v_pk_fma_f16 v14, v19, v12, 0
	v_pk_fma_f16 v16, v20, v13, v14
	ds_load_2addr_b32 v[14:15], v26 offset0:2 offset1:3
	s_wait_dscnt 0x0
	v_pk_fma_f16 v16, v21, v14, v16
	s_delay_alu instid0(VALU_DEP_1) | instskip(NEXT) | instid1(VALU_DEP_1)
	v_pk_fma_f16 v16, v22, v15, v16
	v_cvt_f32_f16_e32 v17, v16
	v_lshrrev_b32_e32 v16, 16, v16
	s_delay_alu instid0(VALU_DEP_1) | instskip(NEXT) | instid1(VALU_DEP_1)
	v_cvt_f32_f16_e32 v16, v16
	v_add_f32_e32 v16, v16, v17
	s_delay_alu instid0(VALU_DEP_1) | instskip(SKIP_1) | instid1(VALU_DEP_1)
	v_fmac_f32_e32 v52, v16, v56
	v_pk_fma_f16 v16, v23, v12, 0
	v_pk_fma_f16 v16, v24, v13, v16
	s_delay_alu instid0(VALU_DEP_1) | instskip(NEXT) | instid1(VALU_DEP_1)
	v_pk_fma_f16 v16, v25, v14, v16
	v_pk_fma_f16 v16, v27, v15, v16
	s_delay_alu instid0(VALU_DEP_1) | instskip(SKIP_1) | instid1(VALU_DEP_1)
	v_cvt_f32_f16_e32 v17, v16
	v_lshrrev_b32_e32 v16, 16, v16
	v_cvt_f32_f16_e32 v16, v16
	s_delay_alu instid0(VALU_DEP_1) | instskip(NEXT) | instid1(VALU_DEP_1)
	v_add_f32_e32 v16, v16, v17
	v_fmac_f32_e32 v53, v16, v57
	v_pk_fma_f16 v16, v28, v12, 0
	v_pk_fma_f16 v12, v62, v12, 0
	s_delay_alu instid0(VALU_DEP_2) | instskip(NEXT) | instid1(VALU_DEP_2)
	v_pk_fma_f16 v16, v29, v13, v16
	v_pk_fma_f16 v12, v63, v13, v12
	s_delay_alu instid0(VALU_DEP_2) | instskip(NEXT) | instid1(VALU_DEP_2)
	v_pk_fma_f16 v16, v30, v14, v16
	v_pk_fma_f16 v12, v64, v14, v12
	s_delay_alu instid0(VALU_DEP_2) | instskip(NEXT) | instid1(VALU_DEP_2)
	v_pk_fma_f16 v16, v31, v15, v16
	v_pk_fma_f16 v12, v65, v15, v12
	s_delay_alu instid0(VALU_DEP_2) | instskip(NEXT) | instid1(VALU_DEP_2)
	v_cvt_f32_f16_e32 v17, v16
	v_cvt_f32_f16_e32 v13, v12
	v_lshrrev_b32_e32 v12, 16, v12
	v_lshrrev_b32_e32 v16, 16, v16
	s_delay_alu instid0(VALU_DEP_2) | instskip(NEXT) | instid1(VALU_DEP_2)
	v_cvt_f32_f16_e32 v12, v12
	v_cvt_f32_f16_e32 v16, v16
	s_delay_alu instid0(VALU_DEP_2) | instskip(NEXT) | instid1(VALU_DEP_2)
	v_add_f32_e32 v12, v12, v13
	v_add_f32_e32 v16, v16, v17
	s_delay_alu instid0(VALU_DEP_2) | instskip(SKIP_4) | instid1(VALU_DEP_1)
	v_fmac_f32_e32 v51, v12, v7
	ds_load_2addr_b32 v[12:13], v26 offset0:64 offset1:65
	v_fmac_f32_e32 v50, v16, v6
	s_wait_dscnt 0x0
	v_pk_fma_f16 v14, v19, v12, 0
	v_pk_fma_f16 v16, v20, v13, v14
	ds_load_2addr_b32 v[14:15], v26 offset0:66 offset1:67
	s_wait_dscnt 0x0
	v_pk_fma_f16 v16, v21, v14, v16
	s_delay_alu instid0(VALU_DEP_1) | instskip(NEXT) | instid1(VALU_DEP_1)
	v_pk_fma_f16 v16, v22, v15, v16
	v_cvt_f32_f16_e32 v17, v16
	v_lshrrev_b32_e32 v16, 16, v16
	s_delay_alu instid0(VALU_DEP_1) | instskip(NEXT) | instid1(VALU_DEP_1)
	v_cvt_f32_f16_e32 v16, v16
	v_add_f32_e32 v16, v16, v17
	s_delay_alu instid0(VALU_DEP_1) | instskip(SKIP_1) | instid1(VALU_DEP_1)
	v_fmac_f32_e32 v47, v16, v56
	v_pk_fma_f16 v16, v23, v12, 0
	v_pk_fma_f16 v16, v24, v13, v16
	s_delay_alu instid0(VALU_DEP_1) | instskip(NEXT) | instid1(VALU_DEP_1)
	v_pk_fma_f16 v16, v25, v14, v16
	v_pk_fma_f16 v16, v27, v15, v16
	s_delay_alu instid0(VALU_DEP_1) | instskip(SKIP_1) | instid1(VALU_DEP_1)
	v_cvt_f32_f16_e32 v17, v16
	v_lshrrev_b32_e32 v16, 16, v16
	v_cvt_f32_f16_e32 v16, v16
	s_delay_alu instid0(VALU_DEP_1) | instskip(NEXT) | instid1(VALU_DEP_1)
	v_add_f32_e32 v16, v16, v17
	v_fmac_f32_e32 v48, v16, v57
	v_pk_fma_f16 v16, v28, v12, 0
	v_pk_fma_f16 v12, v62, v12, 0
	s_delay_alu instid0(VALU_DEP_2) | instskip(NEXT) | instid1(VALU_DEP_2)
	v_pk_fma_f16 v16, v29, v13, v16
	v_pk_fma_f16 v12, v63, v13, v12
	s_delay_alu instid0(VALU_DEP_2) | instskip(NEXT) | instid1(VALU_DEP_2)
	v_pk_fma_f16 v16, v30, v14, v16
	v_pk_fma_f16 v12, v64, v14, v12
	s_delay_alu instid0(VALU_DEP_2) | instskip(NEXT) | instid1(VALU_DEP_2)
	v_pk_fma_f16 v16, v31, v15, v16
	v_pk_fma_f16 v12, v65, v15, v12
	s_delay_alu instid0(VALU_DEP_2) | instskip(NEXT) | instid1(VALU_DEP_2)
	v_cvt_f32_f16_e32 v17, v16
	v_cvt_f32_f16_e32 v13, v12
	v_lshrrev_b32_e32 v12, 16, v12
	v_lshrrev_b32_e32 v16, 16, v16
	s_delay_alu instid0(VALU_DEP_2) | instskip(NEXT) | instid1(VALU_DEP_2)
	v_cvt_f32_f16_e32 v12, v12
	v_cvt_f32_f16_e32 v16, v16
	s_delay_alu instid0(VALU_DEP_2) | instskip(NEXT) | instid1(VALU_DEP_2)
	v_add_f32_e32 v12, v12, v13
	v_add_f32_e32 v16, v16, v17
	s_delay_alu instid0(VALU_DEP_2) | instskip(SKIP_4) | instid1(VALU_DEP_1)
	v_fmac_f32_e32 v46, v12, v7
	ds_load_2addr_b32 v[12:13], v26 offset0:128 offset1:129
	v_fmac_f32_e32 v45, v16, v6
	;; [unrolled: 53-line block ×3, first 2 shown]
	s_wait_dscnt 0x0
	v_pk_fma_f16 v14, v19, v12, 0
	v_pk_fma_f16 v16, v20, v13, v14
	ds_load_2addr_b32 v[14:15], v26 offset0:194 offset1:195
	s_wait_dscnt 0x0
	v_pk_fma_f16 v16, v21, v14, v16
	s_delay_alu instid0(VALU_DEP_1) | instskip(NEXT) | instid1(VALU_DEP_1)
	v_pk_fma_f16 v16, v22, v15, v16
	v_cvt_f32_f16_e32 v17, v16
	v_lshrrev_b32_e32 v16, 16, v16
	s_delay_alu instid0(VALU_DEP_1) | instskip(NEXT) | instid1(VALU_DEP_1)
	v_cvt_f32_f16_e32 v16, v16
	v_add_f32_e32 v16, v16, v17
	s_delay_alu instid0(VALU_DEP_1) | instskip(SKIP_1) | instid1(VALU_DEP_1)
	v_fmac_f32_e32 v39, v16, v56
	v_pk_fma_f16 v16, v23, v12, 0
	v_pk_fma_f16 v16, v24, v13, v16
	s_delay_alu instid0(VALU_DEP_1) | instskip(NEXT) | instid1(VALU_DEP_1)
	v_pk_fma_f16 v16, v25, v14, v16
	v_pk_fma_f16 v16, v27, v15, v16
	s_delay_alu instid0(VALU_DEP_1) | instskip(SKIP_1) | instid1(VALU_DEP_1)
	v_cvt_f32_f16_e32 v17, v16
	v_lshrrev_b32_e32 v16, 16, v16
	v_cvt_f32_f16_e32 v16, v16
	s_delay_alu instid0(VALU_DEP_1) | instskip(NEXT) | instid1(VALU_DEP_1)
	v_add_f32_e32 v16, v16, v17
	v_fmac_f32_e32 v40, v16, v57
	v_pk_fma_f16 v16, v28, v12, 0
	v_pk_fma_f16 v12, v62, v12, 0
	s_delay_alu instid0(VALU_DEP_2) | instskip(NEXT) | instid1(VALU_DEP_2)
	v_pk_fma_f16 v16, v29, v13, v16
	v_pk_fma_f16 v12, v63, v13, v12
	s_delay_alu instid0(VALU_DEP_2) | instskip(NEXT) | instid1(VALU_DEP_2)
	;; [unrolled: 3-line block ×4, first 2 shown]
	v_cvt_f32_f16_e32 v17, v16
	v_cvt_f32_f16_e32 v13, v12
	v_lshrrev_b32_e32 v12, 16, v12
	v_lshrrev_b32_e32 v16, 16, v16
	s_delay_alu instid0(VALU_DEP_2) | instskip(NEXT) | instid1(VALU_DEP_2)
	v_cvt_f32_f16_e32 v12, v12
	v_cvt_f32_f16_e32 v16, v16
	s_delay_alu instid0(VALU_DEP_2) | instskip(NEXT) | instid1(VALU_DEP_2)
	v_add_f32_e32 v12, v12, v13
	v_add_f32_e32 v16, v16, v17
	s_delay_alu instid0(VALU_DEP_2) | instskip(SKIP_1) | instid1(VALU_DEP_2)
	v_dual_fmac_f32 v37, v12, v7 :: v_dual_mov_b32 v12, s13
	s_add_co_i32 s13, s19, 0x408
	v_fmac_f32_e32 v38, v16, v6
	ds_load_2addr_b32 v[12:13], v12 offset1:1
	s_wait_dscnt 0x0
	v_pk_fma_f16 v14, v19, v12, 0
	s_delay_alu instid0(VALU_DEP_1)
	v_pk_fma_f16 v16, v20, v13, v14
	v_mov_b32_e32 v14, s13
	s_add_co_i32 s13, s19, 0x500
	ds_load_2addr_b32 v[14:15], v14 offset1:1
	s_wait_dscnt 0x0
	v_pk_fma_f16 v16, v21, v14, v16
	s_delay_alu instid0(VALU_DEP_1) | instskip(NEXT) | instid1(VALU_DEP_1)
	v_pk_fma_f16 v16, v22, v15, v16
	v_cvt_f32_f16_e32 v17, v16
	v_lshrrev_b32_e32 v16, 16, v16
	s_delay_alu instid0(VALU_DEP_1) | instskip(NEXT) | instid1(VALU_DEP_1)
	v_cvt_f32_f16_e32 v16, v16
	v_add_f32_e32 v16, v16, v17
	s_delay_alu instid0(VALU_DEP_1) | instskip(SKIP_1) | instid1(VALU_DEP_1)
	v_fmac_f32_e32 v35, v16, v56
	v_pk_fma_f16 v16, v23, v12, 0
	v_pk_fma_f16 v16, v24, v13, v16
	s_delay_alu instid0(VALU_DEP_1) | instskip(NEXT) | instid1(VALU_DEP_1)
	v_pk_fma_f16 v16, v25, v14, v16
	v_pk_fma_f16 v16, v27, v15, v16
	s_delay_alu instid0(VALU_DEP_1) | instskip(SKIP_1) | instid1(VALU_DEP_1)
	v_cvt_f32_f16_e32 v17, v16
	v_lshrrev_b32_e32 v16, 16, v16
	v_cvt_f32_f16_e32 v16, v16
	s_delay_alu instid0(VALU_DEP_1) | instskip(NEXT) | instid1(VALU_DEP_1)
	v_add_f32_e32 v16, v16, v17
	v_fmac_f32_e32 v36, v16, v57
	v_pk_fma_f16 v16, v28, v12, 0
	v_pk_fma_f16 v12, v62, v12, 0
	s_delay_alu instid0(VALU_DEP_2) | instskip(NEXT) | instid1(VALU_DEP_2)
	v_pk_fma_f16 v16, v29, v13, v16
	v_pk_fma_f16 v12, v63, v13, v12
	s_delay_alu instid0(VALU_DEP_2) | instskip(NEXT) | instid1(VALU_DEP_2)
	;; [unrolled: 3-line block ×4, first 2 shown]
	v_cvt_f32_f16_e32 v17, v16
	v_cvt_f32_f16_e32 v13, v12
	v_lshrrev_b32_e32 v12, 16, v12
	v_lshrrev_b32_e32 v16, 16, v16
	s_delay_alu instid0(VALU_DEP_2) | instskip(NEXT) | instid1(VALU_DEP_2)
	v_cvt_f32_f16_e32 v12, v12
	v_cvt_f32_f16_e32 v16, v16
	s_delay_alu instid0(VALU_DEP_2) | instskip(NEXT) | instid1(VALU_DEP_2)
	v_add_f32_e32 v12, v12, v13
	v_add_f32_e32 v16, v16, v17
	s_delay_alu instid0(VALU_DEP_2) | instskip(NEXT) | instid1(VALU_DEP_2)
	v_dual_fmac_f32 v33, v12, v7 :: v_dual_mov_b32 v12, s13
	v_fmac_f32_e32 v32, v16, v6
	s_add_co_i32 s13, s19, 0x508
	s_delay_alu instid0(SALU_CYCLE_1)
	v_mov_b32_e32 v13, s13
	ds_load_2addr_b32 v[16:17], v12 offset1:1
	s_add_co_i32 s13, s19, 0x410
	s_wait_dscnt 0x0
	v_pk_fma_f16 v12, v19, v16, 0
	ds_load_2addr_b32 v[18:19], v13 offset1:1
	v_pk_fma_f16 v12, v20, v17, v12
	s_wait_dscnt 0x0
	s_delay_alu instid0(VALU_DEP_1) | instskip(SKIP_2) | instid1(VALU_DEP_3)
	v_pk_fma_f16 v12, v21, v18, v12
	v_add_nc_u64_e32 v[20:21], s[6:7], v[0:1]
	v_add_nc_u64_e32 v[0:1], s[0:1], v[0:1]
	v_pk_fma_f16 v12, v22, v19, v12
	s_delay_alu instid0(VALU_DEP_1) | instskip(SKIP_1) | instid1(VALU_DEP_1)
	v_cvt_f32_f16_e32 v13, v12
	v_lshrrev_b32_e32 v12, 16, v12
	v_cvt_f32_f16_e32 v12, v12
	s_delay_alu instid0(VALU_DEP_1) | instskip(NEXT) | instid1(VALU_DEP_1)
	v_add_f32_e32 v12, v12, v13
	v_fmac_f32_e32 v11, v12, v56
	v_pk_fma_f16 v12, v23, v16, 0
	s_delay_alu instid0(VALU_DEP_1) | instskip(NEXT) | instid1(VALU_DEP_1)
	v_pk_fma_f16 v12, v24, v17, v12
	v_pk_fma_f16 v12, v25, v18, v12
	s_delay_alu instid0(VALU_DEP_1) | instskip(NEXT) | instid1(VALU_DEP_1)
	v_pk_fma_f16 v12, v27, v19, v12
	v_cvt_f32_f16_e32 v13, v12
	v_lshrrev_b32_e32 v12, 16, v12
	s_delay_alu instid0(VALU_DEP_1) | instskip(NEXT) | instid1(VALU_DEP_1)
	v_cvt_f32_f16_e32 v12, v12
	v_add_f32_e32 v12, v12, v13
	s_delay_alu instid0(VALU_DEP_1) | instskip(SKIP_1) | instid1(VALU_DEP_1)
	v_fmac_f32_e32 v34, v12, v57
	v_pk_fma_f16 v12, v28, v16, 0
	v_pk_fma_f16 v12, v29, v17, v12
	s_delay_alu instid0(VALU_DEP_1) | instskip(NEXT) | instid1(VALU_DEP_1)
	v_pk_fma_f16 v12, v30, v18, v12
	v_pk_fma_f16 v13, v31, v19, v12
	s_delay_alu instid0(VALU_DEP_1) | instskip(SKIP_1) | instid1(VALU_DEP_1)
	v_cvt_f32_f16_e32 v12, v13
	v_lshrrev_b32_e32 v13, 16, v13
	v_cvt_f32_f16_e32 v14, v13
	v_pk_fma_f16 v13, v62, v16, 0
	s_delay_alu instid0(VALU_DEP_1) | instskip(NEXT) | instid1(VALU_DEP_1)
	v_pk_fma_f16 v13, v63, v17, v13
	v_pk_fma_f16 v13, v64, v18, v13
	s_delay_alu instid0(VALU_DEP_1) | instskip(SKIP_3) | instid1(VALU_DEP_2)
	v_pk_fma_f16 v13, v65, v19, v13
	global_load_b128 v[16:19], v[20:21], off
	v_lshrrev_b32_e32 v15, 16, v13
	v_cvt_f32_f16_e32 v13, v13
	v_cvt_f32_f16_e32 v15, v15
	s_delay_alu instid0(VALU_DEP_1) | instskip(NEXT) | instid1(VALU_DEP_1)
	v_pk_add_f32 v[12:13], v[12:13], v[14:15]
	v_pk_fma_f32 v[4:5], v[12:13], v[6:7], v[4:5]
	s_wait_loadcnt 0x0
	v_and_or_b32 v22, v16, s5, 0x64006400
	v_and_or_b32 v23, v16, s12, 0x64006400
	v_lshrrev_b32_e32 v16, 8, v16
	s_delay_alu instid0(VALU_DEP_3) | instskip(SKIP_1) | instid1(VALU_DEP_3)
	v_pk_add_f16 v25, v58, v22
	v_and_or_b32 v22, v17, s12, 0x64006400
	v_and_or_b32 v24, v16, s5, 0x64006400
	;; [unrolled: 1-line block ×3, first 2 shown]
	v_pk_fma_f16 v27, 0x2c00, v23, v8 op_sel_hi:[0,1,1]
	s_delay_alu instid0(VALU_DEP_4) | instskip(NEXT) | instid1(VALU_DEP_4)
	v_pk_fma_f16 v31, 0x2c00, v22, v3 op_sel_hi:[0,1,1]
	v_pk_add_f16 v28, v58, v24
	s_delay_alu instid0(VALU_DEP_4) | instskip(SKIP_2) | instid1(VALU_DEP_2)
	v_pk_fma_f16 v29, 0x2c00, v16, v8 op_sel_hi:[0,1,1]
	v_and_or_b32 v16, v17, s5, 0x64006400
	v_lshrrev_b32_e32 v17, 8, v17
	v_pk_add_f16 v30, v60, v16
	s_delay_alu instid0(VALU_DEP_2) | instskip(SKIP_2) | instid1(VALU_DEP_3)
	v_and_or_b32 v23, v17, s5, 0x64006400
	v_and_or_b32 v17, v17, s12, 0x64006400
	;; [unrolled: 1-line block ×3, first 2 shown]
	v_pk_add_f16 v62, v60, v23
	s_delay_alu instid0(VALU_DEP_3) | instskip(SKIP_1) | instid1(VALU_DEP_4)
	v_pk_fma_f16 v63, 0x2c00, v17, v3 op_sel_hi:[0,1,1]
	v_and_or_b32 v17, v18, s12, 0x64006400
	v_pk_add_f16 v64, v59, v16
	v_and_or_b32 v16, v19, s5, 0x64006400
	v_lshrrev_b32_e32 v18, 8, v18
	s_delay_alu instid0(VALU_DEP_4) | instskip(SKIP_1) | instid1(VALU_DEP_4)
	v_pk_fma_f16 v65, 0x2c00, v17, v10 op_sel_hi:[0,1,1]
	v_and_or_b32 v17, v19, s12, 0x64006400
	v_pk_add_f16 v68, v61, v16
	s_delay_alu instid0(VALU_DEP_4) | instskip(SKIP_1) | instid1(VALU_DEP_4)
	v_and_or_b32 v22, v18, s5, 0x64006400
	v_and_or_b32 v18, v18, s12, 0x64006400
	v_pk_fma_f16 v69, 0x2c00, v17, v9 op_sel_hi:[0,1,1]
	ds_load_2addr_b32 v[16:17], v26 offset0:4 offset1:5
	v_pk_add_f16 v66, v59, v22
	v_pk_fma_f16 v67, 0x2c00, v18, v10 op_sel_hi:[0,1,1]
	v_lshrrev_b32_e32 v18, 8, v19
	s_delay_alu instid0(VALU_DEP_1) | instskip(SKIP_1) | instid1(VALU_DEP_2)
	v_and_or_b32 v19, v18, s5, 0x64006400
	v_and_or_b32 v18, v18, s12, 0x64006400
	v_pk_add_f16 v70, v61, v19
	s_delay_alu instid0(VALU_DEP_2) | instskip(SKIP_2) | instid1(VALU_DEP_1)
	v_pk_fma_f16 v71, 0x2c00, v18, v9 op_sel_hi:[0,1,1]
	s_wait_dscnt 0x0
	v_pk_fma_f16 v18, v25, v16, 0
	v_pk_fma_f16 v22, v27, v17, v18
	ds_load_2addr_b32 v[18:19], v26 offset0:6 offset1:7
	s_wait_dscnt 0x0
	v_pk_fma_f16 v22, v28, v18, v22
	s_delay_alu instid0(VALU_DEP_1) | instskip(NEXT) | instid1(VALU_DEP_1)
	v_pk_fma_f16 v22, v29, v19, v22
	v_cvt_f32_f16_e32 v23, v22
	v_lshrrev_b32_e32 v22, 16, v22
	s_delay_alu instid0(VALU_DEP_1) | instskip(NEXT) | instid1(VALU_DEP_1)
	v_cvt_f32_f16_e32 v22, v22
	v_add_f32_e32 v22, v22, v23
	s_delay_alu instid0(VALU_DEP_1) | instskip(SKIP_1) | instid1(VALU_DEP_1)
	v_fmac_f32_e32 v52, v22, v56
	v_pk_fma_f16 v22, v30, v16, 0
	v_pk_fma_f16 v22, v31, v17, v22
	s_delay_alu instid0(VALU_DEP_1) | instskip(NEXT) | instid1(VALU_DEP_1)
	v_pk_fma_f16 v22, v62, v18, v22
	v_pk_fma_f16 v22, v63, v19, v22
	s_delay_alu instid0(VALU_DEP_1) | instskip(SKIP_1) | instid1(VALU_DEP_1)
	v_cvt_f32_f16_e32 v23, v22
	v_lshrrev_b32_e32 v22, 16, v22
	v_cvt_f32_f16_e32 v22, v22
	s_delay_alu instid0(VALU_DEP_1) | instskip(NEXT) | instid1(VALU_DEP_1)
	v_add_f32_e32 v22, v22, v23
	v_fmac_f32_e32 v53, v22, v57
	v_pk_fma_f16 v22, v64, v16, 0
	v_pk_fma_f16 v16, v68, v16, 0
	s_delay_alu instid0(VALU_DEP_2) | instskip(NEXT) | instid1(VALU_DEP_2)
	v_pk_fma_f16 v22, v65, v17, v22
	v_pk_fma_f16 v16, v69, v17, v16
	s_delay_alu instid0(VALU_DEP_2) | instskip(NEXT) | instid1(VALU_DEP_2)
	;; [unrolled: 3-line block ×3, first 2 shown]
	v_pk_fma_f16 v22, v67, v19, v22
	v_pk_fma_f16 v16, v71, v19, v16
	s_delay_alu instid0(VALU_DEP_2) | instskip(SKIP_1) | instid1(VALU_DEP_3)
	v_cvt_f32_f16_e32 v23, v22
	v_lshrrev_b32_e32 v22, 16, v22
	v_cvt_f32_f16_e32 v17, v16
	v_lshrrev_b32_e32 v16, 16, v16
	s_delay_alu instid0(VALU_DEP_3) | instskip(NEXT) | instid1(VALU_DEP_2)
	v_cvt_f32_f16_e32 v22, v22
	v_cvt_f32_f16_e32 v16, v16
	s_delay_alu instid0(VALU_DEP_1) | instskip(NEXT) | instid1(VALU_DEP_1)
	v_dual_add_f32 v22, v22, v23 :: v_dual_add_f32 v16, v16, v17
	v_dual_fmac_f32 v50, v22, v6 :: v_dual_fmac_f32 v51, v16, v7
	ds_load_2addr_b32 v[16:17], v26 offset0:68 offset1:69
	s_wait_dscnt 0x0
	v_pk_fma_f16 v18, v25, v16, 0
	s_delay_alu instid0(VALU_DEP_1) | instskip(SKIP_3) | instid1(VALU_DEP_1)
	v_pk_fma_f16 v22, v27, v17, v18
	ds_load_2addr_b32 v[18:19], v26 offset0:70 offset1:71
	s_wait_dscnt 0x0
	v_pk_fma_f16 v22, v28, v18, v22
	v_pk_fma_f16 v22, v29, v19, v22
	s_delay_alu instid0(VALU_DEP_1) | instskip(SKIP_1) | instid1(VALU_DEP_1)
	v_cvt_f32_f16_e32 v23, v22
	v_lshrrev_b32_e32 v22, 16, v22
	v_cvt_f32_f16_e32 v22, v22
	s_delay_alu instid0(VALU_DEP_1) | instskip(NEXT) | instid1(VALU_DEP_1)
	v_add_f32_e32 v22, v22, v23
	v_fmac_f32_e32 v47, v22, v56
	v_pk_fma_f16 v22, v30, v16, 0
	s_delay_alu instid0(VALU_DEP_1) | instskip(NEXT) | instid1(VALU_DEP_1)
	v_pk_fma_f16 v22, v31, v17, v22
	v_pk_fma_f16 v22, v62, v18, v22
	s_delay_alu instid0(VALU_DEP_1) | instskip(NEXT) | instid1(VALU_DEP_1)
	v_pk_fma_f16 v22, v63, v19, v22
	v_cvt_f32_f16_e32 v23, v22
	v_lshrrev_b32_e32 v22, 16, v22
	s_delay_alu instid0(VALU_DEP_1) | instskip(NEXT) | instid1(VALU_DEP_1)
	v_cvt_f32_f16_e32 v22, v22
	v_add_f32_e32 v22, v22, v23
	s_delay_alu instid0(VALU_DEP_1) | instskip(SKIP_2) | instid1(VALU_DEP_2)
	v_fmac_f32_e32 v48, v22, v57
	v_pk_fma_f16 v22, v64, v16, 0
	v_pk_fma_f16 v16, v68, v16, 0
	;; [unrolled: 1-line block ×3, first 2 shown]
	s_delay_alu instid0(VALU_DEP_2) | instskip(NEXT) | instid1(VALU_DEP_2)
	v_pk_fma_f16 v16, v69, v17, v16
	v_pk_fma_f16 v22, v66, v18, v22
	s_delay_alu instid0(VALU_DEP_2) | instskip(NEXT) | instid1(VALU_DEP_2)
	v_pk_fma_f16 v16, v70, v18, v16
	v_pk_fma_f16 v22, v67, v19, v22
	s_delay_alu instid0(VALU_DEP_2) | instskip(NEXT) | instid1(VALU_DEP_2)
	v_pk_fma_f16 v16, v71, v19, v16
	v_cvt_f32_f16_e32 v23, v22
	v_lshrrev_b32_e32 v22, 16, v22
	s_delay_alu instid0(VALU_DEP_3) | instskip(SKIP_1) | instid1(VALU_DEP_3)
	v_cvt_f32_f16_e32 v17, v16
	v_lshrrev_b32_e32 v16, 16, v16
	v_cvt_f32_f16_e32 v22, v22
	s_delay_alu instid0(VALU_DEP_2) | instskip(NEXT) | instid1(VALU_DEP_1)
	v_cvt_f32_f16_e32 v16, v16
	v_dual_add_f32 v22, v22, v23 :: v_dual_add_f32 v16, v16, v17
	s_delay_alu instid0(VALU_DEP_1) | instskip(SKIP_3) | instid1(VALU_DEP_1)
	v_dual_fmac_f32 v45, v22, v6 :: v_dual_fmac_f32 v46, v16, v7
	ds_load_2addr_b32 v[16:17], v26 offset0:132 offset1:133
	s_wait_dscnt 0x0
	v_pk_fma_f16 v18, v25, v16, 0
	v_pk_fma_f16 v22, v27, v17, v18
	ds_load_2addr_b32 v[18:19], v26 offset0:134 offset1:135
	s_wait_dscnt 0x0
	v_pk_fma_f16 v22, v28, v18, v22
	s_delay_alu instid0(VALU_DEP_1) | instskip(NEXT) | instid1(VALU_DEP_1)
	v_pk_fma_f16 v22, v29, v19, v22
	v_cvt_f32_f16_e32 v23, v22
	v_lshrrev_b32_e32 v22, 16, v22
	s_delay_alu instid0(VALU_DEP_1) | instskip(NEXT) | instid1(VALU_DEP_1)
	v_cvt_f32_f16_e32 v22, v22
	v_add_f32_e32 v22, v22, v23
	s_delay_alu instid0(VALU_DEP_1) | instskip(SKIP_1) | instid1(VALU_DEP_1)
	v_fmac_f32_e32 v43, v22, v56
	v_pk_fma_f16 v22, v30, v16, 0
	v_pk_fma_f16 v22, v31, v17, v22
	s_delay_alu instid0(VALU_DEP_1) | instskip(NEXT) | instid1(VALU_DEP_1)
	v_pk_fma_f16 v22, v62, v18, v22
	v_pk_fma_f16 v22, v63, v19, v22
	s_delay_alu instid0(VALU_DEP_1) | instskip(SKIP_1) | instid1(VALU_DEP_1)
	v_cvt_f32_f16_e32 v23, v22
	v_lshrrev_b32_e32 v22, 16, v22
	v_cvt_f32_f16_e32 v22, v22
	s_delay_alu instid0(VALU_DEP_1) | instskip(NEXT) | instid1(VALU_DEP_1)
	v_add_f32_e32 v22, v22, v23
	v_fmac_f32_e32 v44, v22, v57
	v_pk_fma_f16 v22, v64, v16, 0
	v_pk_fma_f16 v16, v68, v16, 0
	s_delay_alu instid0(VALU_DEP_2) | instskip(NEXT) | instid1(VALU_DEP_2)
	v_pk_fma_f16 v22, v65, v17, v22
	v_pk_fma_f16 v16, v69, v17, v16
	s_delay_alu instid0(VALU_DEP_2) | instskip(NEXT) | instid1(VALU_DEP_2)
	;; [unrolled: 3-line block ×4, first 2 shown]
	v_cvt_f32_f16_e32 v23, v22
	v_cvt_f32_f16_e32 v17, v16
	v_dual_lshrrev_b32 v16, 16, v16 :: v_dual_lshrrev_b32 v22, 16, v22
	s_delay_alu instid0(VALU_DEP_1) | instskip(NEXT) | instid1(VALU_DEP_2)
	v_cvt_f32_f16_e32 v16, v16
	v_cvt_f32_f16_e32 v22, v22
	s_delay_alu instid0(VALU_DEP_1) | instskip(NEXT) | instid1(VALU_DEP_1)
	v_dual_add_f32 v16, v16, v17 :: v_dual_add_f32 v22, v22, v23
	v_fmac_f32_e32 v42, v16, v7
	ds_load_2addr_b32 v[16:17], v26 offset0:196 offset1:197
	v_fmac_f32_e32 v41, v22, v6
	s_wait_dscnt 0x0
	v_pk_fma_f16 v18, v25, v16, 0
	s_delay_alu instid0(VALU_DEP_1) | instskip(SKIP_3) | instid1(VALU_DEP_1)
	v_pk_fma_f16 v22, v27, v17, v18
	ds_load_2addr_b32 v[18:19], v26 offset0:198 offset1:199
	s_wait_dscnt 0x0
	v_pk_fma_f16 v22, v28, v18, v22
	v_pk_fma_f16 v22, v29, v19, v22
	s_delay_alu instid0(VALU_DEP_1) | instskip(SKIP_1) | instid1(VALU_DEP_1)
	v_cvt_f32_f16_e32 v23, v22
	v_lshrrev_b32_e32 v22, 16, v22
	v_cvt_f32_f16_e32 v22, v22
	s_delay_alu instid0(VALU_DEP_1) | instskip(NEXT) | instid1(VALU_DEP_1)
	v_add_f32_e32 v22, v22, v23
	v_fmac_f32_e32 v39, v22, v56
	v_pk_fma_f16 v22, v30, v16, 0
	s_delay_alu instid0(VALU_DEP_1) | instskip(NEXT) | instid1(VALU_DEP_1)
	v_pk_fma_f16 v22, v31, v17, v22
	v_pk_fma_f16 v22, v62, v18, v22
	s_delay_alu instid0(VALU_DEP_1) | instskip(NEXT) | instid1(VALU_DEP_1)
	v_pk_fma_f16 v22, v63, v19, v22
	v_cvt_f32_f16_e32 v23, v22
	v_lshrrev_b32_e32 v22, 16, v22
	s_delay_alu instid0(VALU_DEP_1) | instskip(NEXT) | instid1(VALU_DEP_1)
	v_cvt_f32_f16_e32 v22, v22
	v_add_f32_e32 v22, v22, v23
	s_delay_alu instid0(VALU_DEP_1) | instskip(SKIP_2) | instid1(VALU_DEP_2)
	v_fmac_f32_e32 v40, v22, v57
	v_pk_fma_f16 v22, v64, v16, 0
	v_pk_fma_f16 v16, v68, v16, 0
	;; [unrolled: 1-line block ×3, first 2 shown]
	s_delay_alu instid0(VALU_DEP_2) | instskip(NEXT) | instid1(VALU_DEP_2)
	v_pk_fma_f16 v16, v69, v17, v16
	v_pk_fma_f16 v22, v66, v18, v22
	s_delay_alu instid0(VALU_DEP_2) | instskip(NEXT) | instid1(VALU_DEP_2)
	v_pk_fma_f16 v16, v70, v18, v16
	v_pk_fma_f16 v22, v67, v19, v22
	s_delay_alu instid0(VALU_DEP_2) | instskip(NEXT) | instid1(VALU_DEP_2)
	v_pk_fma_f16 v16, v71, v19, v16
	v_cvt_f32_f16_e32 v23, v22
	s_delay_alu instid0(VALU_DEP_2) | instskip(SKIP_1) | instid1(VALU_DEP_1)
	v_cvt_f32_f16_e32 v17, v16
	v_dual_lshrrev_b32 v16, 16, v16 :: v_dual_lshrrev_b32 v22, 16, v22
	v_cvt_f32_f16_e32 v16, v16
	s_delay_alu instid0(VALU_DEP_2) | instskip(NEXT) | instid1(VALU_DEP_1)
	v_cvt_f32_f16_e32 v22, v22
	v_dual_add_f32 v16, v16, v17 :: v_dual_add_f32 v22, v22, v23
	s_delay_alu instid0(VALU_DEP_1) | instskip(SKIP_1) | instid1(VALU_DEP_2)
	v_dual_fmac_f32 v37, v16, v7 :: v_dual_mov_b32 v16, s13
	s_add_co_i32 s13, s19, 0x418
	v_fmac_f32_e32 v38, v22, v6
	ds_load_2addr_b32 v[16:17], v16 offset1:1
	s_wait_dscnt 0x0
	v_pk_fma_f16 v18, v25, v16, 0
	s_delay_alu instid0(VALU_DEP_1)
	v_pk_fma_f16 v22, v27, v17, v18
	v_mov_b32_e32 v18, s13
	s_add_co_i32 s13, s19, 0x510
	ds_load_2addr_b32 v[18:19], v18 offset1:1
	s_wait_dscnt 0x0
	v_pk_fma_f16 v22, v28, v18, v22
	s_delay_alu instid0(VALU_DEP_1) | instskip(NEXT) | instid1(VALU_DEP_1)
	v_pk_fma_f16 v22, v29, v19, v22
	v_cvt_f32_f16_e32 v23, v22
	v_lshrrev_b32_e32 v22, 16, v22
	s_delay_alu instid0(VALU_DEP_1) | instskip(NEXT) | instid1(VALU_DEP_1)
	v_cvt_f32_f16_e32 v22, v22
	v_add_f32_e32 v22, v22, v23
	s_delay_alu instid0(VALU_DEP_1) | instskip(SKIP_1) | instid1(VALU_DEP_1)
	v_fmac_f32_e32 v35, v22, v56
	v_pk_fma_f16 v22, v30, v16, 0
	v_pk_fma_f16 v22, v31, v17, v22
	s_delay_alu instid0(VALU_DEP_1) | instskip(NEXT) | instid1(VALU_DEP_1)
	v_pk_fma_f16 v22, v62, v18, v22
	v_pk_fma_f16 v22, v63, v19, v22
	s_delay_alu instid0(VALU_DEP_1) | instskip(SKIP_1) | instid1(VALU_DEP_1)
	v_cvt_f32_f16_e32 v23, v22
	v_lshrrev_b32_e32 v22, 16, v22
	v_cvt_f32_f16_e32 v22, v22
	s_delay_alu instid0(VALU_DEP_1) | instskip(NEXT) | instid1(VALU_DEP_1)
	v_add_f32_e32 v22, v22, v23
	v_fmac_f32_e32 v36, v22, v57
	v_pk_fma_f16 v22, v64, v16, 0
	v_pk_fma_f16 v16, v68, v16, 0
	s_delay_alu instid0(VALU_DEP_2) | instskip(NEXT) | instid1(VALU_DEP_2)
	v_pk_fma_f16 v22, v65, v17, v22
	v_pk_fma_f16 v16, v69, v17, v16
	s_delay_alu instid0(VALU_DEP_2) | instskip(NEXT) | instid1(VALU_DEP_2)
	;; [unrolled: 3-line block ×4, first 2 shown]
	v_cvt_f32_f16_e32 v23, v22
	v_cvt_f32_f16_e32 v17, v16
	v_dual_lshrrev_b32 v16, 16, v16 :: v_dual_lshrrev_b32 v22, 16, v22
	s_delay_alu instid0(VALU_DEP_1) | instskip(NEXT) | instid1(VALU_DEP_2)
	v_cvt_f32_f16_e32 v16, v16
	v_cvt_f32_f16_e32 v22, v22
	s_delay_alu instid0(VALU_DEP_2) | instskip(NEXT) | instid1(VALU_DEP_1)
	v_add_f32_e32 v16, v16, v17
	v_dual_fmac_f32 v33, v16, v7 :: v_dual_mov_b32 v16, s13
	s_add_co_i32 s13, s19, 0x518
	s_delay_alu instid0(VALU_DEP_3) | instid1(SALU_CYCLE_1)
	v_dual_add_f32 v22, v22, v23 :: v_dual_mov_b32 v17, s13
	s_add_co_i32 s13, s19, 0x420
	s_delay_alu instid0(VALU_DEP_1)
	v_fmac_f32_e32 v32, v22, v6
	ds_load_2addr_b32 v[22:23], v16 offset1:1
	s_wait_dscnt 0x0
	v_pk_fma_f16 v16, v25, v22, 0
	ds_load_2addr_b32 v[24:25], v17 offset1:1
	v_pk_fma_f16 v16, v27, v23, v16
	s_wait_dscnt 0x0
	s_delay_alu instid0(VALU_DEP_1) | instskip(NEXT) | instid1(VALU_DEP_1)
	v_pk_fma_f16 v16, v28, v24, v16
	v_pk_fma_f16 v16, v29, v25, v16
	s_delay_alu instid0(VALU_DEP_1) | instskip(SKIP_1) | instid1(VALU_DEP_1)
	v_cvt_f32_f16_e32 v17, v16
	v_lshrrev_b32_e32 v16, 16, v16
	v_cvt_f32_f16_e32 v16, v16
	s_delay_alu instid0(VALU_DEP_1) | instskip(NEXT) | instid1(VALU_DEP_1)
	v_add_f32_e32 v16, v16, v17
	v_fmac_f32_e32 v11, v16, v56
	v_pk_fma_f16 v16, v30, v22, 0
	s_delay_alu instid0(VALU_DEP_1) | instskip(NEXT) | instid1(VALU_DEP_1)
	v_pk_fma_f16 v16, v31, v23, v16
	v_pk_fma_f16 v16, v62, v24, v16
	s_delay_alu instid0(VALU_DEP_1) | instskip(NEXT) | instid1(VALU_DEP_1)
	v_pk_fma_f16 v16, v63, v25, v16
	v_cvt_f32_f16_e32 v17, v16
	v_lshrrev_b32_e32 v16, 16, v16
	s_delay_alu instid0(VALU_DEP_1) | instskip(NEXT) | instid1(VALU_DEP_1)
	v_cvt_f32_f16_e32 v16, v16
	v_add_f32_e32 v16, v16, v17
	s_delay_alu instid0(VALU_DEP_1) | instskip(SKIP_1) | instid1(VALU_DEP_1)
	v_fmac_f32_e32 v34, v16, v57
	v_pk_fma_f16 v16, v64, v22, 0
	v_pk_fma_f16 v16, v65, v23, v16
	s_delay_alu instid0(VALU_DEP_1) | instskip(NEXT) | instid1(VALU_DEP_1)
	v_pk_fma_f16 v16, v66, v24, v16
	v_pk_fma_f16 v17, v67, v25, v16
	s_delay_alu instid0(VALU_DEP_1) | instskip(SKIP_1) | instid1(VALU_DEP_1)
	v_cvt_f32_f16_e32 v16, v17
	v_lshrrev_b32_e32 v17, 16, v17
	v_cvt_f32_f16_e32 v18, v17
	v_pk_fma_f16 v17, v68, v22, 0
	s_delay_alu instid0(VALU_DEP_1) | instskip(NEXT) | instid1(VALU_DEP_1)
	v_pk_fma_f16 v17, v69, v23, v17
	v_pk_fma_f16 v17, v70, v24, v17
	s_delay_alu instid0(VALU_DEP_1) | instskip(SKIP_1) | instid1(VALU_DEP_2)
	v_pk_fma_f16 v17, v71, v25, v17
	v_add_nc_u64_e32 v[24:25], s[6:7], v[20:21]
	v_lshrrev_b32_e32 v19, 16, v17
	v_cvt_f32_f16_e32 v17, v17
	global_load_b128 v[64:67], v[24:25], off
	s_wait_xcnt 0x0
	v_add_nc_u64_e32 v[24:25], s[6:7], v[24:25]
	v_cvt_f32_f16_e32 v19, v19
	s_delay_alu instid0(VALU_DEP_1) | instskip(NEXT) | instid1(VALU_DEP_1)
	v_pk_add_f32 v[12:13], v[16:17], v[18:19]
	v_pk_fma_f32 v[4:5], v[12:13], v[6:7], v[4:5]
	s_wait_loadcnt 0x0
	v_lshrrev_b32_e32 v22, 8, v64
	v_and_or_b32 v20, v64, s5, 0x64006400
	v_and_or_b32 v21, v64, s12, 0x64006400
	v_dual_lshrrev_b32 v29, 8, v65 :: v_dual_lshrrev_b32 v63, 8, v66
	s_delay_alu instid0(VALU_DEP_4)
	v_and_or_b32 v27, v22, s5, 0x64006400
	v_and_or_b32 v28, v22, s12, 0x64006400
	v_pk_add_f16 v23, v58, v20
	v_pk_fma_f16 v22, 0x2c00, v21, v8 op_sel_hi:[0,1,1]
	v_and_or_b32 v30, v29, s5, 0x64006400
	v_pk_add_f16 v20, v58, v27
	v_pk_fma_f16 v21, 0x2c00, v28, v8 op_sel_hi:[0,1,1]
	v_and_or_b32 v27, v65, s5, 0x64006400
	v_and_or_b32 v28, v65, s12, 0x64006400
	;; [unrolled: 1-line block ×5, first 2 shown]
	v_lshrrev_b32_e32 v68, 8, v67
	v_pk_add_f16 v29, v60, v30
	v_pk_fma_f16 v30, 0x2c00, v31, v3 op_sel_hi:[0,1,1]
	v_and_or_b32 v31, v66, s5, 0x64006400
	v_and_or_b32 v62, v66, s12, 0x64006400
	v_pk_add_f16 v63, v59, v64
	v_pk_fma_f16 v64, 0x2c00, v65, v10 op_sel_hi:[0,1,1]
	v_and_or_b32 v65, v67, s5, 0x64006400
	v_and_or_b32 v66, v67, s12, 0x64006400
	;; [unrolled: 1-line block ×4, first 2 shown]
	v_pk_add_f16 v27, v60, v27
	v_pk_fma_f16 v28, 0x2c00, v28, v3 op_sel_hi:[0,1,1]
	v_pk_fma_f16 v70, 0x2c00, v66, v9 op_sel_hi:[0,1,1]
	v_pk_add_f16 v71, v61, v67
	ds_load_2addr_b32 v[66:67], v26 offset0:8 offset1:9
	v_pk_fma_f16 v72, 0x2c00, v68, v9 op_sel_hi:[0,1,1]
	v_pk_add_f16 v31, v59, v31
	v_pk_add_f16 v65, v61, v65
	v_pk_fma_f16 v62, 0x2c00, v62, v10 op_sel_hi:[0,1,1]
	s_wait_dscnt 0x0
	v_pk_fma_f16 v68, v23, v66, 0
	s_delay_alu instid0(VALU_DEP_1) | instskip(SKIP_3) | instid1(VALU_DEP_1)
	v_pk_fma_f16 v73, v22, v67, v68
	ds_load_2addr_b32 v[68:69], v26 offset0:10 offset1:11
	s_wait_dscnt 0x0
	v_pk_fma_f16 v73, v20, v68, v73
	v_pk_fma_f16 v73, v21, v69, v73
	s_delay_alu instid0(VALU_DEP_1) | instskip(SKIP_1) | instid1(VALU_DEP_1)
	v_cvt_f32_f16_e32 v74, v73
	v_lshrrev_b32_e32 v73, 16, v73
	v_cvt_f32_f16_e32 v73, v73
	s_delay_alu instid0(VALU_DEP_1) | instskip(NEXT) | instid1(VALU_DEP_1)
	v_add_f32_e32 v73, v73, v74
	v_fmac_f32_e32 v52, v73, v56
	v_pk_fma_f16 v73, v27, v66, 0
	s_delay_alu instid0(VALU_DEP_1) | instskip(NEXT) | instid1(VALU_DEP_1)
	v_pk_fma_f16 v73, v28, v67, v73
	v_pk_fma_f16 v73, v29, v68, v73
	s_delay_alu instid0(VALU_DEP_1) | instskip(NEXT) | instid1(VALU_DEP_1)
	v_pk_fma_f16 v73, v30, v69, v73
	v_cvt_f32_f16_e32 v74, v73
	v_lshrrev_b32_e32 v73, 16, v73
	s_delay_alu instid0(VALU_DEP_1) | instskip(NEXT) | instid1(VALU_DEP_1)
	v_cvt_f32_f16_e32 v73, v73
	v_add_f32_e32 v73, v73, v74
	s_delay_alu instid0(VALU_DEP_1) | instskip(SKIP_2) | instid1(VALU_DEP_2)
	v_fmac_f32_e32 v53, v73, v57
	v_pk_fma_f16 v73, v31, v66, 0
	v_pk_fma_f16 v66, v65, v66, 0
	;; [unrolled: 1-line block ×3, first 2 shown]
	s_delay_alu instid0(VALU_DEP_2) | instskip(NEXT) | instid1(VALU_DEP_2)
	v_pk_fma_f16 v66, v70, v67, v66
	v_pk_fma_f16 v73, v63, v68, v73
	s_delay_alu instid0(VALU_DEP_2) | instskip(NEXT) | instid1(VALU_DEP_2)
	v_pk_fma_f16 v66, v71, v68, v66
	v_pk_fma_f16 v73, v64, v69, v73
	s_delay_alu instid0(VALU_DEP_2) | instskip(NEXT) | instid1(VALU_DEP_2)
	v_pk_fma_f16 v66, v72, v69, v66
	v_cvt_f32_f16_e32 v74, v73
	v_lshrrev_b32_e32 v73, 16, v73
	s_delay_alu instid0(VALU_DEP_3) | instskip(SKIP_1) | instid1(VALU_DEP_3)
	v_cvt_f32_f16_e32 v67, v66
	v_lshrrev_b32_e32 v66, 16, v66
	v_cvt_f32_f16_e32 v73, v73
	s_delay_alu instid0(VALU_DEP_2) | instskip(NEXT) | instid1(VALU_DEP_1)
	v_cvt_f32_f16_e32 v66, v66
	v_dual_add_f32 v73, v73, v74 :: v_dual_add_f32 v66, v66, v67
	s_delay_alu instid0(VALU_DEP_1) | instskip(SKIP_3) | instid1(VALU_DEP_1)
	v_dual_fmac_f32 v50, v73, v6 :: v_dual_fmac_f32 v51, v66, v7
	ds_load_2addr_b32 v[66:67], v26 offset0:72 offset1:73
	s_wait_dscnt 0x0
	v_pk_fma_f16 v68, v23, v66, 0
	v_pk_fma_f16 v73, v22, v67, v68
	ds_load_2addr_b32 v[68:69], v26 offset0:74 offset1:75
	s_wait_dscnt 0x0
	v_pk_fma_f16 v73, v20, v68, v73
	s_delay_alu instid0(VALU_DEP_1) | instskip(NEXT) | instid1(VALU_DEP_1)
	v_pk_fma_f16 v73, v21, v69, v73
	v_cvt_f32_f16_e32 v74, v73
	v_lshrrev_b32_e32 v73, 16, v73
	s_delay_alu instid0(VALU_DEP_1) | instskip(NEXT) | instid1(VALU_DEP_1)
	v_cvt_f32_f16_e32 v73, v73
	v_add_f32_e32 v73, v73, v74
	s_delay_alu instid0(VALU_DEP_1) | instskip(SKIP_1) | instid1(VALU_DEP_1)
	v_fmac_f32_e32 v47, v73, v56
	v_pk_fma_f16 v73, v27, v66, 0
	v_pk_fma_f16 v73, v28, v67, v73
	s_delay_alu instid0(VALU_DEP_1) | instskip(NEXT) | instid1(VALU_DEP_1)
	v_pk_fma_f16 v73, v29, v68, v73
	v_pk_fma_f16 v73, v30, v69, v73
	s_delay_alu instid0(VALU_DEP_1) | instskip(SKIP_1) | instid1(VALU_DEP_1)
	v_cvt_f32_f16_e32 v74, v73
	v_lshrrev_b32_e32 v73, 16, v73
	v_cvt_f32_f16_e32 v73, v73
	s_delay_alu instid0(VALU_DEP_1) | instskip(NEXT) | instid1(VALU_DEP_1)
	v_add_f32_e32 v73, v73, v74
	v_fmac_f32_e32 v48, v73, v57
	v_pk_fma_f16 v73, v31, v66, 0
	v_pk_fma_f16 v66, v65, v66, 0
	s_delay_alu instid0(VALU_DEP_2) | instskip(NEXT) | instid1(VALU_DEP_2)
	v_pk_fma_f16 v73, v62, v67, v73
	v_pk_fma_f16 v66, v70, v67, v66
	s_delay_alu instid0(VALU_DEP_2) | instskip(NEXT) | instid1(VALU_DEP_2)
	;; [unrolled: 3-line block ×3, first 2 shown]
	v_pk_fma_f16 v73, v64, v69, v73
	v_pk_fma_f16 v66, v72, v69, v66
	s_delay_alu instid0(VALU_DEP_2) | instskip(SKIP_1) | instid1(VALU_DEP_3)
	v_cvt_f32_f16_e32 v74, v73
	v_lshrrev_b32_e32 v73, 16, v73
	v_cvt_f32_f16_e32 v67, v66
	v_lshrrev_b32_e32 v66, 16, v66
	s_delay_alu instid0(VALU_DEP_3) | instskip(NEXT) | instid1(VALU_DEP_2)
	v_cvt_f32_f16_e32 v73, v73
	v_cvt_f32_f16_e32 v66, v66
	s_delay_alu instid0(VALU_DEP_1) | instskip(NEXT) | instid1(VALU_DEP_1)
	v_dual_add_f32 v73, v73, v74 :: v_dual_add_f32 v66, v66, v67
	v_dual_fmac_f32 v45, v73, v6 :: v_dual_fmac_f32 v46, v66, v7
	ds_load_2addr_b32 v[66:67], v26 offset0:136 offset1:137
	s_wait_dscnt 0x0
	v_pk_fma_f16 v68, v23, v66, 0
	s_delay_alu instid0(VALU_DEP_1) | instskip(SKIP_3) | instid1(VALU_DEP_1)
	v_pk_fma_f16 v73, v22, v67, v68
	ds_load_2addr_b32 v[68:69], v26 offset0:138 offset1:139
	s_wait_dscnt 0x0
	v_pk_fma_f16 v73, v20, v68, v73
	v_pk_fma_f16 v73, v21, v69, v73
	s_delay_alu instid0(VALU_DEP_1) | instskip(SKIP_1) | instid1(VALU_DEP_1)
	v_cvt_f32_f16_e32 v74, v73
	v_lshrrev_b32_e32 v73, 16, v73
	v_cvt_f32_f16_e32 v73, v73
	s_delay_alu instid0(VALU_DEP_1) | instskip(NEXT) | instid1(VALU_DEP_1)
	v_add_f32_e32 v73, v73, v74
	v_fmac_f32_e32 v43, v73, v56
	v_pk_fma_f16 v73, v27, v66, 0
	s_delay_alu instid0(VALU_DEP_1) | instskip(NEXT) | instid1(VALU_DEP_1)
	v_pk_fma_f16 v73, v28, v67, v73
	v_pk_fma_f16 v73, v29, v68, v73
	s_delay_alu instid0(VALU_DEP_1) | instskip(NEXT) | instid1(VALU_DEP_1)
	v_pk_fma_f16 v73, v30, v69, v73
	v_cvt_f32_f16_e32 v74, v73
	v_lshrrev_b32_e32 v73, 16, v73
	s_delay_alu instid0(VALU_DEP_1) | instskip(NEXT) | instid1(VALU_DEP_1)
	v_cvt_f32_f16_e32 v73, v73
	v_add_f32_e32 v73, v73, v74
	s_delay_alu instid0(VALU_DEP_1) | instskip(SKIP_2) | instid1(VALU_DEP_2)
	v_fmac_f32_e32 v44, v73, v57
	v_pk_fma_f16 v73, v31, v66, 0
	v_pk_fma_f16 v66, v65, v66, 0
	;; [unrolled: 1-line block ×3, first 2 shown]
	s_delay_alu instid0(VALU_DEP_2) | instskip(NEXT) | instid1(VALU_DEP_2)
	v_pk_fma_f16 v66, v70, v67, v66
	v_pk_fma_f16 v73, v63, v68, v73
	s_delay_alu instid0(VALU_DEP_2) | instskip(NEXT) | instid1(VALU_DEP_2)
	v_pk_fma_f16 v66, v71, v68, v66
	v_pk_fma_f16 v73, v64, v69, v73
	s_delay_alu instid0(VALU_DEP_2) | instskip(NEXT) | instid1(VALU_DEP_2)
	v_pk_fma_f16 v66, v72, v69, v66
	v_cvt_f32_f16_e32 v74, v73
	v_lshrrev_b32_e32 v73, 16, v73
	s_delay_alu instid0(VALU_DEP_3) | instskip(SKIP_1) | instid1(VALU_DEP_3)
	v_cvt_f32_f16_e32 v67, v66
	v_lshrrev_b32_e32 v66, 16, v66
	v_cvt_f32_f16_e32 v73, v73
	s_delay_alu instid0(VALU_DEP_2) | instskip(NEXT) | instid1(VALU_DEP_1)
	v_cvt_f32_f16_e32 v66, v66
	v_dual_add_f32 v73, v73, v74 :: v_dual_add_f32 v66, v66, v67
	s_delay_alu instid0(VALU_DEP_1) | instskip(SKIP_3) | instid1(VALU_DEP_1)
	v_dual_fmac_f32 v41, v73, v6 :: v_dual_fmac_f32 v42, v66, v7
	ds_load_2addr_b32 v[66:67], v26 offset0:200 offset1:201
	s_wait_dscnt 0x0
	v_pk_fma_f16 v68, v23, v66, 0
	v_pk_fma_f16 v73, v22, v67, v68
	ds_load_2addr_b32 v[68:69], v26 offset0:202 offset1:203
	s_wait_dscnt 0x0
	v_pk_fma_f16 v73, v20, v68, v73
	s_delay_alu instid0(VALU_DEP_1) | instskip(NEXT) | instid1(VALU_DEP_1)
	v_pk_fma_f16 v73, v21, v69, v73
	v_cvt_f32_f16_e32 v74, v73
	v_lshrrev_b32_e32 v73, 16, v73
	s_delay_alu instid0(VALU_DEP_1) | instskip(NEXT) | instid1(VALU_DEP_1)
	v_cvt_f32_f16_e32 v73, v73
	v_add_f32_e32 v73, v73, v74
	s_delay_alu instid0(VALU_DEP_1) | instskip(SKIP_1) | instid1(VALU_DEP_1)
	v_fmac_f32_e32 v39, v73, v56
	v_pk_fma_f16 v73, v27, v66, 0
	v_pk_fma_f16 v73, v28, v67, v73
	s_delay_alu instid0(VALU_DEP_1) | instskip(NEXT) | instid1(VALU_DEP_1)
	v_pk_fma_f16 v73, v29, v68, v73
	v_pk_fma_f16 v73, v30, v69, v73
	s_delay_alu instid0(VALU_DEP_1) | instskip(SKIP_1) | instid1(VALU_DEP_1)
	v_cvt_f32_f16_e32 v74, v73
	v_lshrrev_b32_e32 v73, 16, v73
	v_cvt_f32_f16_e32 v73, v73
	s_delay_alu instid0(VALU_DEP_1) | instskip(NEXT) | instid1(VALU_DEP_1)
	v_add_f32_e32 v73, v73, v74
	v_fmac_f32_e32 v40, v73, v57
	v_pk_fma_f16 v73, v31, v66, 0
	v_pk_fma_f16 v66, v65, v66, 0
	s_delay_alu instid0(VALU_DEP_2) | instskip(NEXT) | instid1(VALU_DEP_2)
	v_pk_fma_f16 v73, v62, v67, v73
	v_pk_fma_f16 v66, v70, v67, v66
	s_delay_alu instid0(VALU_DEP_2) | instskip(NEXT) | instid1(VALU_DEP_2)
	;; [unrolled: 3-line block ×3, first 2 shown]
	v_pk_fma_f16 v73, v64, v69, v73
	v_pk_fma_f16 v66, v72, v69, v66
	s_delay_alu instid0(VALU_DEP_2) | instskip(SKIP_1) | instid1(VALU_DEP_3)
	v_cvt_f32_f16_e32 v74, v73
	v_lshrrev_b32_e32 v73, 16, v73
	v_cvt_f32_f16_e32 v67, v66
	v_lshrrev_b32_e32 v66, 16, v66
	s_delay_alu instid0(VALU_DEP_3) | instskip(NEXT) | instid1(VALU_DEP_2)
	v_cvt_f32_f16_e32 v73, v73
	v_cvt_f32_f16_e32 v66, v66
	s_delay_alu instid0(VALU_DEP_1) | instskip(NEXT) | instid1(VALU_DEP_1)
	v_dual_add_f32 v73, v73, v74 :: v_dual_add_f32 v66, v66, v67
	v_dual_fmac_f32 v38, v73, v6 :: v_dual_fmac_f32 v37, v66, v7
	v_mov_b32_e32 v66, s13
	s_add_co_i32 s13, s19, 0x428
	ds_load_2addr_b32 v[66:67], v66 offset1:1
	s_wait_dscnt 0x0
	v_pk_fma_f16 v68, v23, v66, 0
	s_delay_alu instid0(VALU_DEP_1)
	v_pk_fma_f16 v73, v22, v67, v68
	v_mov_b32_e32 v68, s13
	s_add_co_i32 s13, s19, 0x520
	ds_load_2addr_b32 v[68:69], v68 offset1:1
	s_wait_dscnt 0x0
	v_pk_fma_f16 v73, v20, v68, v73
	s_delay_alu instid0(VALU_DEP_1) | instskip(NEXT) | instid1(VALU_DEP_1)
	v_pk_fma_f16 v73, v21, v69, v73
	v_cvt_f32_f16_e32 v74, v73
	v_lshrrev_b32_e32 v73, 16, v73
	s_delay_alu instid0(VALU_DEP_1) | instskip(NEXT) | instid1(VALU_DEP_1)
	v_cvt_f32_f16_e32 v73, v73
	v_add_f32_e32 v73, v73, v74
	s_delay_alu instid0(VALU_DEP_1) | instskip(SKIP_1) | instid1(VALU_DEP_1)
	v_fmac_f32_e32 v35, v73, v56
	v_pk_fma_f16 v73, v27, v66, 0
	v_pk_fma_f16 v73, v28, v67, v73
	s_delay_alu instid0(VALU_DEP_1) | instskip(NEXT) | instid1(VALU_DEP_1)
	v_pk_fma_f16 v73, v29, v68, v73
	v_pk_fma_f16 v73, v30, v69, v73
	s_delay_alu instid0(VALU_DEP_1) | instskip(SKIP_1) | instid1(VALU_DEP_1)
	v_cvt_f32_f16_e32 v74, v73
	v_lshrrev_b32_e32 v73, 16, v73
	v_cvt_f32_f16_e32 v73, v73
	s_delay_alu instid0(VALU_DEP_1) | instskip(NEXT) | instid1(VALU_DEP_1)
	v_add_f32_e32 v73, v73, v74
	v_fmac_f32_e32 v36, v73, v57
	v_pk_fma_f16 v73, v31, v66, 0
	v_pk_fma_f16 v66, v65, v66, 0
	s_delay_alu instid0(VALU_DEP_2) | instskip(NEXT) | instid1(VALU_DEP_2)
	v_pk_fma_f16 v73, v62, v67, v73
	v_pk_fma_f16 v66, v70, v67, v66
	s_delay_alu instid0(VALU_DEP_2) | instskip(NEXT) | instid1(VALU_DEP_2)
	v_pk_fma_f16 v73, v63, v68, v73
	v_pk_fma_f16 v66, v71, v68, v66
	s_delay_alu instid0(VALU_DEP_2) | instskip(NEXT) | instid1(VALU_DEP_2)
	v_pk_fma_f16 v73, v64, v69, v73
	v_pk_fma_f16 v66, v72, v69, v66
	s_delay_alu instid0(VALU_DEP_2) | instskip(SKIP_1) | instid1(VALU_DEP_3)
	v_cvt_f32_f16_e32 v74, v73
	v_lshrrev_b32_e32 v73, 16, v73
	v_cvt_f32_f16_e32 v67, v66
	v_lshrrev_b32_e32 v66, 16, v66
	s_delay_alu instid0(VALU_DEP_3) | instskip(NEXT) | instid1(VALU_DEP_2)
	v_cvt_f32_f16_e32 v73, v73
	v_cvt_f32_f16_e32 v66, v66
	s_delay_alu instid0(VALU_DEP_1) | instskip(NEXT) | instid1(VALU_DEP_1)
	v_dual_add_f32 v73, v73, v74 :: v_dual_add_f32 v66, v66, v67
	v_dual_fmac_f32 v32, v73, v6 :: v_dual_fmac_f32 v33, v66, v7
	v_mov_b32_e32 v66, s13
	s_add_co_i32 s13, s19, 0x528
	ds_load_2addr_b32 v[66:67], v66 offset1:1
	s_wait_dscnt 0x0
	v_pk_fma_f16 v23, v23, v66, 0
	s_delay_alu instid0(VALU_DEP_1)
	v_pk_fma_f16 v22, v22, v67, v23
	v_mov_b32_e32 v23, s13
	s_add_co_i32 s13, s19, 0x430
	ds_load_2addr_b32 v[68:69], v23 offset1:1
	s_wait_dscnt 0x0
	v_pk_fma_f16 v20, v20, v68, v22
	s_delay_alu instid0(VALU_DEP_1) | instskip(NEXT) | instid1(VALU_DEP_1)
	v_pk_fma_f16 v20, v21, v69, v20
	v_cvt_f32_f16_e32 v21, v20
	v_lshrrev_b32_e32 v20, 16, v20
	s_delay_alu instid0(VALU_DEP_1) | instskip(NEXT) | instid1(VALU_DEP_1)
	v_cvt_f32_f16_e32 v20, v20
	v_add_f32_e32 v20, v20, v21
	s_delay_alu instid0(VALU_DEP_1) | instskip(SKIP_1) | instid1(VALU_DEP_1)
	v_fmac_f32_e32 v11, v20, v56
	v_pk_fma_f16 v20, v27, v66, 0
	v_pk_fma_f16 v20, v28, v67, v20
	s_delay_alu instid0(VALU_DEP_1) | instskip(NEXT) | instid1(VALU_DEP_1)
	v_pk_fma_f16 v20, v29, v68, v20
	v_pk_fma_f16 v20, v30, v69, v20
	s_delay_alu instid0(VALU_DEP_1) | instskip(SKIP_1) | instid1(VALU_DEP_1)
	v_cvt_f32_f16_e32 v21, v20
	v_lshrrev_b32_e32 v20, 16, v20
	v_cvt_f32_f16_e32 v20, v20
	s_delay_alu instid0(VALU_DEP_1) | instskip(NEXT) | instid1(VALU_DEP_1)
	v_add_f32_e32 v20, v20, v21
	v_fmac_f32_e32 v34, v20, v57
	v_pk_fma_f16 v20, v31, v66, 0
	s_delay_alu instid0(VALU_DEP_1) | instskip(NEXT) | instid1(VALU_DEP_1)
	v_pk_fma_f16 v20, v62, v67, v20
	v_pk_fma_f16 v20, v63, v68, v20
	s_delay_alu instid0(VALU_DEP_1) | instskip(NEXT) | instid1(VALU_DEP_1)
	v_pk_fma_f16 v21, v64, v69, v20
	v_cvt_f32_f16_e32 v20, v21
	v_lshrrev_b32_e32 v21, 16, v21
	s_delay_alu instid0(VALU_DEP_1) | instskip(SKIP_3) | instid1(VALU_DEP_1)
	v_cvt_f32_f16_e32 v22, v21
	v_pk_fma_f16 v21, v65, v66, 0
	global_load_b128 v[62:65], v[24:25], off
	v_pk_fma_f16 v21, v70, v67, v21
	v_pk_fma_f16 v21, v71, v68, v21
	s_delay_alu instid0(VALU_DEP_1) | instskip(NEXT) | instid1(VALU_DEP_1)
	v_pk_fma_f16 v21, v72, v69, v21
	v_lshrrev_b32_e32 v23, 16, v21
	v_cvt_f32_f16_e32 v21, v21
	s_delay_alu instid0(VALU_DEP_2) | instskip(NEXT) | instid1(VALU_DEP_1)
	v_cvt_f32_f16_e32 v23, v23
	v_pk_add_f32 v[12:13], v[20:21], v[22:23]
	s_delay_alu instid0(VALU_DEP_1) | instskip(SKIP_4) | instid1(VALU_DEP_3)
	v_pk_fma_f32 v[4:5], v[12:13], v[6:7], v[4:5]
	s_wait_loadcnt 0x0
	v_lshrrev_b32_e32 v27, 8, v62
	v_and_or_b32 v24, v62, s5, 0x64006400
	v_and_or_b32 v25, v62, s12, 0x64006400
	;; [unrolled: 1-line block ×4, first 2 shown]
	s_delay_alu instid0(VALU_DEP_4) | instskip(NEXT) | instid1(VALU_DEP_4)
	v_pk_add_f16 v29, v58, v24
	v_pk_fma_f16 v28, 0x2c00, v25, v8 op_sel_hi:[0,1,1]
	v_and_or_b32 v24, v63, s5, 0x64006400
	v_pk_add_f16 v74, v58, v30
	v_pk_fma_f16 v75, 0x2c00, v27, v8 op_sel_hi:[0,1,1]
	v_lshrrev_b32_e32 v27, 8, v63
	v_and_or_b32 v25, v63, s12, 0x64006400
	v_pk_add_f16 v70, v60, v24
	v_and_or_b32 v24, v64, s5, 0x64006400
	s_delay_alu instid0(VALU_DEP_4)
	v_and_or_b32 v30, v27, s5, 0x64006400
	v_and_or_b32 v27, v27, s12, 0x64006400
	v_pk_fma_f16 v71, 0x2c00, v25, v3 op_sel_hi:[0,1,1]
	v_and_or_b32 v25, v64, s12, 0x64006400
	v_pk_add_f16 v66, v59, v24
	v_pk_add_f16 v72, v60, v30
	v_pk_fma_f16 v73, 0x2c00, v27, v3 op_sel_hi:[0,1,1]
	v_lshrrev_b32_e32 v27, 8, v64
	v_pk_fma_f16 v67, 0x2c00, v25, v10 op_sel_hi:[0,1,1]
	v_and_or_b32 v24, v65, s5, 0x64006400
	v_and_or_b32 v25, v65, s12, 0x64006400
	s_delay_alu instid0(VALU_DEP_4) | instskip(SKIP_1) | instid1(VALU_DEP_3)
	v_and_or_b32 v30, v27, s5, 0x64006400
	v_and_or_b32 v27, v27, s12, 0x64006400
	v_pk_fma_f16 v64, 0x2c00, v25, v9 op_sel_hi:[0,1,1]
	s_delay_alu instid0(VALU_DEP_3) | instskip(NEXT) | instid1(VALU_DEP_3)
	v_pk_add_f16 v68, v59, v30
	v_pk_fma_f16 v69, 0x2c00, v27, v10 op_sel_hi:[0,1,1]
	v_lshrrev_b32_e32 v27, 8, v65
	v_pk_add_f16 v65, v61, v24
	ds_load_2addr_b32 v[24:25], v26 offset0:12 offset1:13
	v_and_or_b32 v30, v27, s5, 0x64006400
	v_and_or_b32 v27, v27, s12, 0x64006400
	s_delay_alu instid0(VALU_DEP_2) | instskip(SKIP_4) | instid1(VALU_DEP_1)
	v_pk_add_f16 v63, v61, v30
	ds_load_2addr_b32 v[30:31], v26 offset0:14 offset1:15
	v_pk_fma_f16 v62, 0x2c00, v27, v9 op_sel_hi:[0,1,1]
	s_wait_dscnt 0x1
	v_pk_fma_f16 v27, v29, v24, 0
	v_pk_fma_f16 v27, v28, v25, v27
	s_wait_dscnt 0x0
	s_delay_alu instid0(VALU_DEP_1) | instskip(NEXT) | instid1(VALU_DEP_1)
	v_pk_fma_f16 v27, v74, v30, v27
	v_pk_fma_f16 v27, v75, v31, v27
	s_delay_alu instid0(VALU_DEP_1) | instskip(SKIP_1) | instid1(VALU_DEP_1)
	v_cvt_f32_f16_e32 v76, v27
	v_lshrrev_b32_e32 v27, 16, v27
	v_cvt_f32_f16_e32 v27, v27
	s_delay_alu instid0(VALU_DEP_1) | instskip(NEXT) | instid1(VALU_DEP_1)
	v_add_f32_e32 v27, v27, v76
	v_fmac_f32_e32 v52, v27, v56
	v_pk_fma_f16 v27, v70, v24, 0
	s_delay_alu instid0(VALU_DEP_1) | instskip(NEXT) | instid1(VALU_DEP_1)
	v_pk_fma_f16 v27, v71, v25, v27
	v_pk_fma_f16 v27, v72, v30, v27
	s_delay_alu instid0(VALU_DEP_1) | instskip(NEXT) | instid1(VALU_DEP_1)
	v_pk_fma_f16 v27, v73, v31, v27
	v_cvt_f32_f16_e32 v76, v27
	v_lshrrev_b32_e32 v27, 16, v27
	s_delay_alu instid0(VALU_DEP_1) | instskip(NEXT) | instid1(VALU_DEP_1)
	v_cvt_f32_f16_e32 v27, v27
	v_add_f32_e32 v27, v27, v76
	s_delay_alu instid0(VALU_DEP_1) | instskip(SKIP_2) | instid1(VALU_DEP_2)
	v_fmac_f32_e32 v53, v27, v57
	v_pk_fma_f16 v27, v66, v24, 0
	v_pk_fma_f16 v24, v65, v24, 0
	;; [unrolled: 1-line block ×3, first 2 shown]
	s_delay_alu instid0(VALU_DEP_2) | instskip(NEXT) | instid1(VALU_DEP_2)
	v_pk_fma_f16 v24, v64, v25, v24
	v_pk_fma_f16 v27, v68, v30, v27
	s_delay_alu instid0(VALU_DEP_2) | instskip(NEXT) | instid1(VALU_DEP_2)
	v_pk_fma_f16 v24, v63, v30, v24
	v_pk_fma_f16 v27, v69, v31, v27
	s_delay_alu instid0(VALU_DEP_2) | instskip(SKIP_4) | instid1(VALU_DEP_1)
	v_pk_fma_f16 v24, v62, v31, v24
	ds_load_2addr_b32 v[30:31], v26 offset0:78 offset1:79
	v_cvt_f32_f16_e32 v76, v27
	v_cvt_f32_f16_e32 v25, v24
	v_dual_lshrrev_b32 v24, 16, v24 :: v_dual_lshrrev_b32 v27, 16, v27
	v_cvt_f32_f16_e32 v24, v24
	s_delay_alu instid0(VALU_DEP_2) | instskip(NEXT) | instid1(VALU_DEP_1)
	v_cvt_f32_f16_e32 v27, v27
	v_dual_add_f32 v24, v24, v25 :: v_dual_add_f32 v27, v27, v76
	s_delay_alu instid0(VALU_DEP_1) | instskip(SKIP_4) | instid1(VALU_DEP_1)
	v_fmac_f32_e32 v51, v24, v7
	ds_load_2addr_b32 v[24:25], v26 offset0:76 offset1:77
	v_fmac_f32_e32 v50, v27, v6
	s_wait_dscnt 0x0
	v_pk_fma_f16 v27, v29, v24, 0
	v_pk_fma_f16 v27, v28, v25, v27
	s_delay_alu instid0(VALU_DEP_1) | instskip(NEXT) | instid1(VALU_DEP_1)
	v_pk_fma_f16 v27, v74, v30, v27
	v_pk_fma_f16 v27, v75, v31, v27
	s_delay_alu instid0(VALU_DEP_1) | instskip(SKIP_1) | instid1(VALU_DEP_1)
	v_cvt_f32_f16_e32 v76, v27
	v_lshrrev_b32_e32 v27, 16, v27
	v_cvt_f32_f16_e32 v27, v27
	s_delay_alu instid0(VALU_DEP_1) | instskip(NEXT) | instid1(VALU_DEP_1)
	v_add_f32_e32 v27, v27, v76
	v_fmac_f32_e32 v47, v27, v56
	v_pk_fma_f16 v27, v70, v24, 0
	s_delay_alu instid0(VALU_DEP_1) | instskip(NEXT) | instid1(VALU_DEP_1)
	v_pk_fma_f16 v27, v71, v25, v27
	v_pk_fma_f16 v27, v72, v30, v27
	s_delay_alu instid0(VALU_DEP_1) | instskip(NEXT) | instid1(VALU_DEP_1)
	v_pk_fma_f16 v27, v73, v31, v27
	v_cvt_f32_f16_e32 v76, v27
	v_lshrrev_b32_e32 v27, 16, v27
	s_delay_alu instid0(VALU_DEP_1) | instskip(NEXT) | instid1(VALU_DEP_1)
	v_cvt_f32_f16_e32 v27, v27
	v_add_f32_e32 v27, v27, v76
	s_delay_alu instid0(VALU_DEP_1) | instskip(SKIP_2) | instid1(VALU_DEP_2)
	v_fmac_f32_e32 v48, v27, v57
	v_pk_fma_f16 v27, v66, v24, 0
	v_pk_fma_f16 v24, v65, v24, 0
	;; [unrolled: 1-line block ×3, first 2 shown]
	s_delay_alu instid0(VALU_DEP_2) | instskip(NEXT) | instid1(VALU_DEP_2)
	v_pk_fma_f16 v24, v64, v25, v24
	v_pk_fma_f16 v27, v68, v30, v27
	s_delay_alu instid0(VALU_DEP_2) | instskip(NEXT) | instid1(VALU_DEP_2)
	v_pk_fma_f16 v24, v63, v30, v24
	v_pk_fma_f16 v27, v69, v31, v27
	s_delay_alu instid0(VALU_DEP_2) | instskip(SKIP_4) | instid1(VALU_DEP_1)
	v_pk_fma_f16 v24, v62, v31, v24
	ds_load_2addr_b32 v[30:31], v26 offset0:142 offset1:143
	v_cvt_f32_f16_e32 v76, v27
	v_cvt_f32_f16_e32 v25, v24
	v_dual_lshrrev_b32 v24, 16, v24 :: v_dual_lshrrev_b32 v27, 16, v27
	v_cvt_f32_f16_e32 v24, v24
	s_delay_alu instid0(VALU_DEP_2) | instskip(NEXT) | instid1(VALU_DEP_1)
	v_cvt_f32_f16_e32 v27, v27
	v_dual_add_f32 v24, v24, v25 :: v_dual_add_f32 v27, v27, v76
	s_delay_alu instid0(VALU_DEP_1) | instskip(SKIP_4) | instid1(VALU_DEP_1)
	v_fmac_f32_e32 v46, v24, v7
	ds_load_2addr_b32 v[24:25], v26 offset0:140 offset1:141
	v_fmac_f32_e32 v45, v27, v6
	s_wait_dscnt 0x0
	v_pk_fma_f16 v27, v29, v24, 0
	v_pk_fma_f16 v27, v28, v25, v27
	s_delay_alu instid0(VALU_DEP_1) | instskip(NEXT) | instid1(VALU_DEP_1)
	v_pk_fma_f16 v27, v74, v30, v27
	v_pk_fma_f16 v27, v75, v31, v27
	s_delay_alu instid0(VALU_DEP_1) | instskip(SKIP_1) | instid1(VALU_DEP_1)
	v_cvt_f32_f16_e32 v76, v27
	v_lshrrev_b32_e32 v27, 16, v27
	v_cvt_f32_f16_e32 v27, v27
	s_delay_alu instid0(VALU_DEP_1) | instskip(NEXT) | instid1(VALU_DEP_1)
	v_add_f32_e32 v27, v27, v76
	v_fmac_f32_e32 v43, v27, v56
	v_pk_fma_f16 v27, v70, v24, 0
	s_delay_alu instid0(VALU_DEP_1) | instskip(NEXT) | instid1(VALU_DEP_1)
	v_pk_fma_f16 v27, v71, v25, v27
	v_pk_fma_f16 v27, v72, v30, v27
	s_delay_alu instid0(VALU_DEP_1) | instskip(NEXT) | instid1(VALU_DEP_1)
	v_pk_fma_f16 v27, v73, v31, v27
	v_cvt_f32_f16_e32 v76, v27
	v_lshrrev_b32_e32 v27, 16, v27
	s_delay_alu instid0(VALU_DEP_1) | instskip(NEXT) | instid1(VALU_DEP_1)
	v_cvt_f32_f16_e32 v27, v27
	v_add_f32_e32 v27, v27, v76
	s_delay_alu instid0(VALU_DEP_1) | instskip(SKIP_2) | instid1(VALU_DEP_2)
	v_fmac_f32_e32 v44, v27, v57
	v_pk_fma_f16 v27, v66, v24, 0
	v_pk_fma_f16 v24, v65, v24, 0
	;; [unrolled: 1-line block ×3, first 2 shown]
	s_delay_alu instid0(VALU_DEP_2) | instskip(NEXT) | instid1(VALU_DEP_2)
	v_pk_fma_f16 v24, v64, v25, v24
	v_pk_fma_f16 v27, v68, v30, v27
	s_delay_alu instid0(VALU_DEP_2) | instskip(NEXT) | instid1(VALU_DEP_2)
	v_pk_fma_f16 v24, v63, v30, v24
	v_pk_fma_f16 v27, v69, v31, v27
	s_delay_alu instid0(VALU_DEP_2) | instskip(NEXT) | instid1(VALU_DEP_2)
	v_pk_fma_f16 v24, v62, v31, v24
	v_cvt_f32_f16_e32 v76, v27
	v_lshrrev_b32_e32 v27, 16, v27
	s_delay_alu instid0(VALU_DEP_3) | instskip(SKIP_1) | instid1(VALU_DEP_3)
	v_cvt_f32_f16_e32 v25, v24
	v_lshrrev_b32_e32 v24, 16, v24
	v_cvt_f32_f16_e32 v27, v27
	s_delay_alu instid0(VALU_DEP_2) | instskip(NEXT) | instid1(VALU_DEP_1)
	v_cvt_f32_f16_e32 v24, v24
	v_dual_add_f32 v27, v27, v76 :: v_dual_add_f32 v24, v24, v25
	s_delay_alu instid0(VALU_DEP_1) | instskip(SKIP_3) | instid1(VALU_DEP_1)
	v_dual_fmac_f32 v41, v27, v6 :: v_dual_fmac_f32 v42, v24, v7
	ds_load_2addr_b32 v[24:25], v26 offset0:204 offset1:205
	s_wait_dscnt 0x0
	v_pk_fma_f16 v27, v29, v24, 0
	v_pk_fma_f16 v30, v28, v25, v27
	ds_load_2addr_b32 v[26:27], v26 offset0:206 offset1:207
	s_wait_dscnt 0x0
	v_pk_fma_f16 v30, v74, v26, v30
	s_delay_alu instid0(VALU_DEP_1) | instskip(NEXT) | instid1(VALU_DEP_1)
	v_pk_fma_f16 v30, v75, v27, v30
	v_cvt_f32_f16_e32 v31, v30
	v_lshrrev_b32_e32 v30, 16, v30
	s_delay_alu instid0(VALU_DEP_1) | instskip(NEXT) | instid1(VALU_DEP_1)
	v_cvt_f32_f16_e32 v30, v30
	v_add_f32_e32 v30, v30, v31
	s_delay_alu instid0(VALU_DEP_1) | instskip(SKIP_1) | instid1(VALU_DEP_1)
	v_fmac_f32_e32 v39, v30, v56
	v_pk_fma_f16 v30, v70, v24, 0
	v_pk_fma_f16 v30, v71, v25, v30
	s_delay_alu instid0(VALU_DEP_1) | instskip(NEXT) | instid1(VALU_DEP_1)
	v_pk_fma_f16 v30, v72, v26, v30
	v_pk_fma_f16 v30, v73, v27, v30
	s_delay_alu instid0(VALU_DEP_1) | instskip(SKIP_1) | instid1(VALU_DEP_1)
	v_cvt_f32_f16_e32 v31, v30
	v_lshrrev_b32_e32 v30, 16, v30
	v_cvt_f32_f16_e32 v30, v30
	s_delay_alu instid0(VALU_DEP_1) | instskip(NEXT) | instid1(VALU_DEP_1)
	v_add_f32_e32 v30, v30, v31
	v_fmac_f32_e32 v40, v30, v57
	v_pk_fma_f16 v30, v66, v24, 0
	v_pk_fma_f16 v24, v65, v24, 0
	s_delay_alu instid0(VALU_DEP_2) | instskip(NEXT) | instid1(VALU_DEP_2)
	v_pk_fma_f16 v30, v67, v25, v30
	v_pk_fma_f16 v24, v64, v25, v24
	s_delay_alu instid0(VALU_DEP_2) | instskip(NEXT) | instid1(VALU_DEP_2)
	;; [unrolled: 3-line block ×3, first 2 shown]
	v_pk_fma_f16 v30, v69, v27, v30
	v_pk_fma_f16 v24, v62, v27, v24
	s_delay_alu instid0(VALU_DEP_2) | instskip(SKIP_1) | instid1(VALU_DEP_3)
	v_cvt_f32_f16_e32 v31, v30
	v_lshrrev_b32_e32 v30, 16, v30
	v_cvt_f32_f16_e32 v25, v24
	v_lshrrev_b32_e32 v24, 16, v24
	s_delay_alu instid0(VALU_DEP_3) | instskip(NEXT) | instid1(VALU_DEP_2)
	v_cvt_f32_f16_e32 v30, v30
	v_cvt_f32_f16_e32 v24, v24
	s_delay_alu instid0(VALU_DEP_1) | instskip(NEXT) | instid1(VALU_DEP_1)
	v_dual_add_f32 v30, v30, v31 :: v_dual_add_f32 v24, v24, v25
	v_dual_fmac_f32 v38, v30, v6 :: v_dual_fmac_f32 v37, v24, v7
	v_mov_b32_e32 v24, s13
	s_add_co_i32 s13, s19, 0x438
	ds_load_2addr_b32 v[24:25], v24 offset1:1
	s_wait_dscnt 0x0
	v_pk_fma_f16 v26, v29, v24, 0
	s_delay_alu instid0(VALU_DEP_1)
	v_pk_fma_f16 v30, v28, v25, v26
	v_mov_b32_e32 v26, s13
	s_add_co_i32 s13, s19, 0x530
	ds_load_2addr_b32 v[26:27], v26 offset1:1
	s_wait_dscnt 0x0
	v_pk_fma_f16 v30, v74, v26, v30
	s_delay_alu instid0(VALU_DEP_1) | instskip(NEXT) | instid1(VALU_DEP_1)
	v_pk_fma_f16 v30, v75, v27, v30
	v_cvt_f32_f16_e32 v31, v30
	v_lshrrev_b32_e32 v30, 16, v30
	s_delay_alu instid0(VALU_DEP_1) | instskip(NEXT) | instid1(VALU_DEP_1)
	v_cvt_f32_f16_e32 v30, v30
	v_add_f32_e32 v30, v30, v31
	s_delay_alu instid0(VALU_DEP_1) | instskip(SKIP_1) | instid1(VALU_DEP_1)
	v_fmac_f32_e32 v35, v30, v56
	v_pk_fma_f16 v30, v70, v24, 0
	v_pk_fma_f16 v30, v71, v25, v30
	s_delay_alu instid0(VALU_DEP_1) | instskip(NEXT) | instid1(VALU_DEP_1)
	v_pk_fma_f16 v30, v72, v26, v30
	v_pk_fma_f16 v30, v73, v27, v30
	s_delay_alu instid0(VALU_DEP_1) | instskip(SKIP_1) | instid1(VALU_DEP_1)
	v_cvt_f32_f16_e32 v31, v30
	v_lshrrev_b32_e32 v30, 16, v30
	v_cvt_f32_f16_e32 v30, v30
	s_delay_alu instid0(VALU_DEP_1) | instskip(NEXT) | instid1(VALU_DEP_1)
	v_add_f32_e32 v30, v30, v31
	v_fmac_f32_e32 v36, v30, v57
	v_pk_fma_f16 v30, v66, v24, 0
	v_pk_fma_f16 v24, v65, v24, 0
	s_delay_alu instid0(VALU_DEP_2) | instskip(NEXT) | instid1(VALU_DEP_2)
	v_pk_fma_f16 v30, v67, v25, v30
	v_pk_fma_f16 v24, v64, v25, v24
	s_delay_alu instid0(VALU_DEP_2) | instskip(NEXT) | instid1(VALU_DEP_2)
	;; [unrolled: 3-line block ×4, first 2 shown]
	v_cvt_f32_f16_e32 v31, v30
	v_cvt_f32_f16_e32 v25, v24
	v_dual_lshrrev_b32 v24, 16, v24 :: v_dual_lshrrev_b32 v30, 16, v30
	s_delay_alu instid0(VALU_DEP_1) | instskip(NEXT) | instid1(VALU_DEP_2)
	v_cvt_f32_f16_e32 v24, v24
	v_cvt_f32_f16_e32 v30, v30
	s_delay_alu instid0(VALU_DEP_1) | instskip(NEXT) | instid1(VALU_DEP_1)
	v_dual_add_f32 v24, v24, v25 :: v_dual_add_f32 v30, v30, v31
	v_dual_fmac_f32 v33, v24, v7 :: v_dual_mov_b32 v24, s13
	s_add_co_i32 s13, s19, 0x538
	s_delay_alu instid0(VALU_DEP_2) | instid1(SALU_CYCLE_1)
	v_dual_fmac_f32 v32, v30, v6 :: v_dual_mov_b32 v25, s13
	s_add_co_i32 s19, s19, 64
	ds_load_2addr_b32 v[30:31], v24 offset1:1
	s_cmp_ge_i32 s15, s16
	s_wait_dscnt 0x0
	v_pk_fma_f16 v24, v29, v30, 0
	s_delay_alu instid0(VALU_DEP_1) | instskip(SKIP_3) | instid1(VALU_DEP_1)
	v_pk_fma_f16 v24, v28, v31, v24
	ds_load_2addr_b32 v[28:29], v25 offset1:1
	s_wait_dscnt 0x0
	v_pk_fma_f16 v24, v74, v28, v24
	v_pk_fma_f16 v24, v75, v29, v24
	s_delay_alu instid0(VALU_DEP_1) | instskip(SKIP_1) | instid1(VALU_DEP_1)
	v_cvt_f32_f16_e32 v25, v24
	v_lshrrev_b32_e32 v24, 16, v24
	v_cvt_f32_f16_e32 v24, v24
	s_delay_alu instid0(VALU_DEP_1) | instskip(NEXT) | instid1(VALU_DEP_1)
	v_add_f32_e32 v24, v24, v25
	v_fmac_f32_e32 v11, v24, v56
	v_pk_fma_f16 v24, v70, v30, 0
	s_delay_alu instid0(VALU_DEP_1) | instskip(NEXT) | instid1(VALU_DEP_1)
	v_pk_fma_f16 v24, v71, v31, v24
	v_pk_fma_f16 v24, v72, v28, v24
	s_delay_alu instid0(VALU_DEP_1) | instskip(NEXT) | instid1(VALU_DEP_1)
	v_pk_fma_f16 v24, v73, v29, v24
	v_cvt_f32_f16_e32 v25, v24
	v_lshrrev_b32_e32 v24, 16, v24
	s_delay_alu instid0(VALU_DEP_1) | instskip(NEXT) | instid1(VALU_DEP_1)
	v_cvt_f32_f16_e32 v24, v24
	v_add_f32_e32 v24, v24, v25
	s_delay_alu instid0(VALU_DEP_1) | instskip(SKIP_1) | instid1(VALU_DEP_1)
	v_fmac_f32_e32 v34, v24, v57
	v_pk_fma_f16 v24, v66, v30, 0
	v_pk_fma_f16 v24, v67, v31, v24
	s_delay_alu instid0(VALU_DEP_1) | instskip(NEXT) | instid1(VALU_DEP_1)
	v_pk_fma_f16 v24, v68, v28, v24
	v_pk_fma_f16 v25, v69, v29, v24
	s_delay_alu instid0(VALU_DEP_1) | instskip(SKIP_1) | instid1(VALU_DEP_1)
	v_cvt_f32_f16_e32 v24, v25
	v_lshrrev_b32_e32 v25, 16, v25
	v_cvt_f32_f16_e32 v26, v25
	v_pk_fma_f16 v25, v65, v30, 0
	s_delay_alu instid0(VALU_DEP_1) | instskip(NEXT) | instid1(VALU_DEP_1)
	v_pk_fma_f16 v25, v64, v31, v25
	v_pk_fma_f16 v25, v63, v28, v25
	s_delay_alu instid0(VALU_DEP_1) | instskip(NEXT) | instid1(VALU_DEP_1)
	v_pk_fma_f16 v25, v62, v29, v25
	v_lshrrev_b32_e32 v27, 16, v25
	v_cvt_f32_f16_e32 v25, v25
	s_delay_alu instid0(VALU_DEP_2) | instskip(NEXT) | instid1(VALU_DEP_1)
	v_cvt_f32_f16_e32 v27, v27
	v_pk_add_f32 v[12:13], v[24:25], v[26:27]
	s_delay_alu instid0(VALU_DEP_1)
	v_pk_fma_f32 v[4:5], v[12:13], v[6:7], v[4:5]
	s_cbranch_scc1 .LBB37_20
.LBB37_18:                              ; =>This Inner Loop Header: Depth=1
	s_cmp_lg_u32 s15, s21
	s_cbranch_scc1 .LBB37_17
; %bb.19:                               ;   in Loop: Header=BB37_18 Depth=1
	s_add_co_i32 s18, s18, 1
	s_add_co_i32 s21, s21, s17
	s_mul_i32 s13, s18, s4
	s_delay_alu instid0(SALU_CYCLE_1) | instskip(SKIP_2) | instid1(SALU_CYCLE_1)
	s_ashr_i32 s22, s13, 31
	v_add_nc_u32_e32 v6, s13, v2
	s_lshr_b32 s22, s22, 29
	s_add_co_i32 s22, s13, s22
	s_delay_alu instid0(SALU_CYCLE_1) | instskip(NEXT) | instid1(SALU_CYCLE_1)
	s_ashr_i32 s22, s22, 3
	v_add_nc_u32_e32 v3, s22, v49
	global_load_b32 v3, v3, s[2:3] scale_offset
	s_wait_loadcnt 0x0
	v_dual_ashrrev_i32 v7, 31, v6 :: v_dual_lshrrev_b32 v3, v54, v3
	s_delay_alu instid0(VALU_DEP_1) | instskip(NEXT) | instid1(VALU_DEP_2)
	v_lshl_add_u64 v[6:7], v[6:7], 1, s[8:9]
	v_dual_lshrrev_b32 v8, 4, v3 :: v_dual_lshrrev_b32 v9, 12, v3
	global_load_b64 v[6:7], v[6:7], off
	v_dual_lshrrev_b32 v10, 8, v3 :: v_dual_bitop2_b32 v3, 15, v3 bitop3:0x40
	s_delay_alu instid0(VALU_DEP_1) | instskip(NEXT) | instid1(VALU_DEP_1)
	v_dual_add_nc_u32 v3, v3, v55 :: v_dual_bitop2_b32 v8, 15, v8 bitop3:0x40
	v_dual_add_nc_u32 v8, v8, v55 :: v_dual_bitop2_b32 v9, 15, v9 bitop3:0x40
	s_delay_alu instid0(VALU_DEP_3) | instskip(NEXT) | instid1(VALU_DEP_3)
	v_and_b32_e32 v10, 15, v10
	v_cvt_f32_ubyte0_e32 v12, v3
	s_delay_alu instid0(VALU_DEP_3) | instskip(NEXT) | instid1(VALU_DEP_4)
	v_add_nc_u32_e32 v9, v9, v55
	v_cvt_f32_ubyte0_e32 v13, v8
	s_delay_alu instid0(VALU_DEP_4)
	v_add_nc_u32_e32 v10, v10, v55
	v_mad_u32_u24 v58, v3, s20, 0xe400e400
	v_mad_u32_u24 v60, v8, s20, 0xe400e400
	v_cvt_f32_ubyte0_e32 v14, v9
	v_cvt_pk_f16_f32 v12, v12, v13
	v_mad_u32_u24 v61, v9, s20, 0xe400e400
	s_delay_alu instid0(VALU_DEP_2) | instskip(NEXT) | instid1(VALU_DEP_1)
	v_pk_add_f16 v12, 0xd400, v12 op_sel_hi:[0,1] neg_lo:[0,1] neg_hi:[0,1]
	v_and_b32_e32 v8, 0xffff, v12
	s_delay_alu instid0(VALU_DEP_1)
	v_mul_u32_u24_e32 v8, 0x10001, v8
	s_wait_loadcnt 0x0
	v_lshrrev_b32_e32 v16, 16, v6
	v_cvt_f32_ubyte0_e32 v15, v10
	v_lshrrev_b32_e32 v17, 16, v7
	v_mad_u32_u24 v59, v10, s20, 0xe400e400
	v_lshrrev_b32_e32 v10, 16, v12
	v_cvt_f32_f16_e32 v56, v6
	v_cvt_pk_f16_f32 v13, v15, v14
	v_cvt_f32_f16_e32 v6, v7
	v_cvt_f32_f16_e32 v57, v16
	;; [unrolled: 1-line block ×3, first 2 shown]
	s_delay_alu instid0(VALU_DEP_4) | instskip(NEXT) | instid1(VALU_DEP_1)
	v_pk_add_f16 v3, 0xd400, v13 op_sel_hi:[0,1] neg_lo:[0,1] neg_hi:[0,1]
	v_and_b32_e32 v12, 0xffff, v3
	v_lshrrev_b32_e32 v13, 16, v3
	v_mul_u32_u24_e32 v3, 0x10001, v10
	s_delay_alu instid0(VALU_DEP_3) | instskip(NEXT) | instid1(VALU_DEP_3)
	v_mul_u32_u24_e32 v10, 0x10001, v12
	v_mul_u32_u24_e32 v9, 0x10001, v13
	s_branch .LBB37_17
.LBB37_20:
	v_mad_u32 v0, s14, s4, v2
	s_mov_b32 s0, 0
	s_delay_alu instid0(VALU_DEP_1) | instskip(SKIP_1) | instid1(VALU_DEP_1)
	v_ashrrev_i32_e32 v1, 31, v0
	s_wait_kmcnt 0x0
	v_lshl_add_u64 v[2:3], v[0:1], 1, s[10:11]
	v_cvt_pk_f16_f32 v1, v52, v53
	global_load_b32 v7, v[2:3], off
.LBB37_21:                              ; =>This Inner Loop Header: Depth=1
	s_wait_loadcnt 0x0
	v_pk_add_f16 v6, v1, v7
	global_atomic_cmpswap_b32 v6, v[2:3], v[6:7], off th:TH_ATOMIC_RETURN scope:SCOPE_DEV
	s_wait_loadcnt 0x0
	v_cmp_eq_u32_e32 vcc_lo, v7, v6
	v_mov_b32_e32 v7, v6
	s_or_b32 s0, vcc_lo, s0
	s_delay_alu instid0(SALU_CYCLE_1)
	s_and_not1_b32 exec_lo, exec_lo, s0
	s_cbranch_execnz .LBB37_21
; %bb.22:
	s_or_b32 exec_lo, exec_lo, s0
	global_load_b32 v7, v[2:3], off offset:4
	v_cvt_pk_f16_f32 v1, v50, v51
	s_mov_b32 s0, 0
.LBB37_23:                              ; =>This Inner Loop Header: Depth=1
	s_wait_loadcnt 0x0
	s_delay_alu instid0(VALU_DEP_1)
	v_pk_add_f16 v6, v1, v7
	global_atomic_cmpswap_b32 v6, v[2:3], v[6:7], off offset:4 th:TH_ATOMIC_RETURN scope:SCOPE_DEV
	s_wait_loadcnt 0x0
	v_cmp_eq_u32_e32 vcc_lo, v7, v6
	v_mov_b32_e32 v7, v6
	s_or_b32 s0, vcc_lo, s0
	s_delay_alu instid0(SALU_CYCLE_1)
	s_and_not1_b32 exec_lo, exec_lo, s0
	s_cbranch_execnz .LBB37_23
; %bb.24:
	s_or_b32 exec_lo, exec_lo, s0
	v_add_nc_u32_e32 v0, s4, v0
	s_mov_b32 s0, 0
	s_delay_alu instid0(VALU_DEP_1) | instskip(NEXT) | instid1(VALU_DEP_1)
	v_ashrrev_i32_e32 v1, 31, v0
	v_lshl_add_u64 v[2:3], v[0:1], 1, s[10:11]
	v_cvt_pk_f16_f32 v1, v47, v48
	global_load_b32 v7, v[2:3], off
.LBB37_25:                              ; =>This Inner Loop Header: Depth=1
	s_wait_loadcnt 0x0
	v_pk_add_f16 v6, v1, v7
	global_atomic_cmpswap_b32 v6, v[2:3], v[6:7], off th:TH_ATOMIC_RETURN scope:SCOPE_DEV
	s_wait_loadcnt 0x0
	v_cmp_eq_u32_e32 vcc_lo, v7, v6
	v_mov_b32_e32 v7, v6
	s_or_b32 s0, vcc_lo, s0
	s_delay_alu instid0(SALU_CYCLE_1)
	s_and_not1_b32 exec_lo, exec_lo, s0
	s_cbranch_execnz .LBB37_25
; %bb.26:
	s_or_b32 exec_lo, exec_lo, s0
	global_load_b32 v7, v[2:3], off offset:4
	v_cvt_pk_f16_f32 v1, v45, v46
	s_mov_b32 s0, 0
.LBB37_27:                              ; =>This Inner Loop Header: Depth=1
	s_wait_loadcnt 0x0
	s_delay_alu instid0(VALU_DEP_1)
	v_pk_add_f16 v6, v1, v7
	global_atomic_cmpswap_b32 v6, v[2:3], v[6:7], off offset:4 th:TH_ATOMIC_RETURN scope:SCOPE_DEV
	s_wait_loadcnt 0x0
	v_cmp_eq_u32_e32 vcc_lo, v7, v6
	v_mov_b32_e32 v7, v6
	s_or_b32 s0, vcc_lo, s0
	s_delay_alu instid0(SALU_CYCLE_1)
	s_and_not1_b32 exec_lo, exec_lo, s0
	s_cbranch_execnz .LBB37_27
; %bb.28:
	s_or_b32 exec_lo, exec_lo, s0
	v_add_nc_u32_e32 v0, s4, v0
	s_mov_b32 s0, 0
	s_delay_alu instid0(VALU_DEP_1) | instskip(NEXT) | instid1(VALU_DEP_1)
	v_ashrrev_i32_e32 v1, 31, v0
	v_lshl_add_u64 v[2:3], v[0:1], 1, s[10:11]
	v_cvt_pk_f16_f32 v1, v43, v44
	global_load_b32 v7, v[2:3], off
.LBB37_29:                              ; =>This Inner Loop Header: Depth=1
	s_wait_loadcnt 0x0
	v_pk_add_f16 v6, v1, v7
	global_atomic_cmpswap_b32 v6, v[2:3], v[6:7], off th:TH_ATOMIC_RETURN scope:SCOPE_DEV
	s_wait_loadcnt 0x0
	v_cmp_eq_u32_e32 vcc_lo, v7, v6
	v_mov_b32_e32 v7, v6
	s_or_b32 s0, vcc_lo, s0
	s_delay_alu instid0(SALU_CYCLE_1)
	s_and_not1_b32 exec_lo, exec_lo, s0
	s_cbranch_execnz .LBB37_29
; %bb.30:
	s_or_b32 exec_lo, exec_lo, s0
	global_load_b32 v7, v[2:3], off offset:4
	v_cvt_pk_f16_f32 v1, v41, v42
	s_mov_b32 s0, 0
.LBB37_31:                              ; =>This Inner Loop Header: Depth=1
	s_wait_loadcnt 0x0
	s_delay_alu instid0(VALU_DEP_1)
	v_pk_add_f16 v6, v1, v7
	global_atomic_cmpswap_b32 v6, v[2:3], v[6:7], off offset:4 th:TH_ATOMIC_RETURN scope:SCOPE_DEV
	s_wait_loadcnt 0x0
	v_cmp_eq_u32_e32 vcc_lo, v7, v6
	v_mov_b32_e32 v7, v6
	s_or_b32 s0, vcc_lo, s0
	s_delay_alu instid0(SALU_CYCLE_1)
	s_and_not1_b32 exec_lo, exec_lo, s0
	s_cbranch_execnz .LBB37_31
; %bb.32:
	s_or_b32 exec_lo, exec_lo, s0
	v_add_nc_u32_e32 v0, s4, v0
	s_mov_b32 s0, 0
	s_delay_alu instid0(VALU_DEP_1) | instskip(NEXT) | instid1(VALU_DEP_1)
	v_ashrrev_i32_e32 v1, 31, v0
	v_lshl_add_u64 v[2:3], v[0:1], 1, s[10:11]
	v_cvt_pk_f16_f32 v1, v39, v40
	global_load_b32 v7, v[2:3], off
.LBB37_33:                              ; =>This Inner Loop Header: Depth=1
	s_wait_loadcnt 0x0
	v_pk_add_f16 v6, v1, v7
	global_atomic_cmpswap_b32 v6, v[2:3], v[6:7], off th:TH_ATOMIC_RETURN scope:SCOPE_DEV
	s_wait_loadcnt 0x0
	v_cmp_eq_u32_e32 vcc_lo, v7, v6
	v_mov_b32_e32 v7, v6
	s_or_b32 s0, vcc_lo, s0
	s_delay_alu instid0(SALU_CYCLE_1)
	s_and_not1_b32 exec_lo, exec_lo, s0
	s_cbranch_execnz .LBB37_33
; %bb.34:
	s_or_b32 exec_lo, exec_lo, s0
	global_load_b32 v7, v[2:3], off offset:4
	v_cvt_pk_f16_f32 v1, v38, v37
	s_mov_b32 s0, 0
.LBB37_35:                              ; =>This Inner Loop Header: Depth=1
	s_wait_loadcnt 0x0
	s_delay_alu instid0(VALU_DEP_1)
	v_pk_add_f16 v6, v1, v7
	global_atomic_cmpswap_b32 v6, v[2:3], v[6:7], off offset:4 th:TH_ATOMIC_RETURN scope:SCOPE_DEV
	s_wait_loadcnt 0x0
	v_cmp_eq_u32_e32 vcc_lo, v7, v6
	v_mov_b32_e32 v7, v6
	s_or_b32 s0, vcc_lo, s0
	s_delay_alu instid0(SALU_CYCLE_1)
	s_and_not1_b32 exec_lo, exec_lo, s0
	s_cbranch_execnz .LBB37_35
; %bb.36:
	s_or_b32 exec_lo, exec_lo, s0
	v_add_nc_u32_e32 v0, s4, v0
	s_mov_b32 s0, 0
	s_delay_alu instid0(VALU_DEP_1) | instskip(NEXT) | instid1(VALU_DEP_1)
	v_ashrrev_i32_e32 v1, 31, v0
	v_lshl_add_u64 v[2:3], v[0:1], 1, s[10:11]
	v_cvt_pk_f16_f32 v1, v35, v36
	global_load_b32 v7, v[2:3], off
.LBB37_37:                              ; =>This Inner Loop Header: Depth=1
	s_wait_loadcnt 0x0
	v_pk_add_f16 v6, v1, v7
	global_atomic_cmpswap_b32 v6, v[2:3], v[6:7], off th:TH_ATOMIC_RETURN scope:SCOPE_DEV
	s_wait_loadcnt 0x0
	v_cmp_eq_u32_e32 vcc_lo, v7, v6
	v_mov_b32_e32 v7, v6
	s_or_b32 s0, vcc_lo, s0
	s_delay_alu instid0(SALU_CYCLE_1)
	s_and_not1_b32 exec_lo, exec_lo, s0
	s_cbranch_execnz .LBB37_37
; %bb.38:
	s_or_b32 exec_lo, exec_lo, s0
	global_load_b32 v7, v[2:3], off offset:4
	v_cvt_pk_f16_f32 v1, v32, v33
	s_mov_b32 s0, 0
.LBB37_39:                              ; =>This Inner Loop Header: Depth=1
	s_wait_loadcnt 0x0
	s_delay_alu instid0(VALU_DEP_1)
	v_pk_add_f16 v6, v1, v7
	global_atomic_cmpswap_b32 v6, v[2:3], v[6:7], off offset:4 th:TH_ATOMIC_RETURN scope:SCOPE_DEV
	s_wait_loadcnt 0x0
	v_cmp_eq_u32_e32 vcc_lo, v7, v6
	v_mov_b32_e32 v7, v6
	s_or_b32 s0, vcc_lo, s0
	s_delay_alu instid0(SALU_CYCLE_1)
	s_and_not1_b32 exec_lo, exec_lo, s0
	s_cbranch_execnz .LBB37_39
; %bb.40:
	s_or_b32 exec_lo, exec_lo, s0
	v_add_nc_u32_e32 v0, s4, v0
	v_cvt_pk_f16_f32 v6, v11, v34
	s_mov_b32 s0, 0
	s_delay_alu instid0(VALU_DEP_2) | instskip(NEXT) | instid1(VALU_DEP_1)
	v_ashrrev_i32_e32 v1, 31, v0
	v_lshl_add_u64 v[0:1], v[0:1], 1, s[10:11]
	global_load_b32 v3, v[0:1], off
.LBB37_41:                              ; =>This Inner Loop Header: Depth=1
	s_wait_loadcnt 0x0
	v_pk_add_f16 v2, v6, v3
	global_atomic_cmpswap_b32 v2, v[0:1], v[2:3], off th:TH_ATOMIC_RETURN scope:SCOPE_DEV
	s_wait_loadcnt 0x0
	v_cmp_eq_u32_e32 vcc_lo, v3, v2
	v_mov_b32_e32 v3, v2
	s_or_b32 s0, vcc_lo, s0
	s_delay_alu instid0(SALU_CYCLE_1)
	s_and_not1_b32 exec_lo, exec_lo, s0
	s_cbranch_execnz .LBB37_41
; %bb.42:
	s_or_b32 exec_lo, exec_lo, s0
	global_load_b32 v3, v[0:1], off offset:4
	v_cvt_pk_f16_f32 v4, v4, v5
	s_mov_b32 s0, 0
.LBB37_43:                              ; =>This Inner Loop Header: Depth=1
	s_wait_loadcnt 0x0
	s_delay_alu instid0(VALU_DEP_1)
	v_pk_add_f16 v2, v4, v3
	global_atomic_cmpswap_b32 v2, v[0:1], v[2:3], off offset:4 th:TH_ATOMIC_RETURN scope:SCOPE_DEV
	s_wait_loadcnt 0x0
	v_cmp_eq_u32_e32 vcc_lo, v3, v2
	v_mov_b32_e32 v3, v2
	s_or_b32 s0, vcc_lo, s0
	s_delay_alu instid0(SALU_CYCLE_1)
	s_and_not1_b32 exec_lo, exec_lo, s0
	s_cbranch_execnz .LBB37_43
.LBB37_44:
	s_endpgm
	.section	.rodata,"a",@progbits
	.p2align	6, 0x0
	.amdhsa_kernel _ZN4vllm4gptq33gemm_half_q_half_gptq_4bit_kernelILb1ELi6EEEvPK6__halfPKjS6_S4_PS2_iiiibPKi
		.amdhsa_group_segment_fixed_size 1536
		.amdhsa_private_segment_fixed_size 0
		.amdhsa_kernarg_size 72
		.amdhsa_user_sgpr_count 2
		.amdhsa_user_sgpr_dispatch_ptr 0
		.amdhsa_user_sgpr_queue_ptr 0
		.amdhsa_user_sgpr_kernarg_segment_ptr 1
		.amdhsa_user_sgpr_dispatch_id 0
		.amdhsa_user_sgpr_kernarg_preload_length 0
		.amdhsa_user_sgpr_kernarg_preload_offset 0
		.amdhsa_user_sgpr_private_segment_size 0
		.amdhsa_wavefront_size32 1
		.amdhsa_uses_dynamic_stack 0
		.amdhsa_enable_private_segment 0
		.amdhsa_system_sgpr_workgroup_id_x 1
		.amdhsa_system_sgpr_workgroup_id_y 1
		.amdhsa_system_sgpr_workgroup_id_z 1
		.amdhsa_system_sgpr_workgroup_info 0
		.amdhsa_system_vgpr_workitem_id 0
		.amdhsa_next_free_vgpr 77
		.amdhsa_next_free_sgpr 23
		.amdhsa_named_barrier_count 0
		.amdhsa_reserve_vcc 1
		.amdhsa_float_round_mode_32 0
		.amdhsa_float_round_mode_16_64 0
		.amdhsa_float_denorm_mode_32 3
		.amdhsa_float_denorm_mode_16_64 3
		.amdhsa_fp16_overflow 0
		.amdhsa_memory_ordered 1
		.amdhsa_forward_progress 1
		.amdhsa_inst_pref_size 95
		.amdhsa_round_robin_scheduling 0
		.amdhsa_exception_fp_ieee_invalid_op 0
		.amdhsa_exception_fp_denorm_src 0
		.amdhsa_exception_fp_ieee_div_zero 0
		.amdhsa_exception_fp_ieee_overflow 0
		.amdhsa_exception_fp_ieee_underflow 0
		.amdhsa_exception_fp_ieee_inexact 0
		.amdhsa_exception_int_div_zero 0
	.end_amdhsa_kernel
	.section	.text._ZN4vllm4gptq33gemm_half_q_half_gptq_4bit_kernelILb1ELi6EEEvPK6__halfPKjS6_S4_PS2_iiiibPKi,"axG",@progbits,_ZN4vllm4gptq33gemm_half_q_half_gptq_4bit_kernelILb1ELi6EEEvPK6__halfPKjS6_S4_PS2_iiiibPKi,comdat
.Lfunc_end37:
	.size	_ZN4vllm4gptq33gemm_half_q_half_gptq_4bit_kernelILb1ELi6EEEvPK6__halfPKjS6_S4_PS2_iiiibPKi, .Lfunc_end37-_ZN4vllm4gptq33gemm_half_q_half_gptq_4bit_kernelILb1ELi6EEEvPK6__halfPKjS6_S4_PS2_iiiibPKi
                                        ; -- End function
	.set _ZN4vllm4gptq33gemm_half_q_half_gptq_4bit_kernelILb1ELi6EEEvPK6__halfPKjS6_S4_PS2_iiiibPKi.num_vgpr, 77
	.set _ZN4vllm4gptq33gemm_half_q_half_gptq_4bit_kernelILb1ELi6EEEvPK6__halfPKjS6_S4_PS2_iiiibPKi.num_agpr, 0
	.set _ZN4vllm4gptq33gemm_half_q_half_gptq_4bit_kernelILb1ELi6EEEvPK6__halfPKjS6_S4_PS2_iiiibPKi.numbered_sgpr, 23
	.set _ZN4vllm4gptq33gemm_half_q_half_gptq_4bit_kernelILb1ELi6EEEvPK6__halfPKjS6_S4_PS2_iiiibPKi.num_named_barrier, 0
	.set _ZN4vllm4gptq33gemm_half_q_half_gptq_4bit_kernelILb1ELi6EEEvPK6__halfPKjS6_S4_PS2_iiiibPKi.private_seg_size, 0
	.set _ZN4vllm4gptq33gemm_half_q_half_gptq_4bit_kernelILb1ELi6EEEvPK6__halfPKjS6_S4_PS2_iiiibPKi.uses_vcc, 1
	.set _ZN4vllm4gptq33gemm_half_q_half_gptq_4bit_kernelILb1ELi6EEEvPK6__halfPKjS6_S4_PS2_iiiibPKi.uses_flat_scratch, 0
	.set _ZN4vllm4gptq33gemm_half_q_half_gptq_4bit_kernelILb1ELi6EEEvPK6__halfPKjS6_S4_PS2_iiiibPKi.has_dyn_sized_stack, 0
	.set _ZN4vllm4gptq33gemm_half_q_half_gptq_4bit_kernelILb1ELi6EEEvPK6__halfPKjS6_S4_PS2_iiiibPKi.has_recursion, 0
	.set _ZN4vllm4gptq33gemm_half_q_half_gptq_4bit_kernelILb1ELi6EEEvPK6__halfPKjS6_S4_PS2_iiiibPKi.has_indirect_call, 0
	.section	.AMDGPU.csdata,"",@progbits
; Kernel info:
; codeLenInByte = 12064
; TotalNumSgprs: 25
; NumVgprs: 77
; ScratchSize: 0
; MemoryBound: 0
; FloatMode: 240
; IeeeMode: 1
; LDSByteSize: 1536 bytes/workgroup (compile time only)
; SGPRBlocks: 0
; VGPRBlocks: 4
; NumSGPRsForWavesPerEU: 25
; NumVGPRsForWavesPerEU: 77
; NamedBarCnt: 0
; Occupancy: 12
; WaveLimiterHint : 0
; COMPUTE_PGM_RSRC2:SCRATCH_EN: 0
; COMPUTE_PGM_RSRC2:USER_SGPR: 2
; COMPUTE_PGM_RSRC2:TRAP_HANDLER: 0
; COMPUTE_PGM_RSRC2:TGID_X_EN: 1
; COMPUTE_PGM_RSRC2:TGID_Y_EN: 1
; COMPUTE_PGM_RSRC2:TGID_Z_EN: 1
; COMPUTE_PGM_RSRC2:TIDIG_COMP_CNT: 0
	.section	.text._ZN4vllm4gptq33gemm_half_q_half_gptq_8bit_kernelILb1ELi6EEEvPK6__halfPKjS6_S4_PS2_iiiibPKi,"axG",@progbits,_ZN4vllm4gptq33gemm_half_q_half_gptq_8bit_kernelILb1ELi6EEEvPK6__halfPKjS6_S4_PS2_iiiibPKi,comdat
	.protected	_ZN4vllm4gptq33gemm_half_q_half_gptq_8bit_kernelILb1ELi6EEEvPK6__halfPKjS6_S4_PS2_iiiibPKi ; -- Begin function _ZN4vllm4gptq33gemm_half_q_half_gptq_8bit_kernelILb1ELi6EEEvPK6__halfPKjS6_S4_PS2_iiiibPKi
	.globl	_ZN4vllm4gptq33gemm_half_q_half_gptq_8bit_kernelILb1ELi6EEEvPK6__halfPKjS6_S4_PS2_iiiibPKi
	.p2align	8
	.type	_ZN4vllm4gptq33gemm_half_q_half_gptq_8bit_kernelILb1ELi6EEEvPK6__halfPKjS6_S4_PS2_iiiibPKi,@function
_ZN4vllm4gptq33gemm_half_q_half_gptq_8bit_kernelILb1ELi6EEEvPK6__halfPKjS6_S4_PS2_iiiibPKi: ; @_ZN4vllm4gptq33gemm_half_q_half_gptq_8bit_kernelILb1ELi6EEEvPK6__halfPKjS6_S4_PS2_iiiibPKi
; %bb.0:
	s_load_b128 s[4:7], s[0:1], 0x2c
	s_bfe_u32 s2, ttmp6, 0x40014
	s_lshr_b32 s3, ttmp7, 16
	s_add_co_i32 s2, s2, 1
	s_bfe_u32 s9, ttmp6, 0x40010
	s_mul_i32 s2, s3, s2
	s_bfe_u32 s8, ttmp6, 0x40008
	s_and_b32 s10, ttmp7, 0xffff
	s_add_co_i32 s9, s9, 1
	s_add_co_i32 s8, s8, s2
	s_mul_i32 s2, s10, s9
	s_bfe_u32 s9, ttmp6, 0x40004
	s_getreg_b32 s17, hwreg(HW_REG_IB_STS2, 6, 4)
	s_add_co_i32 s9, s9, s2
	s_cmp_eq_u32 s17, 0
	s_mov_b32 s12, exec_lo
	s_cselect_b32 s2, s3, s8
	s_cselect_b32 s14, s10, s9
	s_lshl_b32 s15, s2, 7
	s_mul_i32 s14, s14, 6
	s_add_co_i32 s2, s15, 0x80
	s_delay_alu instid0(SALU_CYCLE_1) | instskip(SKIP_3) | instid1(VALU_DEP_1)
	v_cvt_f64_u32_e32 v[2:3], s2
	s_load_b64 s[2:3], s[0:1], 0x10
	s_wait_kmcnt 0x0
	v_cvt_f64_i32_e32 v[4:5], s5
	v_min_num_f64_e32 v[2:3], v[2:3], v[4:5]
	s_delay_alu instid0(VALU_DEP_1) | instskip(SKIP_1) | instid1(VALU_DEP_2)
	v_cvt_i32_f64_e32 v1, v[2:3]
	v_add_nc_u32_e32 v2, s15, v0
	v_readfirstlane_b32 s16, v1
	s_delay_alu instid0(VALU_DEP_2)
	v_cmpx_lt_u32_e64 v2, v1
	s_cbranch_execz .LBB38_14
; %bb.1:
	s_clause 0x1
	s_load_b64 s[10:11], s[0:1], 0x40
	s_load_b64 s[8:9], s[0:1], 0x0
	v_mov_b32_e32 v3, 0
	s_delay_alu instid0(VALU_DEP_1)
	v_mov_b64_e32 v[6:7], v[2:3]
	s_wait_kmcnt 0x0
	v_lshl_add_u64 v[4:5], v[2:3], 2, s[10:11]
	s_cmp_lg_u64 s[10:11], 0
	s_cselect_b32 s13, -1, 0
	s_cmp_eq_u64 s[10:11], 0
	s_cbranch_scc1 .LBB38_3
; %bb.2:
	global_load_b32 v6, v[4:5], off
	s_wait_loadcnt 0x0
	v_ashrrev_i32_e32 v7, 31, v6
.LBB38_3:
	s_mul_i32 s10, s14, s5
	v_cndmask_b32_e64 v8, 0, 1, s13
	s_ashr_i32 s11, s10, 31
	v_lshlrev_b32_e32 v1, 1, v0
	s_lshl_b64 s[18:19], s[10:11], 1
	s_and_not1_b32 vcc_lo, exec_lo, s13
	s_add_nc_u64 s[18:19], s[8:9], s[18:19]
	s_delay_alu instid0(SALU_CYCLE_1)
	v_lshl_add_u64 v[6:7], v[6:7], 1, s[18:19]
	global_load_u16 v9, v[6:7], off
	s_wait_xcnt 0x0
	v_mov_b64_e32 v[6:7], v[2:3]
	s_wait_loadcnt 0x0
	ds_store_b16 v1, v9
	s_cbranch_vccnz .LBB38_5
; %bb.4:
	global_load_b32 v6, v[4:5], off
	s_wait_loadcnt 0x0
	v_ashrrev_i32_e32 v7, 31, v6
.LBB38_5:
	s_add_co_i32 s10, s10, s5
	v_cmp_ne_u32_e32 vcc_lo, 1, v8
	s_ashr_i32 s11, s10, 31
	s_delay_alu instid0(SALU_CYCLE_1) | instskip(SKIP_2) | instid1(SALU_CYCLE_1)
	s_lshl_b64 s[18:19], s[10:11], 1
	s_and_b32 vcc_lo, exec_lo, vcc_lo
	s_add_nc_u64 s[18:19], s[8:9], s[18:19]
	v_lshl_add_u64 v[6:7], v[6:7], 1, s[18:19]
	global_load_u16 v9, v[6:7], off
	s_wait_xcnt 0x0
	v_mov_b64_e32 v[6:7], v[2:3]
	s_wait_loadcnt 0x0
	ds_store_b16 v1, v9 offset:256
	s_cbranch_vccnz .LBB38_7
; %bb.6:
	global_load_b32 v6, v[4:5], off
	s_wait_loadcnt 0x0
	v_ashrrev_i32_e32 v7, 31, v6
.LBB38_7:
	s_add_co_i32 s10, s10, s5
	v_cmp_ne_u32_e32 vcc_lo, 1, v8
	s_ashr_i32 s11, s10, 31
	s_delay_alu instid0(SALU_CYCLE_1) | instskip(SKIP_2) | instid1(SALU_CYCLE_1)
	s_lshl_b64 s[18:19], s[10:11], 1
	s_and_b32 vcc_lo, exec_lo, vcc_lo
	s_add_nc_u64 s[18:19], s[8:9], s[18:19]
	v_lshl_add_u64 v[6:7], v[6:7], 1, s[18:19]
	global_load_u16 v9, v[6:7], off
	s_wait_xcnt 0x0
	v_mov_b64_e32 v[6:7], v[2:3]
	s_wait_loadcnt 0x0
	ds_store_b16 v1, v9 offset:512
	s_cbranch_vccnz .LBB38_9
; %bb.8:
	global_load_b32 v6, v[4:5], off
	s_wait_loadcnt 0x0
	v_ashrrev_i32_e32 v7, 31, v6
.LBB38_9:
	s_add_co_i32 s10, s10, s5
	v_cmp_ne_u32_e32 vcc_lo, 1, v8
	s_ashr_i32 s11, s10, 31
	s_delay_alu instid0(SALU_CYCLE_1) | instskip(SKIP_2) | instid1(SALU_CYCLE_1)
	s_lshl_b64 s[18:19], s[10:11], 1
	s_and_b32 vcc_lo, exec_lo, vcc_lo
	s_add_nc_u64 s[18:19], s[8:9], s[18:19]
	v_lshl_add_u64 v[6:7], v[6:7], 1, s[18:19]
	global_load_u16 v9, v[6:7], off
	s_wait_xcnt 0x0
	v_mov_b64_e32 v[6:7], v[2:3]
	s_wait_loadcnt 0x0
	ds_store_b16 v1, v9 offset:768
	s_cbranch_vccnz .LBB38_11
; %bb.10:
	global_load_b32 v6, v[4:5], off
	s_wait_loadcnt 0x0
	v_ashrrev_i32_e32 v7, 31, v6
.LBB38_11:
	s_add_co_i32 s10, s10, s5
	v_cmp_ne_u32_e32 vcc_lo, 1, v8
	s_ashr_i32 s11, s10, 31
	s_delay_alu instid0(SALU_CYCLE_1) | instskip(SKIP_2) | instid1(SALU_CYCLE_1)
	s_lshl_b64 s[18:19], s[10:11], 1
	s_and_b32 vcc_lo, exec_lo, vcc_lo
	s_add_nc_u64 s[18:19], s[8:9], s[18:19]
	v_lshl_add_u64 v[6:7], v[6:7], 1, s[18:19]
	global_load_u16 v6, v[6:7], off
	s_wait_loadcnt 0x0
	ds_store_b16 v1, v6 offset:1024
	s_cbranch_vccnz .LBB38_13
; %bb.12:
	global_load_b32 v2, v[4:5], off
	s_wait_loadcnt 0x0
	v_ashrrev_i32_e32 v3, 31, v2
.LBB38_13:
	s_add_co_i32 s10, s10, s5
	s_delay_alu instid0(SALU_CYCLE_1) | instskip(NEXT) | instid1(SALU_CYCLE_1)
	s_ashr_i32 s11, s10, 31
	s_lshl_b64 s[10:11], s[10:11], 1
	s_delay_alu instid0(SALU_CYCLE_1) | instskip(NEXT) | instid1(SALU_CYCLE_1)
	s_add_nc_u64 s[8:9], s[8:9], s[10:11]
	v_lshl_add_u64 v[2:3], v[2:3], 1, s[8:9]
	global_load_u16 v2, v[2:3], off
	s_wait_loadcnt 0x0
	ds_store_b16 v1, v2 offset:1280
.LBB38_14:
	s_or_b32 exec_lo, exec_lo, s12
	s_clause 0x1
	s_load_b64 s[12:13], s[0:1], 0x8
	s_load_b128 s[8:11], s[0:1], 0x18
	s_wait_xcnt 0x0
	s_bfe_u32 s0, ttmp6, 0x4000c
	s_and_b32 s1, ttmp6, 15
	s_add_co_i32 s0, s0, 1
	v_lshlrev_b32_e32 v0, 2, v0
	s_mul_i32 s0, ttmp9, s0
	s_delay_alu instid0(SALU_CYCLE_1)
	s_add_co_i32 s1, s1, s0
	s_cmp_eq_u32 s17, 0
	s_cselect_b32 s0, ttmp9, s1
	s_mov_b32 s1, 0
	v_lshl_add_u32 v16, s0, 9, v0
	s_mov_b32 s0, exec_lo
	s_delay_alu instid0(VALU_DEP_1)
	v_cmpx_gt_i32_e64 s4, v16
	s_cbranch_execz .LBB38_44
; %bb.15:
	s_abs_i32 s17, s6
	v_dual_mov_b32 v15, 0 :: v_dual_mov_b32 v14, 0
	s_cvt_f32_u32 s0, s17
	v_dual_mov_b32 v56, 0 :: v_dual_mov_b32 v55, 0
	v_dual_mov_b32 v58, 0 :: v_dual_mov_b32 v57, 0
	s_delay_alu instid0(SALU_CYCLE_1) | instskip(SKIP_3) | instid1(TRANS32_DEP_1)
	v_rcp_iflag_f32_e32 v0, s0
	v_dual_mov_b32 v60, 0 :: v_dual_mov_b32 v59, 0
	v_dual_mov_b32 v62, 0 :: v_dual_mov_b32 v61, 0
	;; [unrolled: 1-line block ×3, first 2 shown]
	v_readfirstlane_b32 s0, v0
	s_cmp_ge_i32 s15, s16
	s_wait_dscnt 0x0
	s_barrier_signal -1
	s_barrier_wait -1
	s_cbranch_scc1 .LBB38_20
; %bb.16:
	s_mul_f32 s0, s0, 0x4f7ffffe
	s_ashr_i32 s6, s6, 31
	v_dual_ashrrev_i32 v17, 31, v16 :: v_dual_mov_b32 v33, 0
	s_delay_alu instid0(SALU_CYCLE_1) | instskip(SKIP_2) | instid1(SALU_CYCLE_1)
	s_cvt_u32_f32 s18, s0
	s_sub_co_i32 s0, 0, s17
	v_dual_mov_b32 v32, 0 :: v_dual_mov_b32 v61, 0
	s_mul_i32 s19, s0, s18
	s_abs_i32 s0, s5
	s_mul_hi_u32 s20, s18, s19
	s_mov_b32 s19, s1
	s_add_co_i32 s18, s18, s20
	s_ashr_i32 s5, s5, 31
	s_mul_u64 s[18:19], s[0:1], s[18:19]
	s_xor_b32 s5, s5, s6
	s_mul_i32 s18, s19, s17
	s_add_co_i32 s6, s19, 1
	s_sub_co_i32 s0, s0, s18
	v_dual_mov_b32 v62, 0 :: v_dual_mov_b32 v59, 0
	s_sub_co_i32 s18, s0, s17
	s_cmp_ge_u32 s0, s17
	v_dual_mov_b32 v60, 0 :: v_dual_mov_b32 v57, 0
	s_cselect_b32 s6, s6, s19
	s_cselect_b32 s0, s18, s0
	s_add_co_i32 s18, s6, 1
	s_cmp_ge_u32 s0, s17
	v_dual_mov_b32 v58, 0 :: v_dual_mov_b32 v55, 0
	s_cselect_b32 s0, s18, s6
	v_dual_mov_b32 v56, 0 :: v_dual_mov_b32 v14, 0
	s_xor_b32 s0, s0, s5
	v_mov_b32_e32 v15, 0
	s_sub_co_i32 s0, s0, s5
	s_bitcmp1_b32 s7, 0
	s_cvt_f32_u32 s5, s0
	s_cselect_b32 s6, -1, 0
	s_sub_co_i32 s7, 0, s0
	s_xor_b32 s18, s6, -1
	v_rcp_iflag_f32_e32 v0, s5
	v_cndmask_b32_e64 v23, 0, 1, s18
	s_delay_alu instid0(TRANS32_DEP_1) | instskip(SKIP_1) | instid1(SALU_CYCLE_3)
	v_readfirstlane_b32 s5, v0
	s_mul_f32 s5, s5, 0x4f7ffffe
	s_cvt_u32_f32 s5, s5
	s_delay_alu instid0(SALU_CYCLE_3) | instskip(NEXT) | instid1(SALU_CYCLE_1)
	s_mul_i32 s7, s7, s5
	s_mul_hi_u32 s7, s5, s7
	s_delay_alu instid0(SALU_CYCLE_1) | instskip(NEXT) | instid1(SALU_CYCLE_1)
	s_add_co_i32 s5, s5, s7
	s_mul_hi_u32 s5, s15, s5
	s_delay_alu instid0(SALU_CYCLE_1) | instskip(NEXT) | instid1(SALU_CYCLE_1)
	s_mul_i32 s7, s5, s0
	s_sub_co_i32 s6, s15, s7
	s_add_co_i32 s7, s5, 1
	s_sub_co_i32 s17, s6, s0
	s_cmp_ge_u32 s6, s0
	s_cselect_b32 s5, s7, s5
	s_cselect_b32 s6, s17, s6
	s_add_co_i32 s7, s5, 1
	s_cmp_ge_u32 s6, s0
	s_cselect_b32 s17, s7, s5
	s_delay_alu instid0(SALU_CYCLE_1) | instskip(NEXT) | instid1(SALU_CYCLE_1)
	s_mul_i32 s5, s17, s4
	v_dual_ashrrev_i32 v22, 2, v16 :: v_dual_add_nc_u32 v0, s5, v16
	s_ashr_i32 s6, s5, 31
	s_delay_alu instid0(SALU_CYCLE_1) | instskip(NEXT) | instid1(SALU_CYCLE_1)
	s_lshr_b32 s6, s6, 30
	s_add_co_i32 s6, s5, s6
	s_delay_alu instid0(VALU_DEP_1)
	v_ashrrev_i32_e32 v1, 31, v0
	s_ashr_i32 s6, s6, 2
	s_lshr_b32 s5, s15, 2
	v_add_nc_u32_e32 v2, s6, v22
	s_mul_i32 s6, s4, s5
	s_wait_kmcnt 0x0
	v_lshl_add_u64 v[0:1], v[0:1], 1, s[8:9]
	s_ashr_i32 s7, s6, 31
	s_ashr_i32 s5, s4, 31
	global_load_b32 v2, v2, s[2:3] scale_offset
	s_lshl_b64 s[6:7], s[6:7], 2
	global_load_b64 v[18:19], v[0:1], off
	s_add_nc_u64 s[6:7], s[12:13], s[6:7]
	s_add_co_i32 s12, s0, s15
	s_wait_xcnt 0x0
	v_lshl_add_u64 v[0:1], v[16:17], 2, s[6:7]
	s_lshl_b64 s[6:7], s[4:5], 2
	s_wait_loadcnt 0x1
	v_and_b32_e32 v17, 0xff, v2
	v_bfe_u32 v24, v2, 8, 8
	v_bfe_u32 v25, v2, 16, 8
	v_lshrrev_b32_e32 v26, 24, v2
	s_branch .LBB38_18
.LBB38_17:                              ;   in Loop: Header=BB38_18 Depth=1
	global_load_b128 v[2:5], v[0:1], off
	v_add_nc_u64_e32 v[12:13], s[6:7], v[0:1]
	v_dual_add_nc_u32 v31, v17, v23 :: v_dual_add_nc_u32 v30, v24, v23
	v_dual_add_nc_u32 v29, v25, v23 :: v_dual_add_nc_u32 v28, v26, v23
	s_add_co_i32 s15, s15, 32
	v_mov_b32_e32 v27, s1
	global_load_b128 v[6:9], v[12:13], off
	s_wait_xcnt 0x0
	v_add_nc_u64_e32 v[12:13], s[6:7], v[12:13]
	s_add_co_i32 s1, s1, 64
	s_cmp_ge_i32 s15, s16
	s_wait_loadcnt 0x1
	v_and_b32_e32 v0, 0xff, v2
	s_delay_alu instid0(VALU_DEP_1) | instskip(NEXT) | instid1(VALU_DEP_1)
	v_sub_nc_u32_e32 v0, v0, v31
	v_cvt_f32_i32_e32 v0, v0
	s_delay_alu instid0(VALU_DEP_1) | instskip(SKIP_1) | instid1(VALU_DEP_1)
	v_cvt_f16_f32_e32 v20, v0
	v_bfe_u32 v0, v2, 8, 8
	v_sub_nc_u32_e32 v0, v0, v31
	s_delay_alu instid0(VALU_DEP_1) | instskip(NEXT) | instid1(VALU_DEP_1)
	v_cvt_f32_i32_e32 v0, v0
	v_cvt_f16_f32_e32 v21, v0
	v_bfe_u32 v0, v2, 16, 8
	s_delay_alu instid0(VALU_DEP_1) | instskip(NEXT) | instid1(VALU_DEP_1)
	v_sub_nc_u32_e32 v0, v0, v31
	v_cvt_f32_i32_e32 v0, v0
	s_delay_alu instid0(VALU_DEP_1) | instskip(SKIP_1) | instid1(VALU_DEP_1)
	v_cvt_f16_f32_e32 v34, v0
	v_lshrrev_b32_e32 v0, 24, v2
	v_sub_nc_u32_e32 v0, v0, v31
	s_delay_alu instid0(VALU_DEP_1) | instskip(NEXT) | instid1(VALU_DEP_1)
	v_cvt_f32_i32_e32 v0, v0
	v_cvt_f16_f32_e32 v35, v0
	s_wait_loadcnt 0x0
	v_and_b32_e32 v0, 0xff, v6
	s_delay_alu instid0(VALU_DEP_1) | instskip(NEXT) | instid1(VALU_DEP_1)
	v_sub_nc_u32_e32 v0, v0, v31
	v_cvt_f32_i32_e32 v0, v0
	s_delay_alu instid0(VALU_DEP_1) | instskip(SKIP_1) | instid1(VALU_DEP_1)
	v_cvt_f16_f32_e32 v36, v0
	v_bfe_u32 v0, v6, 8, 8
	v_sub_nc_u32_e32 v0, v0, v31
	s_delay_alu instid0(VALU_DEP_1) | instskip(NEXT) | instid1(VALU_DEP_1)
	v_cvt_f32_i32_e32 v0, v0
	v_cvt_f16_f32_e32 v37, v0
	v_bfe_u32 v0, v6, 16, 8
	s_delay_alu instid0(VALU_DEP_1) | instskip(NEXT) | instid1(VALU_DEP_1)
	v_sub_nc_u32_e32 v0, v0, v31
	v_cvt_f32_i32_e32 v0, v0
	s_delay_alu instid0(VALU_DEP_1) | instskip(SKIP_1) | instid1(VALU_DEP_1)
	v_cvt_f16_f32_e32 v38, v0
	v_lshrrev_b32_e32 v0, 24, v6
	v_sub_nc_u32_e32 v0, v0, v31
	s_delay_alu instid0(VALU_DEP_1) | instskip(NEXT) | instid1(VALU_DEP_1)
	v_cvt_f32_i32_e32 v0, v0
	v_cvt_f16_f32_e32 v39, v0
	v_and_b32_e32 v0, 0xff, v3
	s_delay_alu instid0(VALU_DEP_1) | instskip(NEXT) | instid1(VALU_DEP_1)
	v_sub_nc_u32_e32 v0, v0, v30
	v_cvt_f32_i32_e32 v0, v0
	s_delay_alu instid0(VALU_DEP_1) | instskip(SKIP_1) | instid1(VALU_DEP_1)
	v_cvt_f16_f32_e32 v40, v0
	v_bfe_u32 v0, v3, 8, 8
	v_sub_nc_u32_e32 v0, v0, v30
	s_delay_alu instid0(VALU_DEP_1) | instskip(NEXT) | instid1(VALU_DEP_1)
	v_cvt_f32_i32_e32 v0, v0
	v_cvt_f16_f32_e32 v41, v0
	v_bfe_u32 v0, v3, 16, 8
	s_delay_alu instid0(VALU_DEP_1) | instskip(NEXT) | instid1(VALU_DEP_1)
	v_sub_nc_u32_e32 v0, v0, v30
	v_cvt_f32_i32_e32 v0, v0
	s_delay_alu instid0(VALU_DEP_1) | instskip(SKIP_1) | instid1(VALU_DEP_1)
	v_cvt_f16_f32_e32 v42, v0
	v_lshrrev_b32_e32 v0, 24, v3
	v_sub_nc_u32_e32 v0, v0, v30
	s_delay_alu instid0(VALU_DEP_1) | instskip(NEXT) | instid1(VALU_DEP_1)
	v_cvt_f32_i32_e32 v0, v0
	v_cvt_f16_f32_e32 v43, v0
	;; [unrolled: 22-line block ×7, first 2 shown]
	ds_load_b128 v[68:71], v27
	ds_load_b128 v[8:11], v27 offset:16
	ds_load_b128 v[4:7], v27 offset:32
	;; [unrolled: 1-line block ×4, first 2 shown]
	s_wait_dscnt 0x4
	v_fma_mix_f32 v72, v20, v68, 0 op_sel_hi:[1,1,0]
	s_delay_alu instid0(VALU_DEP_1) | instskip(NEXT) | instid1(VALU_DEP_1)
	v_fma_mix_f32 v72, v21, v68, v72 op_sel:[0,1,0] op_sel_hi:[1,1,0]
	v_fma_mix_f32 v72, v34, v69, v72 op_sel_hi:[1,1,0]
	s_delay_alu instid0(VALU_DEP_1) | instskip(NEXT) | instid1(VALU_DEP_1)
	v_fma_mix_f32 v72, v35, v69, v72 op_sel:[0,1,0] op_sel_hi:[1,1,0]
	;; [unrolled: 3-line block ×4, first 2 shown]
	v_fma_mixlo_f16 v72, v72, v18, 0 op_sel_hi:[0,1,0]
	s_delay_alu instid0(VALU_DEP_1) | instskip(SKIP_2) | instid1(VALU_DEP_2)
	v_add_f16_e32 v88, v15, v72
	v_fma_mix_f32 v72, v40, v68, 0 op_sel_hi:[1,1,0]
	v_lshrrev_b32_e32 v15, 16, v15
	v_fma_mix_f32 v72, v41, v68, v72 op_sel:[0,1,0] op_sel_hi:[1,1,0]
	s_delay_alu instid0(VALU_DEP_1) | instskip(NEXT) | instid1(VALU_DEP_1)
	v_fma_mix_f32 v72, v42, v69, v72 op_sel_hi:[1,1,0]
	v_fma_mix_f32 v72, v43, v69, v72 op_sel:[0,1,0] op_sel_hi:[1,1,0]
	s_delay_alu instid0(VALU_DEP_1) | instskip(NEXT) | instid1(VALU_DEP_1)
	v_fma_mix_f32 v72, v44, v70, v72 op_sel_hi:[1,1,0]
	;; [unrolled: 3-line block ×3, first 2 shown]
	v_fma_mix_f32 v72, v47, v71, v72 op_sel:[0,1,0] op_sel_hi:[1,1,0]
	s_delay_alu instid0(VALU_DEP_1) | instskip(NEXT) | instid1(VALU_DEP_1)
	v_fma_mixlo_f16 v72, v72, v18, 0 op_sel:[0,1,0] op_sel_hi:[0,1,0]
	v_add_f16_e32 v89, v15, v72
	v_fma_mix_f32 v15, v48, v68, 0 op_sel_hi:[1,1,0]
	ds_load_b128 v[72:75], v27 offset:256
	v_fma_mix_f32 v15, v49, v68, v15 op_sel:[0,1,0] op_sel_hi:[1,1,0]
	s_delay_alu instid0(VALU_DEP_1) | instskip(NEXT) | instid1(VALU_DEP_1)
	v_fma_mix_f32 v15, v50, v69, v15 op_sel_hi:[1,1,0]
	v_fma_mix_f32 v15, v51, v69, v15 op_sel:[0,1,0] op_sel_hi:[1,1,0]
	s_delay_alu instid0(VALU_DEP_1) | instskip(NEXT) | instid1(VALU_DEP_1)
	v_fma_mix_f32 v15, v52, v70, v15 op_sel_hi:[1,1,0]
	;; [unrolled: 3-line block ×3, first 2 shown]
	v_fma_mix_f32 v15, v63, v71, v15 op_sel:[0,1,0] op_sel_hi:[1,1,0]
	s_delay_alu instid0(VALU_DEP_1) | instskip(NEXT) | instid1(VALU_DEP_1)
	v_fma_mixlo_f16 v15, v15, v19, 0 op_sel_hi:[0,1,0]
	v_add_f16_e32 v90, v14, v15
	v_fma_mix_f32 v15, v64, v68, 0 op_sel_hi:[1,1,0]
	v_lshrrev_b32_e32 v14, 16, v14
	s_delay_alu instid0(VALU_DEP_2) | instskip(NEXT) | instid1(VALU_DEP_1)
	v_fma_mix_f32 v15, v65, v68, v15 op_sel:[0,1,0] op_sel_hi:[1,1,0]
	v_fma_mix_f32 v15, v66, v69, v15 op_sel_hi:[1,1,0]
	s_delay_alu instid0(VALU_DEP_1) | instskip(NEXT) | instid1(VALU_DEP_1)
	v_fma_mix_f32 v15, v67, v69, v15 op_sel:[0,1,0] op_sel_hi:[1,1,0]
	v_fma_mix_f32 v15, v84, v70, v15 op_sel_hi:[1,1,0]
	s_delay_alu instid0(VALU_DEP_1) | instskip(NEXT) | instid1(VALU_DEP_1)
	;; [unrolled: 3-line block ×3, first 2 shown]
	v_fma_mix_f32 v15, v87, v71, v15 op_sel:[0,1,0] op_sel_hi:[1,1,0]
	v_fma_mixlo_f16 v15, v15, v19, 0 op_sel:[0,1,0] op_sel_hi:[0,1,0]
	s_delay_alu instid0(VALU_DEP_1) | instskip(SKIP_3) | instid1(VALU_DEP_2)
	v_add_f16_e32 v91, v14, v15
	s_wait_dscnt 0x0
	v_fma_mix_f32 v14, v20, v72, 0 op_sel_hi:[1,1,0]
	v_fma_mix_f32 v15, v40, v72, 0 op_sel_hi:[1,1,0]
	v_fma_mix_f32 v14, v21, v72, v14 op_sel:[0,1,0] op_sel_hi:[1,1,0]
	s_delay_alu instid0(VALU_DEP_2) | instskip(NEXT) | instid1(VALU_DEP_2)
	v_fma_mix_f32 v15, v41, v72, v15 op_sel:[0,1,0] op_sel_hi:[1,1,0]
	v_fma_mix_f32 v14, v34, v73, v14 op_sel_hi:[1,1,0]
	s_delay_alu instid0(VALU_DEP_2) | instskip(NEXT) | instid1(VALU_DEP_2)
	v_fma_mix_f32 v15, v42, v73, v15 op_sel_hi:[1,1,0]
	v_fma_mix_f32 v14, v35, v73, v14 op_sel:[0,1,0] op_sel_hi:[1,1,0]
	s_delay_alu instid0(VALU_DEP_2) | instskip(NEXT) | instid1(VALU_DEP_2)
	v_fma_mix_f32 v15, v43, v73, v15 op_sel:[0,1,0] op_sel_hi:[1,1,0]
	v_fma_mix_f32 v14, v36, v74, v14 op_sel_hi:[1,1,0]
	s_delay_alu instid0(VALU_DEP_2) | instskip(NEXT) | instid1(VALU_DEP_2)
	v_fma_mix_f32 v15, v44, v74, v15 op_sel_hi:[1,1,0]
	v_fma_mix_f32 v14, v37, v74, v14 op_sel:[0,1,0] op_sel_hi:[1,1,0]
	s_delay_alu instid0(VALU_DEP_2) | instskip(NEXT) | instid1(VALU_DEP_2)
	v_fma_mix_f32 v15, v45, v74, v15 op_sel:[0,1,0] op_sel_hi:[1,1,0]
	v_fma_mix_f32 v14, v38, v75, v14 op_sel_hi:[1,1,0]
	s_delay_alu instid0(VALU_DEP_2) | instskip(NEXT) | instid1(VALU_DEP_2)
	v_fma_mix_f32 v15, v46, v75, v15 op_sel_hi:[1,1,0]
	v_fma_mix_f32 v14, v39, v75, v14 op_sel:[0,1,0] op_sel_hi:[1,1,0]
	s_delay_alu instid0(VALU_DEP_2) | instskip(NEXT) | instid1(VALU_DEP_2)
	v_fma_mix_f32 v15, v47, v75, v15 op_sel:[0,1,0] op_sel_hi:[1,1,0]
	v_fma_mixlo_f16 v14, v14, v18, 0 op_sel_hi:[0,1,0]
	s_delay_alu instid0(VALU_DEP_2) | instskip(NEXT) | instid1(VALU_DEP_2)
	v_fma_mixlo_f16 v15, v15, v18, 0 op_sel:[0,1,0] op_sel_hi:[0,1,0]
	v_add_f16_e32 v68, v56, v14
	v_lshrrev_b32_e32 v14, 16, v56
	s_delay_alu instid0(VALU_DEP_1) | instskip(SKIP_2) | instid1(VALU_DEP_2)
	v_add_f16_e32 v69, v14, v15
	v_fma_mix_f32 v14, v48, v72, 0 op_sel_hi:[1,1,0]
	v_fma_mix_f32 v15, v64, v72, 0 op_sel_hi:[1,1,0]
	v_fma_mix_f32 v14, v49, v72, v14 op_sel:[0,1,0] op_sel_hi:[1,1,0]
	s_delay_alu instid0(VALU_DEP_2) | instskip(NEXT) | instid1(VALU_DEP_2)
	v_fma_mix_f32 v15, v65, v72, v15 op_sel:[0,1,0] op_sel_hi:[1,1,0]
	v_fma_mix_f32 v14, v50, v73, v14 op_sel_hi:[1,1,0]
	s_delay_alu instid0(VALU_DEP_2) | instskip(NEXT) | instid1(VALU_DEP_2)
	v_fma_mix_f32 v15, v66, v73, v15 op_sel_hi:[1,1,0]
	v_fma_mix_f32 v14, v51, v73, v14 op_sel:[0,1,0] op_sel_hi:[1,1,0]
	s_delay_alu instid0(VALU_DEP_2) | instskip(NEXT) | instid1(VALU_DEP_2)
	v_fma_mix_f32 v15, v67, v73, v15 op_sel:[0,1,0] op_sel_hi:[1,1,0]
	v_fma_mix_f32 v14, v52, v74, v14 op_sel_hi:[1,1,0]
	s_delay_alu instid0(VALU_DEP_2) | instskip(NEXT) | instid1(VALU_DEP_2)
	v_fma_mix_f32 v15, v84, v74, v15 op_sel_hi:[1,1,0]
	v_fma_mix_f32 v14, v53, v74, v14 op_sel:[0,1,0] op_sel_hi:[1,1,0]
	s_delay_alu instid0(VALU_DEP_2) | instskip(NEXT) | instid1(VALU_DEP_2)
	v_fma_mix_f32 v15, v85, v74, v15 op_sel:[0,1,0] op_sel_hi:[1,1,0]
	v_fma_mix_f32 v14, v54, v75, v14 op_sel_hi:[1,1,0]
	s_delay_alu instid0(VALU_DEP_2) | instskip(NEXT) | instid1(VALU_DEP_2)
	v_fma_mix_f32 v15, v86, v75, v15 op_sel_hi:[1,1,0]
	v_fma_mix_f32 v14, v63, v75, v14 op_sel:[0,1,0] op_sel_hi:[1,1,0]
	s_delay_alu instid0(VALU_DEP_2) | instskip(NEXT) | instid1(VALU_DEP_2)
	v_fma_mix_f32 v15, v87, v75, v15 op_sel:[0,1,0] op_sel_hi:[1,1,0]
	v_fma_mixlo_f16 v14, v14, v19, 0 op_sel_hi:[0,1,0]
	s_delay_alu instid0(VALU_DEP_2) | instskip(NEXT) | instid1(VALU_DEP_2)
	v_fma_mixlo_f16 v15, v15, v19, 0 op_sel:[0,1,0] op_sel_hi:[0,1,0]
	v_add_f16_e32 v70, v55, v14
	v_lshrrev_b32_e32 v14, 16, v55
	s_delay_alu instid0(VALU_DEP_1) | instskip(SKIP_2) | instid1(VALU_DEP_2)
	v_add_f16_e32 v71, v14, v15
	;; [unrolled: 30-line block ×3, first 2 shown]
	v_fma_mix_f32 v14, v48, v76, 0 op_sel_hi:[1,1,0]
	v_fma_mix_f32 v15, v64, v76, 0 op_sel_hi:[1,1,0]
	v_fma_mix_f32 v14, v49, v76, v14 op_sel:[0,1,0] op_sel_hi:[1,1,0]
	s_delay_alu instid0(VALU_DEP_2) | instskip(NEXT) | instid1(VALU_DEP_2)
	v_fma_mix_f32 v15, v65, v76, v15 op_sel:[0,1,0] op_sel_hi:[1,1,0]
	v_fma_mix_f32 v14, v50, v77, v14 op_sel_hi:[1,1,0]
	s_delay_alu instid0(VALU_DEP_2) | instskip(NEXT) | instid1(VALU_DEP_2)
	v_fma_mix_f32 v15, v66, v77, v15 op_sel_hi:[1,1,0]
	v_fma_mix_f32 v14, v51, v77, v14 op_sel:[0,1,0] op_sel_hi:[1,1,0]
	s_delay_alu instid0(VALU_DEP_2) | instskip(NEXT) | instid1(VALU_DEP_2)
	v_fma_mix_f32 v15, v67, v77, v15 op_sel:[0,1,0] op_sel_hi:[1,1,0]
	v_fma_mix_f32 v14, v52, v78, v14 op_sel_hi:[1,1,0]
	s_delay_alu instid0(VALU_DEP_2) | instskip(NEXT) | instid1(VALU_DEP_2)
	;; [unrolled: 6-line block ×3, first 2 shown]
	v_fma_mix_f32 v15, v86, v79, v15 op_sel_hi:[1,1,0]
	v_fma_mix_f32 v14, v63, v79, v14 op_sel:[0,1,0] op_sel_hi:[1,1,0]
	s_delay_alu instid0(VALU_DEP_2) | instskip(SKIP_3) | instid1(VALU_DEP_2)
	v_fma_mix_f32 v15, v87, v79, v15 op_sel:[0,1,0] op_sel_hi:[1,1,0]
	ds_load_b128 v[76:79], v27 offset:768
	v_fma_mixlo_f16 v14, v14, v19, 0 op_sel_hi:[0,1,0]
	v_fma_mixlo_f16 v15, v15, v19, 0 op_sel:[0,1,0] op_sel_hi:[0,1,0]
	v_add_f16_e32 v74, v57, v14
	v_lshrrev_b32_e32 v14, 16, v57
	s_delay_alu instid0(VALU_DEP_1) | instskip(SKIP_3) | instid1(VALU_DEP_2)
	v_add_f16_e32 v75, v14, v15
	s_wait_dscnt 0x0
	v_fma_mix_f32 v14, v20, v76, 0 op_sel_hi:[1,1,0]
	v_fma_mix_f32 v15, v40, v76, 0 op_sel_hi:[1,1,0]
	v_fma_mix_f32 v14, v21, v76, v14 op_sel:[0,1,0] op_sel_hi:[1,1,0]
	s_delay_alu instid0(VALU_DEP_2) | instskip(NEXT) | instid1(VALU_DEP_2)
	v_fma_mix_f32 v15, v41, v76, v15 op_sel:[0,1,0] op_sel_hi:[1,1,0]
	v_fma_mix_f32 v14, v34, v77, v14 op_sel_hi:[1,1,0]
	s_delay_alu instid0(VALU_DEP_2) | instskip(NEXT) | instid1(VALU_DEP_2)
	v_fma_mix_f32 v15, v42, v77, v15 op_sel_hi:[1,1,0]
	v_fma_mix_f32 v14, v35, v77, v14 op_sel:[0,1,0] op_sel_hi:[1,1,0]
	s_delay_alu instid0(VALU_DEP_2) | instskip(NEXT) | instid1(VALU_DEP_2)
	v_fma_mix_f32 v15, v43, v77, v15 op_sel:[0,1,0] op_sel_hi:[1,1,0]
	v_fma_mix_f32 v14, v36, v78, v14 op_sel_hi:[1,1,0]
	s_delay_alu instid0(VALU_DEP_2) | instskip(NEXT) | instid1(VALU_DEP_2)
	;; [unrolled: 6-line block ×3, first 2 shown]
	v_fma_mix_f32 v15, v46, v79, v15 op_sel_hi:[1,1,0]
	v_fma_mix_f32 v14, v39, v79, v14 op_sel:[0,1,0] op_sel_hi:[1,1,0]
	s_delay_alu instid0(VALU_DEP_2) | instskip(NEXT) | instid1(VALU_DEP_2)
	v_fma_mix_f32 v15, v47, v79, v15 op_sel:[0,1,0] op_sel_hi:[1,1,0]
	v_fma_mixlo_f16 v14, v14, v18, 0 op_sel_hi:[0,1,0]
	s_delay_alu instid0(VALU_DEP_2) | instskip(NEXT) | instid1(VALU_DEP_2)
	v_fma_mixlo_f16 v15, v15, v18, 0 op_sel:[0,1,0] op_sel_hi:[0,1,0]
	v_add_f16_e32 v80, v60, v14
	v_lshrrev_b32_e32 v14, 16, v60
	s_delay_alu instid0(VALU_DEP_1) | instskip(SKIP_2) | instid1(VALU_DEP_2)
	v_add_f16_e32 v81, v14, v15
	v_fma_mix_f32 v14, v48, v76, 0 op_sel_hi:[1,1,0]
	v_fma_mix_f32 v15, v64, v76, 0 op_sel_hi:[1,1,0]
	v_fma_mix_f32 v14, v49, v76, v14 op_sel:[0,1,0] op_sel_hi:[1,1,0]
	s_delay_alu instid0(VALU_DEP_2) | instskip(NEXT) | instid1(VALU_DEP_2)
	v_fma_mix_f32 v15, v65, v76, v15 op_sel:[0,1,0] op_sel_hi:[1,1,0]
	v_fma_mix_f32 v14, v50, v77, v14 op_sel_hi:[1,1,0]
	s_delay_alu instid0(VALU_DEP_2) | instskip(NEXT) | instid1(VALU_DEP_2)
	v_fma_mix_f32 v15, v66, v77, v15 op_sel_hi:[1,1,0]
	v_fma_mix_f32 v14, v51, v77, v14 op_sel:[0,1,0] op_sel_hi:[1,1,0]
	s_delay_alu instid0(VALU_DEP_2) | instskip(NEXT) | instid1(VALU_DEP_2)
	v_fma_mix_f32 v15, v67, v77, v15 op_sel:[0,1,0] op_sel_hi:[1,1,0]
	v_fma_mix_f32 v14, v52, v78, v14 op_sel_hi:[1,1,0]
	s_delay_alu instid0(VALU_DEP_2) | instskip(NEXT) | instid1(VALU_DEP_2)
	;; [unrolled: 6-line block ×3, first 2 shown]
	v_fma_mix_f32 v15, v86, v79, v15 op_sel_hi:[1,1,0]
	v_fma_mix_f32 v14, v63, v79, v14 op_sel:[0,1,0] op_sel_hi:[1,1,0]
	s_delay_alu instid0(VALU_DEP_2) | instskip(NEXT) | instid1(VALU_DEP_2)
	v_fma_mix_f32 v15, v87, v79, v15 op_sel:[0,1,0] op_sel_hi:[1,1,0]
	v_fma_mixlo_f16 v14, v14, v19, 0 op_sel_hi:[0,1,0]
	s_delay_alu instid0(VALU_DEP_2) | instskip(NEXT) | instid1(VALU_DEP_2)
	v_fma_mixlo_f16 v15, v15, v19, 0 op_sel:[0,1,0] op_sel_hi:[0,1,0]
	v_add_f16_e32 v82, v59, v14
	v_lshrrev_b32_e32 v14, 16, v59
	ds_load_b128 v[56:59], v27 offset:1024
	v_add_f16_e32 v83, v14, v15
	s_wait_dscnt 0x0
	v_fma_mix_f32 v14, v20, v56, 0 op_sel_hi:[1,1,0]
	v_fma_mix_f32 v15, v40, v56, 0 op_sel_hi:[1,1,0]
	s_delay_alu instid0(VALU_DEP_2) | instskip(NEXT) | instid1(VALU_DEP_2)
	v_fma_mix_f32 v14, v21, v56, v14 op_sel:[0,1,0] op_sel_hi:[1,1,0]
	v_fma_mix_f32 v15, v41, v56, v15 op_sel:[0,1,0] op_sel_hi:[1,1,0]
	s_delay_alu instid0(VALU_DEP_2) | instskip(NEXT) | instid1(VALU_DEP_2)
	v_fma_mix_f32 v14, v34, v57, v14 op_sel_hi:[1,1,0]
	v_fma_mix_f32 v15, v42, v57, v15 op_sel_hi:[1,1,0]
	s_delay_alu instid0(VALU_DEP_2) | instskip(NEXT) | instid1(VALU_DEP_2)
	v_fma_mix_f32 v14, v35, v57, v14 op_sel:[0,1,0] op_sel_hi:[1,1,0]
	v_fma_mix_f32 v15, v43, v57, v15 op_sel:[0,1,0] op_sel_hi:[1,1,0]
	s_delay_alu instid0(VALU_DEP_2) | instskip(NEXT) | instid1(VALU_DEP_2)
	;; [unrolled: 6-line block ×4, first 2 shown]
	v_fma_mixlo_f16 v14, v14, v18, 0 op_sel_hi:[0,1,0]
	v_fma_mixlo_f16 v15, v15, v18, 0 op_sel:[0,1,0] op_sel_hi:[0,1,0]
	s_delay_alu instid0(VALU_DEP_2) | instskip(SKIP_1) | instid1(VALU_DEP_1)
	v_add_f16_e32 v76, v62, v14
	v_lshrrev_b32_e32 v14, 16, v62
	v_add_f16_e32 v77, v14, v15
	v_fma_mix_f32 v14, v48, v56, 0 op_sel_hi:[1,1,0]
	v_fma_mix_f32 v15, v64, v56, 0 op_sel_hi:[1,1,0]
	s_delay_alu instid0(VALU_DEP_2) | instskip(NEXT) | instid1(VALU_DEP_2)
	v_fma_mix_f32 v14, v49, v56, v14 op_sel:[0,1,0] op_sel_hi:[1,1,0]
	v_fma_mix_f32 v15, v65, v56, v15 op_sel:[0,1,0] op_sel_hi:[1,1,0]
	s_delay_alu instid0(VALU_DEP_2) | instskip(NEXT) | instid1(VALU_DEP_2)
	v_fma_mix_f32 v14, v50, v57, v14 op_sel_hi:[1,1,0]
	v_fma_mix_f32 v15, v66, v57, v15 op_sel_hi:[1,1,0]
	s_delay_alu instid0(VALU_DEP_2) | instskip(NEXT) | instid1(VALU_DEP_2)
	v_fma_mix_f32 v14, v51, v57, v14 op_sel:[0,1,0] op_sel_hi:[1,1,0]
	v_fma_mix_f32 v15, v67, v57, v15 op_sel:[0,1,0] op_sel_hi:[1,1,0]
	s_delay_alu instid0(VALU_DEP_2) | instskip(NEXT) | instid1(VALU_DEP_2)
	;; [unrolled: 6-line block ×3, first 2 shown]
	v_fma_mix_f32 v14, v54, v59, v14 op_sel_hi:[1,1,0]
	v_fma_mix_f32 v15, v86, v59, v15 op_sel_hi:[1,1,0]
	s_delay_alu instid0(VALU_DEP_2) | instskip(NEXT) | instid1(VALU_DEP_2)
	v_fma_mix_f32 v14, v63, v59, v14 op_sel:[0,1,0] op_sel_hi:[1,1,0]
	v_fma_mix_f32 v15, v87, v59, v15 op_sel:[0,1,0] op_sel_hi:[1,1,0]
	ds_load_b128 v[56:59], v27 offset:1280
	v_fma_mixlo_f16 v14, v14, v19, 0 op_sel_hi:[0,1,0]
	v_fma_mixlo_f16 v15, v15, v19, 0 op_sel:[0,1,0] op_sel_hi:[0,1,0]
	s_delay_alu instid0(VALU_DEP_2) | instskip(SKIP_1) | instid1(VALU_DEP_1)
	v_add_f16_e32 v78, v61, v14
	v_lshrrev_b32_e32 v14, 16, v61
	v_add_f16_e32 v79, v14, v15
	s_wait_dscnt 0x0
	v_fma_mix_f32 v14, v20, v56, 0 op_sel_hi:[1,1,0]
	v_fma_mix_f32 v15, v40, v56, 0 op_sel_hi:[1,1,0]
	s_delay_alu instid0(VALU_DEP_2) | instskip(NEXT) | instid1(VALU_DEP_2)
	v_fma_mix_f32 v14, v21, v56, v14 op_sel:[0,1,0] op_sel_hi:[1,1,0]
	v_fma_mix_f32 v15, v41, v56, v15 op_sel:[0,1,0] op_sel_hi:[1,1,0]
	s_delay_alu instid0(VALU_DEP_2) | instskip(NEXT) | instid1(VALU_DEP_2)
	v_fma_mix_f32 v14, v34, v57, v14 op_sel_hi:[1,1,0]
	v_fma_mix_f32 v15, v42, v57, v15 op_sel_hi:[1,1,0]
	s_delay_alu instid0(VALU_DEP_2) | instskip(NEXT) | instid1(VALU_DEP_2)
	v_fma_mix_f32 v14, v35, v57, v14 op_sel:[0,1,0] op_sel_hi:[1,1,0]
	v_fma_mix_f32 v15, v43, v57, v15 op_sel:[0,1,0] op_sel_hi:[1,1,0]
	s_delay_alu instid0(VALU_DEP_2) | instskip(NEXT) | instid1(VALU_DEP_2)
	;; [unrolled: 6-line block ×4, first 2 shown]
	v_fma_mixlo_f16 v14, v14, v18, 0 op_sel_hi:[0,1,0]
	v_fma_mixlo_f16 v15, v15, v18, 0 op_sel:[0,1,0] op_sel_hi:[0,1,0]
	s_delay_alu instid0(VALU_DEP_2) | instskip(SKIP_2) | instid1(VALU_DEP_2)
	v_add_f16_e32 v21, v32, v14
	v_lshrrev_b32_e32 v14, 16, v32
	v_fma_mix_f32 v32, v64, v56, 0 op_sel_hi:[1,1,0]
	v_add_f16_e32 v20, v14, v15
	v_fma_mix_f32 v14, v48, v56, 0 op_sel_hi:[1,1,0]
	s_delay_alu instid0(VALU_DEP_3) | instskip(NEXT) | instid1(VALU_DEP_2)
	v_fma_mix_f32 v32, v65, v56, v32 op_sel:[0,1,0] op_sel_hi:[1,1,0]
	v_fma_mix_f32 v14, v49, v56, v14 op_sel:[0,1,0] op_sel_hi:[1,1,0]
	s_delay_alu instid0(VALU_DEP_2) | instskip(NEXT) | instid1(VALU_DEP_2)
	v_fma_mix_f32 v32, v66, v57, v32 op_sel_hi:[1,1,0]
	v_fma_mix_f32 v14, v50, v57, v14 op_sel_hi:[1,1,0]
	s_delay_alu instid0(VALU_DEP_2) | instskip(NEXT) | instid1(VALU_DEP_2)
	v_fma_mix_f32 v32, v67, v57, v32 op_sel:[0,1,0] op_sel_hi:[1,1,0]
	v_fma_mix_f32 v14, v51, v57, v14 op_sel:[0,1,0] op_sel_hi:[1,1,0]
	s_delay_alu instid0(VALU_DEP_2) | instskip(NEXT) | instid1(VALU_DEP_2)
	v_fma_mix_f32 v32, v84, v58, v32 op_sel_hi:[1,1,0]
	v_fma_mix_f32 v14, v52, v58, v14 op_sel_hi:[1,1,0]
	s_delay_alu instid0(VALU_DEP_2) | instskip(NEXT) | instid1(VALU_DEP_2)
	;; [unrolled: 6-line block ×3, first 2 shown]
	v_fma_mix_f32 v32, v87, v59, v32 op_sel:[0,1,0] op_sel_hi:[1,1,0]
	v_fma_mix_f32 v14, v63, v59, v14 op_sel:[0,1,0] op_sel_hi:[1,1,0]
	s_delay_alu instid0(VALU_DEP_2) | instskip(NEXT) | instid1(VALU_DEP_2)
	v_fma_mixlo_f16 v32, v32, v19, 0 op_sel:[0,1,0] op_sel_hi:[0,1,0]
	v_fma_mixlo_f16 v14, v14, v19, 0 op_sel_hi:[0,1,0]
	s_delay_alu instid0(VALU_DEP_1) | instskip(SKIP_1) | instid1(VALU_DEP_1)
	v_add_f16_e32 v15, v33, v14
	v_lshrrev_b32_e32 v14, 16, v33
	v_add_f16_e32 v14, v14, v32
	global_load_b128 v[32:35], v[12:13], off
	s_wait_xcnt 0x0
	v_add_nc_u64_e32 v[12:13], s[6:7], v[12:13]
	global_load_b128 v[84:87], v[12:13], off
	s_wait_loadcnt 0x1
	v_and_b32_e32 v36, 0xff, v32
	s_delay_alu instid0(VALU_DEP_1) | instskip(NEXT) | instid1(VALU_DEP_1)
	v_sub_nc_u32_e32 v36, v36, v31
	v_cvt_f32_i32_e32 v36, v36
	s_delay_alu instid0(VALU_DEP_1) | instskip(SKIP_1) | instid1(VALU_DEP_1)
	v_cvt_f16_f32_e32 v47, v36
	v_bfe_u32 v36, v32, 8, 8
	v_sub_nc_u32_e32 v36, v36, v31
	s_delay_alu instid0(VALU_DEP_1) | instskip(NEXT) | instid1(VALU_DEP_1)
	v_cvt_f32_i32_e32 v36, v36
	v_cvt_f16_f32_e32 v50, v36
	v_bfe_u32 v36, v32, 16, 8
	s_delay_alu instid0(VALU_DEP_1) | instskip(NEXT) | instid1(VALU_DEP_1)
	v_dual_lshrrev_b32 v32, 24, v32 :: v_dual_sub_nc_u32 v36, v36, v31
	v_sub_nc_u32_e32 v32, v32, v31
	s_delay_alu instid0(VALU_DEP_2) | instskip(NEXT) | instid1(VALU_DEP_2)
	v_cvt_f32_i32_e32 v36, v36
	v_cvt_f32_i32_e32 v32, v32
	s_delay_alu instid0(VALU_DEP_2) | instskip(NEXT) | instid1(VALU_DEP_2)
	v_cvt_f16_f32_e32 v53, v36
	v_cvt_f16_f32_e32 v56, v32
	s_wait_loadcnt 0x0
	v_and_b32_e32 v32, 0xff, v84
	s_delay_alu instid0(VALU_DEP_1) | instskip(NEXT) | instid1(VALU_DEP_1)
	v_sub_nc_u32_e32 v32, v32, v31
	v_cvt_f32_i32_e32 v32, v32
	s_delay_alu instid0(VALU_DEP_1) | instskip(SKIP_1) | instid1(VALU_DEP_1)
	v_cvt_f16_f32_e32 v59, v32
	v_bfe_u32 v32, v84, 8, 8
	v_sub_nc_u32_e32 v32, v32, v31
	s_delay_alu instid0(VALU_DEP_1) | instskip(NEXT) | instid1(VALU_DEP_1)
	v_cvt_f32_i32_e32 v32, v32
	v_cvt_f16_f32_e32 v62, v32
	v_bfe_u32 v32, v84, 16, 8
	s_delay_alu instid0(VALU_DEP_1) | instskip(NEXT) | instid1(VALU_DEP_1)
	v_sub_nc_u32_e32 v32, v32, v31
	v_cvt_f32_i32_e32 v32, v32
	s_delay_alu instid0(VALU_DEP_1) | instskip(SKIP_1) | instid1(VALU_DEP_1)
	v_cvt_f16_f32_e32 v65, v32
	v_lshrrev_b32_e32 v32, 24, v84
	v_sub_nc_u32_e32 v32, v32, v31
	s_delay_alu instid0(VALU_DEP_1) | instskip(NEXT) | instid1(VALU_DEP_1)
	v_cvt_f32_i32_e32 v32, v32
	v_cvt_f16_f32_e32 v67, v32
	v_and_b32_e32 v32, 0xff, v33
	s_delay_alu instid0(VALU_DEP_1) | instskip(NEXT) | instid1(VALU_DEP_1)
	v_sub_nc_u32_e32 v32, v32, v30
	v_cvt_f32_i32_e32 v32, v32
	s_delay_alu instid0(VALU_DEP_1) | instskip(SKIP_1) | instid1(VALU_DEP_1)
	v_cvt_f16_f32_e32 v45, v32
	v_bfe_u32 v32, v33, 8, 8
	v_sub_nc_u32_e32 v32, v32, v30
	s_delay_alu instid0(VALU_DEP_1) | instskip(NEXT) | instid1(VALU_DEP_1)
	v_cvt_f32_i32_e32 v32, v32
	v_cvt_f16_f32_e32 v48, v32
	v_bfe_u32 v32, v33, 16, 8
	s_delay_alu instid0(VALU_DEP_1) | instskip(NEXT) | instid1(VALU_DEP_1)
	v_sub_nc_u32_e32 v32, v32, v30
	v_cvt_f32_i32_e32 v32, v32
	s_delay_alu instid0(VALU_DEP_1) | instskip(SKIP_1) | instid1(VALU_DEP_1)
	v_cvt_f16_f32_e32 v51, v32
	v_lshrrev_b32_e32 v32, 24, v33
	v_sub_nc_u32_e32 v32, v32, v30
	s_delay_alu instid0(VALU_DEP_1) | instskip(NEXT) | instid1(VALU_DEP_1)
	v_cvt_f32_i32_e32 v32, v32
	v_cvt_f16_f32_e32 v54, v32
	;; [unrolled: 22-line block ×7, first 2 shown]
	v_fma_mix_f32 v32, v47, v8, 0 op_sel_hi:[1,1,0]
	s_delay_alu instid0(VALU_DEP_1) | instskip(NEXT) | instid1(VALU_DEP_1)
	v_fma_mix_f32 v32, v50, v8, v32 op_sel:[0,1,0] op_sel_hi:[1,1,0]
	v_fma_mix_f32 v32, v53, v9, v32 op_sel_hi:[1,1,0]
	s_delay_alu instid0(VALU_DEP_1) | instskip(NEXT) | instid1(VALU_DEP_1)
	v_fma_mix_f32 v32, v56, v9, v32 op_sel:[0,1,0] op_sel_hi:[1,1,0]
	v_fma_mix_f32 v32, v59, v10, v32 op_sel_hi:[1,1,0]
	s_delay_alu instid0(VALU_DEP_1) | instskip(NEXT) | instid1(VALU_DEP_1)
	v_fma_mix_f32 v32, v62, v10, v32 op_sel:[0,1,0] op_sel_hi:[1,1,0]
	v_fma_mix_f32 v32, v65, v11, v32 op_sel_hi:[1,1,0]
	s_delay_alu instid0(VALU_DEP_1) | instskip(NEXT) | instid1(VALU_DEP_1)
	v_fma_mix_f32 v32, v67, v11, v32 op_sel:[0,1,0] op_sel_hi:[1,1,0]
	v_fma_mixlo_f16 v32, v32, v18, 0 op_sel_hi:[0,1,0]
	s_delay_alu instid0(VALU_DEP_1) | instskip(SKIP_1) | instid1(VALU_DEP_1)
	v_add_f16_e32 v35, v88, v32
	v_fma_mix_f32 v32, v45, v8, 0 op_sel_hi:[1,1,0]
	v_fma_mix_f32 v32, v48, v8, v32 op_sel:[0,1,0] op_sel_hi:[1,1,0]
	s_delay_alu instid0(VALU_DEP_1) | instskip(NEXT) | instid1(VALU_DEP_1)
	v_fma_mix_f32 v32, v51, v9, v32 op_sel_hi:[1,1,0]
	v_fma_mix_f32 v32, v54, v9, v32 op_sel:[0,1,0] op_sel_hi:[1,1,0]
	s_delay_alu instid0(VALU_DEP_1) | instskip(NEXT) | instid1(VALU_DEP_1)
	v_fma_mix_f32 v32, v57, v10, v32 op_sel_hi:[1,1,0]
	v_fma_mix_f32 v32, v60, v10, v32 op_sel:[0,1,0] op_sel_hi:[1,1,0]
	s_delay_alu instid0(VALU_DEP_1) | instskip(NEXT) | instid1(VALU_DEP_1)
	v_fma_mix_f32 v32, v63, v11, v32 op_sel_hi:[1,1,0]
	v_fma_mix_f32 v32, v66, v11, v32 op_sel:[0,1,0] op_sel_hi:[1,1,0]
	s_delay_alu instid0(VALU_DEP_1) | instskip(NEXT) | instid1(VALU_DEP_1)
	v_fma_mixlo_f16 v32, v32, v18, 0 op_sel:[0,1,0] op_sel_hi:[0,1,0]
	v_add_f16_e32 v34, v89, v32
	v_fma_mix_f32 v32, v42, v8, 0 op_sel_hi:[1,1,0]
	s_delay_alu instid0(VALU_DEP_1) | instskip(NEXT) | instid1(VALU_DEP_1)
	v_fma_mix_f32 v32, v46, v8, v32 op_sel:[0,1,0] op_sel_hi:[1,1,0]
	v_fma_mix_f32 v32, v49, v9, v32 op_sel_hi:[1,1,0]
	s_delay_alu instid0(VALU_DEP_1) | instskip(NEXT) | instid1(VALU_DEP_1)
	v_fma_mix_f32 v32, v52, v9, v32 op_sel:[0,1,0] op_sel_hi:[1,1,0]
	v_fma_mix_f32 v32, v55, v10, v32 op_sel_hi:[1,1,0]
	s_delay_alu instid0(VALU_DEP_1) | instskip(NEXT) | instid1(VALU_DEP_1)
	v_fma_mix_f32 v32, v58, v10, v32 op_sel:[0,1,0] op_sel_hi:[1,1,0]
	v_fma_mix_f32 v32, v61, v11, v32 op_sel_hi:[1,1,0]
	s_delay_alu instid0(VALU_DEP_1) | instskip(NEXT) | instid1(VALU_DEP_1)
	v_fma_mix_f32 v32, v64, v11, v32 op_sel:[0,1,0] op_sel_hi:[1,1,0]
	v_fma_mixlo_f16 v32, v32, v19, 0 op_sel_hi:[0,1,0]
	s_delay_alu instid0(VALU_DEP_1) | instskip(SKIP_1) | instid1(VALU_DEP_1)
	v_add_f16_e32 v33, v90, v32
	v_fma_mix_f32 v32, v40, v8, 0 op_sel_hi:[1,1,0]
	v_fma_mix_f32 v8, v43, v8, v32 op_sel:[0,1,0] op_sel_hi:[1,1,0]
	s_delay_alu instid0(VALU_DEP_1) | instskip(NEXT) | instid1(VALU_DEP_1)
	v_fma_mix_f32 v8, v38, v9, v8 op_sel_hi:[1,1,0]
	v_fma_mix_f32 v8, v36, v9, v8 op_sel:[0,1,0] op_sel_hi:[1,1,0]
	s_delay_alu instid0(VALU_DEP_1) | instskip(NEXT) | instid1(VALU_DEP_1)
	v_fma_mix_f32 v8, v37, v10, v8 op_sel_hi:[1,1,0]
	v_fma_mix_f32 v8, v39, v10, v8 op_sel:[0,1,0] op_sel_hi:[1,1,0]
	s_delay_alu instid0(VALU_DEP_1) | instskip(NEXT) | instid1(VALU_DEP_1)
	v_fma_mix_f32 v8, v41, v11, v8 op_sel_hi:[1,1,0]
	v_fma_mix_f32 v8, v44, v11, v8 op_sel:[0,1,0] op_sel_hi:[1,1,0]
	s_delay_alu instid0(VALU_DEP_1) | instskip(NEXT) | instid1(VALU_DEP_1)
	v_fma_mixlo_f16 v8, v8, v19, 0 op_sel:[0,1,0] op_sel_hi:[0,1,0]
	v_add_f16_e32 v32, v91, v8
	ds_load_b128 v[8:11], v27 offset:272
	s_wait_dscnt 0x0
	v_fma_mix_f32 v84, v47, v8, 0 op_sel_hi:[1,1,0]
	s_delay_alu instid0(VALU_DEP_1) | instskip(NEXT) | instid1(VALU_DEP_1)
	v_fma_mix_f32 v84, v50, v8, v84 op_sel:[0,1,0] op_sel_hi:[1,1,0]
	v_fma_mix_f32 v84, v53, v9, v84 op_sel_hi:[1,1,0]
	s_delay_alu instid0(VALU_DEP_1) | instskip(NEXT) | instid1(VALU_DEP_1)
	v_fma_mix_f32 v84, v56, v9, v84 op_sel:[0,1,0] op_sel_hi:[1,1,0]
	v_fma_mix_f32 v84, v59, v10, v84 op_sel_hi:[1,1,0]
	s_delay_alu instid0(VALU_DEP_1) | instskip(NEXT) | instid1(VALU_DEP_1)
	v_fma_mix_f32 v84, v62, v10, v84 op_sel:[0,1,0] op_sel_hi:[1,1,0]
	v_fma_mix_f32 v84, v65, v11, v84 op_sel_hi:[1,1,0]
	s_delay_alu instid0(VALU_DEP_1) | instskip(NEXT) | instid1(VALU_DEP_1)
	v_fma_mix_f32 v84, v67, v11, v84 op_sel:[0,1,0] op_sel_hi:[1,1,0]
	v_fma_mixlo_f16 v84, v84, v18, 0 op_sel_hi:[0,1,0]
	s_delay_alu instid0(VALU_DEP_1) | instskip(SKIP_1) | instid1(VALU_DEP_1)
	v_add_f16_e32 v68, v68, v84
	v_fma_mix_f32 v84, v45, v8, 0 op_sel_hi:[1,1,0]
	v_fma_mix_f32 v84, v48, v8, v84 op_sel:[0,1,0] op_sel_hi:[1,1,0]
	s_delay_alu instid0(VALU_DEP_1) | instskip(NEXT) | instid1(VALU_DEP_1)
	v_fma_mix_f32 v84, v51, v9, v84 op_sel_hi:[1,1,0]
	v_fma_mix_f32 v84, v54, v9, v84 op_sel:[0,1,0] op_sel_hi:[1,1,0]
	s_delay_alu instid0(VALU_DEP_1) | instskip(NEXT) | instid1(VALU_DEP_1)
	v_fma_mix_f32 v84, v57, v10, v84 op_sel_hi:[1,1,0]
	v_fma_mix_f32 v84, v60, v10, v84 op_sel:[0,1,0] op_sel_hi:[1,1,0]
	s_delay_alu instid0(VALU_DEP_1) | instskip(NEXT) | instid1(VALU_DEP_1)
	v_fma_mix_f32 v84, v63, v11, v84 op_sel_hi:[1,1,0]
	v_fma_mix_f32 v84, v66, v11, v84 op_sel:[0,1,0] op_sel_hi:[1,1,0]
	s_delay_alu instid0(VALU_DEP_1) | instskip(NEXT) | instid1(VALU_DEP_1)
	v_fma_mixlo_f16 v84, v84, v18, 0 op_sel:[0,1,0] op_sel_hi:[0,1,0]
	v_add_f16_e32 v69, v69, v84
	v_fma_mix_f32 v84, v42, v8, 0 op_sel_hi:[1,1,0]
	s_delay_alu instid0(VALU_DEP_1) | instskip(NEXT) | instid1(VALU_DEP_1)
	v_fma_mix_f32 v84, v46, v8, v84 op_sel:[0,1,0] op_sel_hi:[1,1,0]
	v_fma_mix_f32 v84, v49, v9, v84 op_sel_hi:[1,1,0]
	s_delay_alu instid0(VALU_DEP_1) | instskip(NEXT) | instid1(VALU_DEP_1)
	v_fma_mix_f32 v84, v52, v9, v84 op_sel:[0,1,0] op_sel_hi:[1,1,0]
	v_fma_mix_f32 v84, v55, v10, v84 op_sel_hi:[1,1,0]
	s_delay_alu instid0(VALU_DEP_1) | instskip(NEXT) | instid1(VALU_DEP_1)
	v_fma_mix_f32 v84, v58, v10, v84 op_sel:[0,1,0] op_sel_hi:[1,1,0]
	v_fma_mix_f32 v84, v61, v11, v84 op_sel_hi:[1,1,0]
	s_delay_alu instid0(VALU_DEP_1) | instskip(NEXT) | instid1(VALU_DEP_1)
	v_fma_mix_f32 v84, v64, v11, v84 op_sel:[0,1,0] op_sel_hi:[1,1,0]
	v_fma_mixlo_f16 v84, v84, v19, 0 op_sel_hi:[0,1,0]
	s_delay_alu instid0(VALU_DEP_1) | instskip(SKIP_1) | instid1(VALU_DEP_1)
	v_add_f16_e32 v70, v70, v84
	v_fma_mix_f32 v84, v40, v8, 0 op_sel_hi:[1,1,0]
	v_fma_mix_f32 v8, v43, v8, v84 op_sel:[0,1,0] op_sel_hi:[1,1,0]
	s_delay_alu instid0(VALU_DEP_1) | instskip(NEXT) | instid1(VALU_DEP_1)
	v_fma_mix_f32 v8, v38, v9, v8 op_sel_hi:[1,1,0]
	v_fma_mix_f32 v8, v36, v9, v8 op_sel:[0,1,0] op_sel_hi:[1,1,0]
	s_delay_alu instid0(VALU_DEP_1) | instskip(NEXT) | instid1(VALU_DEP_1)
	v_fma_mix_f32 v8, v37, v10, v8 op_sel_hi:[1,1,0]
	v_fma_mix_f32 v8, v39, v10, v8 op_sel:[0,1,0] op_sel_hi:[1,1,0]
	s_delay_alu instid0(VALU_DEP_1) | instskip(NEXT) | instid1(VALU_DEP_1)
	v_fma_mix_f32 v8, v41, v11, v8 op_sel_hi:[1,1,0]
	v_fma_mix_f32 v8, v44, v11, v8 op_sel:[0,1,0] op_sel_hi:[1,1,0]
	s_delay_alu instid0(VALU_DEP_1) | instskip(NEXT) | instid1(VALU_DEP_1)
	v_fma_mixlo_f16 v8, v8, v19, 0 op_sel:[0,1,0] op_sel_hi:[0,1,0]
	v_add_f16_e32 v71, v71, v8
	ds_load_b128 v[8:11], v27 offset:528
	s_wait_dscnt 0x0
	;; [unrolled: 60-line block ×5, first 2 shown]
	v_fma_mix_f32 v47, v47, v8, 0 op_sel_hi:[1,1,0]
	s_delay_alu instid0(VALU_DEP_1) | instskip(NEXT) | instid1(VALU_DEP_1)
	v_fma_mix_f32 v47, v50, v8, v47 op_sel:[0,1,0] op_sel_hi:[1,1,0]
	v_fma_mix_f32 v47, v53, v9, v47 op_sel_hi:[1,1,0]
	s_delay_alu instid0(VALU_DEP_1) | instskip(NEXT) | instid1(VALU_DEP_1)
	v_fma_mix_f32 v47, v56, v9, v47 op_sel:[0,1,0] op_sel_hi:[1,1,0]
	;; [unrolled: 3-line block ×4, first 2 shown]
	v_fma_mixlo_f16 v47, v47, v18, 0 op_sel_hi:[0,1,0]
	s_delay_alu instid0(VALU_DEP_1) | instskip(SKIP_1) | instid1(VALU_DEP_1)
	v_add_f16_e32 v47, v21, v47
	v_fma_mix_f32 v21, v45, v8, 0 op_sel_hi:[1,1,0]
	v_fma_mix_f32 v21, v48, v8, v21 op_sel:[0,1,0] op_sel_hi:[1,1,0]
	s_delay_alu instid0(VALU_DEP_1) | instskip(NEXT) | instid1(VALU_DEP_1)
	v_fma_mix_f32 v21, v51, v9, v21 op_sel_hi:[1,1,0]
	v_fma_mix_f32 v21, v54, v9, v21 op_sel:[0,1,0] op_sel_hi:[1,1,0]
	s_delay_alu instid0(VALU_DEP_1) | instskip(NEXT) | instid1(VALU_DEP_1)
	;; [unrolled: 3-line block ×4, first 2 shown]
	v_fma_mixlo_f16 v21, v21, v18, 0 op_sel:[0,1,0] op_sel_hi:[0,1,0]
	v_add_f16_e32 v45, v20, v21
	v_fma_mix_f32 v20, v42, v8, 0 op_sel_hi:[1,1,0]
	s_delay_alu instid0(VALU_DEP_1) | instskip(NEXT) | instid1(VALU_DEP_1)
	v_fma_mix_f32 v20, v46, v8, v20 op_sel:[0,1,0] op_sel_hi:[1,1,0]
	v_fma_mix_f32 v20, v49, v9, v20 op_sel_hi:[1,1,0]
	s_delay_alu instid0(VALU_DEP_1) | instskip(NEXT) | instid1(VALU_DEP_1)
	v_fma_mix_f32 v20, v52, v9, v20 op_sel:[0,1,0] op_sel_hi:[1,1,0]
	;; [unrolled: 3-line block ×4, first 2 shown]
	v_fma_mixlo_f16 v20, v20, v19, 0 op_sel_hi:[0,1,0]
	s_delay_alu instid0(VALU_DEP_1) | instskip(SKIP_1) | instid1(VALU_DEP_1)
	v_add_f16_e32 v42, v15, v20
	v_fma_mix_f32 v15, v40, v8, 0 op_sel_hi:[1,1,0]
	v_fma_mix_f32 v8, v43, v8, v15 op_sel:[0,1,0] op_sel_hi:[1,1,0]
	s_delay_alu instid0(VALU_DEP_1) | instskip(NEXT) | instid1(VALU_DEP_1)
	v_fma_mix_f32 v8, v38, v9, v8 op_sel_hi:[1,1,0]
	v_fma_mix_f32 v8, v36, v9, v8 op_sel:[0,1,0] op_sel_hi:[1,1,0]
	s_delay_alu instid0(VALU_DEP_1) | instskip(NEXT) | instid1(VALU_DEP_1)
	;; [unrolled: 3-line block ×4, first 2 shown]
	v_fma_mixlo_f16 v8, v8, v19, 0 op_sel:[0,1,0] op_sel_hi:[0,1,0]
	v_add_f16_e32 v36, v14, v8
	v_add_nc_u64_e32 v[8:9], s[6:7], v[12:13]
	s_delay_alu instid0(VALU_DEP_1)
	v_add_nc_u64_e32 v[20:21], s[6:7], v[8:9]
	s_clause 0x1
	global_load_b128 v[12:15], v[8:9], off
	global_load_b128 v[8:11], v[20:21], off
	s_wait_loadcnt 0x1
	v_and_b32_e32 v37, 0xff, v12
	v_bfe_u32 v38, v12, 8, 8
	v_bfe_u32 v39, v12, 16, 8
	v_lshrrev_b32_e32 v12, 24, v12
	v_and_b32_e32 v44, 0xff, v13
	v_sub_nc_u32_e32 v37, v37, v31
	s_wait_loadcnt 0x0
	v_and_b32_e32 v55, 0xff, v10
	v_dual_sub_nc_u32 v38, v38, v31 :: v_dual_sub_nc_u32 v39, v39, v31
	v_sub_nc_u32_e32 v12, v12, v31
	v_cvt_f32_i32_e32 v37, v37
	s_delay_alu instid0(VALU_DEP_4) | instskip(NEXT) | instid1(VALU_DEP_4)
	v_sub_nc_u32_e32 v55, v55, v29
	v_cvt_f32_i32_e32 v38, v38
	v_cvt_f32_i32_e32 v39, v39
	v_and_b32_e32 v40, 0xff, v8
	v_cvt_f16_f32_e32 v37, v37
	v_cvt_f32_i32_e32 v55, v55
	v_cvt_f16_f32_e32 v38, v38
	v_cvt_f16_f32_e32 v39, v39
	v_cvt_f32_i32_e32 v12, v12
	v_sub_nc_u32_e32 v40, v40, v31
	v_cvt_f16_f32_e32 v85, v55
	v_bfe_u32 v55, v10, 8, 8
	v_bfe_u32 v41, v8, 8, 8
	v_cvt_f16_f32_e32 v12, v12
	v_cvt_f32_i32_e32 v40, v40
	v_bfe_u32 v43, v8, 16, 8
	s_delay_alu instid0(VALU_DEP_4) | instskip(SKIP_1) | instid1(VALU_DEP_4)
	v_dual_sub_nc_u32 v55, v55, v29 :: v_dual_sub_nc_u32 v41, v41, v31
	v_lshrrev_b32_e32 v8, 24, v8
	v_cvt_f16_f32_e32 v40, v40
	s_delay_alu instid0(VALU_DEP_4) | instskip(NEXT) | instid1(VALU_DEP_4)
	v_sub_nc_u32_e32 v43, v43, v31
	v_cvt_f32_i32_e32 v55, v55
	v_cvt_f32_i32_e32 v41, v41
	v_sub_nc_u32_e32 v8, v8, v31
	v_sub_nc_u32_e32 v44, v44, v30
	v_cvt_f32_i32_e32 v43, v43
	v_cvt_f16_f32_e32 v86, v55
	v_bfe_u32 v55, v10, 16, 8
	v_lshrrev_b32_e32 v10, 24, v10
	v_cvt_f16_f32_e32 v41, v41
	v_cvt_f16_f32_e32 v43, v43
	v_cvt_f32_i32_e32 v8, v8
	v_bfe_u32 v46, v13, 8, 8
	v_sub_nc_u32_e32 v10, v10, v29
	v_cvt_f32_i32_e32 v44, v44
	v_bfe_u32 v48, v13, 16, 8
	v_cvt_f16_f32_e32 v8, v8
	v_sub_nc_u32_e32 v46, v46, v30
	v_cvt_f32_i32_e32 v10, v10
	v_cvt_f16_f32_e32 v44, v44
	v_dual_sub_nc_u32 v48, v48, v30 :: v_dual_lshrrev_b32 v13, 24, v13
	s_delay_alu instid0(VALU_DEP_4) | instskip(NEXT) | instid1(VALU_DEP_4)
	v_cvt_f32_i32_e32 v46, v46
	v_cvt_f16_f32_e32 v88, v10
	v_and_b32_e32 v10, 0xff, v15
	s_delay_alu instid0(VALU_DEP_4)
	v_cvt_f32_i32_e32 v48, v48
	v_sub_nc_u32_e32 v13, v13, v30
	v_cvt_f16_f32_e32 v46, v46
	v_and_b32_e32 v49, 0xff, v9
	v_sub_nc_u32_e32 v10, v10, v28
	v_cvt_f16_f32_e32 v48, v48
	v_cvt_f32_i32_e32 v13, v13
	v_bfe_u32 v50, v9, 8, 8
	v_sub_nc_u32_e32 v49, v49, v30
	v_cvt_f32_i32_e32 v10, v10
	v_bfe_u32 v51, v9, 16, 8
	v_cvt_f16_f32_e32 v13, v13
	v_sub_nc_u32_e32 v50, v50, v30
	v_cvt_f32_i32_e32 v49, v49
	v_cvt_f16_f32_e32 v89, v10
	v_bfe_u32 v10, v15, 8, 8
	v_sub_nc_u32_e32 v51, v51, v30
	v_cvt_f32_i32_e32 v50, v50
	v_cvt_f16_f32_e32 v49, v49
	s_delay_alu instid0(VALU_DEP_4) | instskip(NEXT) | instid1(VALU_DEP_4)
	v_dual_lshrrev_b32 v9, 24, v9 :: v_dual_sub_nc_u32 v10, v10, v28
	v_cvt_f32_i32_e32 v51, v51
	s_delay_alu instid0(VALU_DEP_4) | instskip(SKIP_1) | instid1(VALU_DEP_4)
	v_cvt_f16_f32_e32 v50, v50
	v_and_b32_e32 v52, 0xff, v14
	v_sub_nc_u32_e32 v9, v9, v30
	v_cvt_f32_i32_e32 v10, v10
	v_cvt_f16_f32_e32 v51, v51
	v_bfe_u32 v53, v14, 8, 8
	v_sub_nc_u32_e32 v52, v52, v29
	v_cvt_f32_i32_e32 v9, v9
	v_cvt_f16_f32_e32 v90, v10
	v_bfe_u32 v10, v15, 16, 8
	;; [unrolled: 4-line block ×3, first 2 shown]
	v_sub_nc_u32_e32 v10, v10, v28
	v_cvt_f32_i32_e32 v53, v53
	v_cvt_f16_f32_e32 v52, v52
	s_delay_alu instid0(VALU_DEP_4) | instskip(NEXT) | instid1(VALU_DEP_4)
	v_dual_lshrrev_b32 v14, 24, v14 :: v_dual_sub_nc_u32 v54, v54, v29
	v_cvt_f32_i32_e32 v10, v10
	s_delay_alu instid0(VALU_DEP_4) | instskip(NEXT) | instid1(VALU_DEP_3)
	v_cvt_f16_f32_e32 v53, v53
	v_dual_sub_nc_u32 v55, v55, v29 :: v_dual_sub_nc_u32 v14, v14, v29
	s_delay_alu instid0(VALU_DEP_4) | instskip(NEXT) | instid1(VALU_DEP_4)
	v_cvt_f32_i32_e32 v54, v54
	v_cvt_f16_f32_e32 v91, v10
	v_lshrrev_b32_e32 v10, 24, v15
	s_delay_alu instid0(VALU_DEP_4) | instskip(SKIP_2) | instid1(VALU_DEP_4)
	v_cvt_f32_i32_e32 v55, v55
	v_cvt_f32_i32_e32 v14, v14
	v_cvt_f16_f32_e32 v54, v54
	v_sub_nc_u32_e32 v10, v10, v28
	s_delay_alu instid0(VALU_DEP_4) | instskip(NEXT) | instid1(VALU_DEP_4)
	v_cvt_f16_f32_e32 v87, v55
	v_cvt_f16_f32_e32 v14, v14
	s_delay_alu instid0(VALU_DEP_3) | instskip(NEXT) | instid1(VALU_DEP_1)
	v_cvt_f32_i32_e32 v10, v10
	v_cvt_f16_f32_e32 v15, v10
	v_and_b32_e32 v10, 0xff, v11
	s_delay_alu instid0(VALU_DEP_1) | instskip(NEXT) | instid1(VALU_DEP_1)
	v_sub_nc_u32_e32 v10, v10, v28
	v_cvt_f32_i32_e32 v10, v10
	s_delay_alu instid0(VALU_DEP_1) | instskip(SKIP_1) | instid1(VALU_DEP_1)
	v_cvt_f16_f32_e32 v92, v10
	v_bfe_u32 v10, v11, 8, 8
	v_sub_nc_u32_e32 v10, v10, v28
	s_delay_alu instid0(VALU_DEP_1) | instskip(NEXT) | instid1(VALU_DEP_1)
	v_cvt_f32_i32_e32 v10, v10
	v_cvt_f16_f32_e32 v93, v10
	v_bfe_u32 v10, v11, 16, 8
	s_delay_alu instid0(VALU_DEP_1) | instskip(NEXT) | instid1(VALU_DEP_1)
	v_sub_nc_u32_e32 v10, v10, v28
	v_cvt_f32_i32_e32 v10, v10
	s_delay_alu instid0(VALU_DEP_1) | instskip(SKIP_1) | instid1(VALU_DEP_1)
	v_cvt_f16_f32_e32 v94, v10
	v_lshrrev_b32_e32 v10, 24, v11
	v_sub_nc_u32_e32 v10, v10, v28
	s_delay_alu instid0(VALU_DEP_1) | instskip(NEXT) | instid1(VALU_DEP_1)
	v_cvt_f32_i32_e32 v10, v10
	v_cvt_f16_f32_e32 v11, v10
	v_fma_mix_f32 v10, v37, v4, 0 op_sel_hi:[1,1,0]
	s_delay_alu instid0(VALU_DEP_1) | instskip(NEXT) | instid1(VALU_DEP_1)
	v_fma_mix_f32 v10, v38, v4, v10 op_sel:[0,1,0] op_sel_hi:[1,1,0]
	v_fma_mix_f32 v10, v39, v5, v10 op_sel_hi:[1,1,0]
	s_delay_alu instid0(VALU_DEP_1) | instskip(NEXT) | instid1(VALU_DEP_1)
	v_fma_mix_f32 v10, v12, v5, v10 op_sel:[0,1,0] op_sel_hi:[1,1,0]
	;; [unrolled: 3-line block ×4, first 2 shown]
	v_fma_mixlo_f16 v10, v10, v18, 0 op_sel_hi:[0,1,0]
	s_delay_alu instid0(VALU_DEP_1) | instskip(SKIP_1) | instid1(VALU_DEP_1)
	v_add_f16_e32 v95, v35, v10
	v_fma_mix_f32 v10, v44, v4, 0 op_sel_hi:[1,1,0]
	v_fma_mix_f32 v10, v46, v4, v10 op_sel:[0,1,0] op_sel_hi:[1,1,0]
	s_delay_alu instid0(VALU_DEP_1) | instskip(NEXT) | instid1(VALU_DEP_1)
	v_fma_mix_f32 v10, v48, v5, v10 op_sel_hi:[1,1,0]
	v_fma_mix_f32 v10, v13, v5, v10 op_sel:[0,1,0] op_sel_hi:[1,1,0]
	s_delay_alu instid0(VALU_DEP_1) | instskip(NEXT) | instid1(VALU_DEP_1)
	v_fma_mix_f32 v10, v49, v6, v10 op_sel_hi:[1,1,0]
	v_fma_mix_f32 v10, v50, v6, v10 op_sel:[0,1,0] op_sel_hi:[1,1,0]
	s_delay_alu instid0(VALU_DEP_1) | instskip(NEXT) | instid1(VALU_DEP_1)
	v_fma_mix_f32 v10, v51, v7, v10 op_sel_hi:[1,1,0]
	v_fma_mix_f32 v10, v9, v7, v10 op_sel:[0,1,0] op_sel_hi:[1,1,0]
	s_delay_alu instid0(VALU_DEP_1) | instskip(NEXT) | instid1(VALU_DEP_1)
	v_fma_mixlo_f16 v10, v10, v18, 0 op_sel:[0,1,0] op_sel_hi:[0,1,0]
	v_add_f16_e32 v96, v34, v10
	v_fma_mix_f32 v10, v52, v4, 0 op_sel_hi:[1,1,0]
	s_delay_alu instid0(VALU_DEP_1) | instskip(NEXT) | instid1(VALU_DEP_1)
	v_fma_mix_f32 v10, v53, v4, v10 op_sel:[0,1,0] op_sel_hi:[1,1,0]
	v_fma_mix_f32 v10, v54, v5, v10 op_sel_hi:[1,1,0]
	s_delay_alu instid0(VALU_DEP_1) | instskip(NEXT) | instid1(VALU_DEP_1)
	v_fma_mix_f32 v10, v14, v5, v10 op_sel:[0,1,0] op_sel_hi:[1,1,0]
	;; [unrolled: 3-line block ×4, first 2 shown]
	v_fma_mixlo_f16 v10, v10, v19, 0 op_sel_hi:[0,1,0]
	s_delay_alu instid0(VALU_DEP_1) | instskip(SKIP_1) | instid1(VALU_DEP_1)
	v_add_f16_e32 v97, v33, v10
	v_fma_mix_f32 v10, v89, v4, 0 op_sel_hi:[1,1,0]
	v_fma_mix_f32 v4, v90, v4, v10 op_sel:[0,1,0] op_sel_hi:[1,1,0]
	s_delay_alu instid0(VALU_DEP_1) | instskip(NEXT) | instid1(VALU_DEP_1)
	v_fma_mix_f32 v4, v91, v5, v4 op_sel_hi:[1,1,0]
	v_fma_mix_f32 v4, v15, v5, v4 op_sel:[0,1,0] op_sel_hi:[1,1,0]
	s_delay_alu instid0(VALU_DEP_1) | instskip(NEXT) | instid1(VALU_DEP_1)
	;; [unrolled: 3-line block ×4, first 2 shown]
	v_fma_mixlo_f16 v4, v4, v19, 0 op_sel:[0,1,0] op_sel_hi:[0,1,0]
	v_add_f16_e32 v98, v32, v4
	ds_load_b128 v[4:7], v27 offset:288
	s_wait_dscnt 0x0
	v_fma_mix_f32 v10, v37, v4, 0 op_sel_hi:[1,1,0]
	s_delay_alu instid0(VALU_DEP_1) | instskip(NEXT) | instid1(VALU_DEP_1)
	v_fma_mix_f32 v10, v38, v4, v10 op_sel:[0,1,0] op_sel_hi:[1,1,0]
	v_fma_mix_f32 v10, v39, v5, v10 op_sel_hi:[1,1,0]
	s_delay_alu instid0(VALU_DEP_1) | instskip(NEXT) | instid1(VALU_DEP_1)
	v_fma_mix_f32 v10, v12, v5, v10 op_sel:[0,1,0] op_sel_hi:[1,1,0]
	;; [unrolled: 3-line block ×4, first 2 shown]
	v_fma_mixlo_f16 v10, v10, v18, 0 op_sel_hi:[0,1,0]
	s_delay_alu instid0(VALU_DEP_1) | instskip(SKIP_1) | instid1(VALU_DEP_1)
	v_add_f16_e32 v56, v68, v10
	v_fma_mix_f32 v10, v44, v4, 0 op_sel_hi:[1,1,0]
	v_fma_mix_f32 v10, v46, v4, v10 op_sel:[0,1,0] op_sel_hi:[1,1,0]
	s_delay_alu instid0(VALU_DEP_1) | instskip(NEXT) | instid1(VALU_DEP_1)
	v_fma_mix_f32 v10, v48, v5, v10 op_sel_hi:[1,1,0]
	v_fma_mix_f32 v10, v13, v5, v10 op_sel:[0,1,0] op_sel_hi:[1,1,0]
	s_delay_alu instid0(VALU_DEP_1) | instskip(NEXT) | instid1(VALU_DEP_1)
	;; [unrolled: 3-line block ×4, first 2 shown]
	v_fma_mixlo_f16 v10, v10, v18, 0 op_sel:[0,1,0] op_sel_hi:[0,1,0]
	v_add_f16_e32 v84, v69, v10
	v_fma_mix_f32 v10, v52, v4, 0 op_sel_hi:[1,1,0]
	s_delay_alu instid0(VALU_DEP_1) | instskip(NEXT) | instid1(VALU_DEP_1)
	v_fma_mix_f32 v10, v53, v4, v10 op_sel:[0,1,0] op_sel_hi:[1,1,0]
	v_fma_mix_f32 v10, v54, v5, v10 op_sel_hi:[1,1,0]
	s_delay_alu instid0(VALU_DEP_1) | instskip(NEXT) | instid1(VALU_DEP_1)
	v_fma_mix_f32 v10, v14, v5, v10 op_sel:[0,1,0] op_sel_hi:[1,1,0]
	v_fma_mix_f32 v10, v85, v6, v10 op_sel_hi:[1,1,0]
	s_delay_alu instid0(VALU_DEP_1) | instskip(NEXT) | instid1(VALU_DEP_1)
	v_fma_mix_f32 v10, v86, v6, v10 op_sel:[0,1,0] op_sel_hi:[1,1,0]
	v_fma_mix_f32 v10, v87, v7, v10 op_sel_hi:[1,1,0]
	s_delay_alu instid0(VALU_DEP_1) | instskip(NEXT) | instid1(VALU_DEP_1)
	v_fma_mix_f32 v10, v88, v7, v10 op_sel:[0,1,0] op_sel_hi:[1,1,0]
	v_fma_mixlo_f16 v10, v10, v19, 0 op_sel_hi:[0,1,0]
	s_delay_alu instid0(VALU_DEP_1) | instskip(SKIP_1) | instid1(VALU_DEP_1)
	v_add_f16_e32 v55, v70, v10
	v_fma_mix_f32 v10, v89, v4, 0 op_sel_hi:[1,1,0]
	v_fma_mix_f32 v4, v90, v4, v10 op_sel:[0,1,0] op_sel_hi:[1,1,0]
	s_delay_alu instid0(VALU_DEP_1) | instskip(NEXT) | instid1(VALU_DEP_1)
	v_fma_mix_f32 v4, v91, v5, v4 op_sel_hi:[1,1,0]
	v_fma_mix_f32 v4, v15, v5, v4 op_sel:[0,1,0] op_sel_hi:[1,1,0]
	s_delay_alu instid0(VALU_DEP_1) | instskip(NEXT) | instid1(VALU_DEP_1)
	;; [unrolled: 3-line block ×4, first 2 shown]
	v_fma_mixlo_f16 v4, v4, v19, 0 op_sel:[0,1,0] op_sel_hi:[0,1,0]
	v_add_f16_e32 v69, v71, v4
	ds_load_b128 v[4:7], v27 offset:544
	s_wait_dscnt 0x0
	v_fma_mix_f32 v10, v37, v4, 0 op_sel_hi:[1,1,0]
	s_delay_alu instid0(VALU_DEP_1) | instskip(NEXT) | instid1(VALU_DEP_1)
	v_fma_mix_f32 v10, v38, v4, v10 op_sel:[0,1,0] op_sel_hi:[1,1,0]
	v_fma_mix_f32 v10, v39, v5, v10 op_sel_hi:[1,1,0]
	s_delay_alu instid0(VALU_DEP_1) | instskip(NEXT) | instid1(VALU_DEP_1)
	v_fma_mix_f32 v10, v12, v5, v10 op_sel:[0,1,0] op_sel_hi:[1,1,0]
	;; [unrolled: 3-line block ×4, first 2 shown]
	v_fma_mixlo_f16 v10, v10, v18, 0 op_sel_hi:[0,1,0]
	s_delay_alu instid0(VALU_DEP_1) | instskip(SKIP_1) | instid1(VALU_DEP_1)
	v_add_f16_e32 v58, v72, v10
	v_fma_mix_f32 v10, v44, v4, 0 op_sel_hi:[1,1,0]
	v_fma_mix_f32 v10, v46, v4, v10 op_sel:[0,1,0] op_sel_hi:[1,1,0]
	s_delay_alu instid0(VALU_DEP_1) | instskip(NEXT) | instid1(VALU_DEP_1)
	v_fma_mix_f32 v10, v48, v5, v10 op_sel_hi:[1,1,0]
	v_fma_mix_f32 v10, v13, v5, v10 op_sel:[0,1,0] op_sel_hi:[1,1,0]
	s_delay_alu instid0(VALU_DEP_1) | instskip(NEXT) | instid1(VALU_DEP_1)
	;; [unrolled: 3-line block ×4, first 2 shown]
	v_fma_mixlo_f16 v10, v10, v18, 0 op_sel:[0,1,0] op_sel_hi:[0,1,0]
	v_add_f16_e32 v68, v73, v10
	v_fma_mix_f32 v10, v52, v4, 0 op_sel_hi:[1,1,0]
	ds_load_b128 v[70:73], v27 offset:1312
	v_fma_mix_f32 v10, v53, v4, v10 op_sel:[0,1,0] op_sel_hi:[1,1,0]
	s_delay_alu instid0(VALU_DEP_1) | instskip(NEXT) | instid1(VALU_DEP_1)
	v_fma_mix_f32 v10, v54, v5, v10 op_sel_hi:[1,1,0]
	v_fma_mix_f32 v10, v14, v5, v10 op_sel:[0,1,0] op_sel_hi:[1,1,0]
	s_delay_alu instid0(VALU_DEP_1) | instskip(NEXT) | instid1(VALU_DEP_1)
	v_fma_mix_f32 v10, v85, v6, v10 op_sel_hi:[1,1,0]
	;; [unrolled: 3-line block ×3, first 2 shown]
	v_fma_mix_f32 v10, v88, v7, v10 op_sel:[0,1,0] op_sel_hi:[1,1,0]
	s_delay_alu instid0(VALU_DEP_1) | instskip(NEXT) | instid1(VALU_DEP_1)
	v_fma_mixlo_f16 v10, v10, v19, 0 op_sel_hi:[0,1,0]
	v_add_f16_e32 v57, v74, v10
	v_fma_mix_f32 v10, v89, v4, 0 op_sel_hi:[1,1,0]
	s_delay_alu instid0(VALU_DEP_1) | instskip(NEXT) | instid1(VALU_DEP_1)
	v_fma_mix_f32 v4, v90, v4, v10 op_sel:[0,1,0] op_sel_hi:[1,1,0]
	v_fma_mix_f32 v4, v91, v5, v4 op_sel_hi:[1,1,0]
	s_delay_alu instid0(VALU_DEP_1) | instskip(NEXT) | instid1(VALU_DEP_1)
	v_fma_mix_f32 v4, v15, v5, v4 op_sel:[0,1,0] op_sel_hi:[1,1,0]
	;; [unrolled: 3-line block ×4, first 2 shown]
	v_fma_mixlo_f16 v4, v4, v19, 0 op_sel:[0,1,0] op_sel_hi:[0,1,0]
	s_delay_alu instid0(VALU_DEP_1) | instskip(SKIP_3) | instid1(VALU_DEP_1)
	v_add_f16_e32 v67, v75, v4
	ds_load_b128 v[4:7], v27 offset:800
	s_wait_dscnt 0x0
	v_fma_mix_f32 v10, v37, v4, 0 op_sel_hi:[1,1,0]
	v_fma_mix_f32 v10, v38, v4, v10 op_sel:[0,1,0] op_sel_hi:[1,1,0]
	s_delay_alu instid0(VALU_DEP_1) | instskip(NEXT) | instid1(VALU_DEP_1)
	v_fma_mix_f32 v10, v39, v5, v10 op_sel_hi:[1,1,0]
	v_fma_mix_f32 v10, v12, v5, v10 op_sel:[0,1,0] op_sel_hi:[1,1,0]
	s_delay_alu instid0(VALU_DEP_1) | instskip(NEXT) | instid1(VALU_DEP_1)
	;; [unrolled: 3-line block ×4, first 2 shown]
	v_fma_mixlo_f16 v10, v10, v18, 0 op_sel_hi:[0,1,0]
	v_add_f16_e32 v60, v80, v10
	v_fma_mix_f32 v10, v44, v4, 0 op_sel_hi:[1,1,0]
	s_delay_alu instid0(VALU_DEP_1) | instskip(NEXT) | instid1(VALU_DEP_1)
	v_fma_mix_f32 v10, v46, v4, v10 op_sel:[0,1,0] op_sel_hi:[1,1,0]
	v_fma_mix_f32 v10, v48, v5, v10 op_sel_hi:[1,1,0]
	s_delay_alu instid0(VALU_DEP_1) | instskip(NEXT) | instid1(VALU_DEP_1)
	v_fma_mix_f32 v10, v13, v5, v10 op_sel:[0,1,0] op_sel_hi:[1,1,0]
	v_fma_mix_f32 v10, v49, v6, v10 op_sel_hi:[1,1,0]
	s_delay_alu instid0(VALU_DEP_1) | instskip(NEXT) | instid1(VALU_DEP_1)
	v_fma_mix_f32 v10, v50, v6, v10 op_sel:[0,1,0] op_sel_hi:[1,1,0]
	v_fma_mix_f32 v10, v51, v7, v10 op_sel_hi:[1,1,0]
	s_delay_alu instid0(VALU_DEP_1) | instskip(NEXT) | instid1(VALU_DEP_1)
	v_fma_mix_f32 v10, v9, v7, v10 op_sel:[0,1,0] op_sel_hi:[1,1,0]
	v_fma_mixlo_f16 v10, v10, v18, 0 op_sel:[0,1,0] op_sel_hi:[0,1,0]
	s_delay_alu instid0(VALU_DEP_1) | instskip(SKIP_1) | instid1(VALU_DEP_1)
	v_add_f16_e32 v66, v81, v10
	v_fma_mix_f32 v10, v52, v4, 0 op_sel_hi:[1,1,0]
	v_fma_mix_f32 v10, v53, v4, v10 op_sel:[0,1,0] op_sel_hi:[1,1,0]
	s_delay_alu instid0(VALU_DEP_1) | instskip(NEXT) | instid1(VALU_DEP_1)
	v_fma_mix_f32 v10, v54, v5, v10 op_sel_hi:[1,1,0]
	v_fma_mix_f32 v10, v14, v5, v10 op_sel:[0,1,0] op_sel_hi:[1,1,0]
	s_delay_alu instid0(VALU_DEP_1) | instskip(NEXT) | instid1(VALU_DEP_1)
	;; [unrolled: 3-line block ×4, first 2 shown]
	v_fma_mixlo_f16 v10, v10, v19, 0 op_sel_hi:[0,1,0]
	v_add_f16_e32 v59, v82, v10
	v_fma_mix_f32 v10, v89, v4, 0 op_sel_hi:[1,1,0]
	s_delay_alu instid0(VALU_DEP_1) | instskip(NEXT) | instid1(VALU_DEP_1)
	v_fma_mix_f32 v4, v90, v4, v10 op_sel:[0,1,0] op_sel_hi:[1,1,0]
	v_fma_mix_f32 v4, v91, v5, v4 op_sel_hi:[1,1,0]
	s_delay_alu instid0(VALU_DEP_1) | instskip(NEXT) | instid1(VALU_DEP_1)
	v_fma_mix_f32 v4, v15, v5, v4 op_sel:[0,1,0] op_sel_hi:[1,1,0]
	;; [unrolled: 3-line block ×4, first 2 shown]
	v_fma_mixlo_f16 v4, v4, v19, 0 op_sel:[0,1,0] op_sel_hi:[0,1,0]
	s_delay_alu instid0(VALU_DEP_1) | instskip(SKIP_3) | instid1(VALU_DEP_1)
	v_add_f16_e32 v65, v83, v4
	ds_load_b128 v[4:7], v27 offset:1056
	s_wait_dscnt 0x0
	v_fma_mix_f32 v10, v37, v4, 0 op_sel_hi:[1,1,0]
	v_fma_mix_f32 v10, v38, v4, v10 op_sel:[0,1,0] op_sel_hi:[1,1,0]
	s_delay_alu instid0(VALU_DEP_1) | instskip(NEXT) | instid1(VALU_DEP_1)
	v_fma_mix_f32 v10, v39, v5, v10 op_sel_hi:[1,1,0]
	v_fma_mix_f32 v10, v12, v5, v10 op_sel:[0,1,0] op_sel_hi:[1,1,0]
	s_delay_alu instid0(VALU_DEP_1) | instskip(NEXT) | instid1(VALU_DEP_1)
	v_fma_mix_f32 v10, v40, v6, v10 op_sel_hi:[1,1,0]
	v_fma_mix_f32 v10, v41, v6, v10 op_sel:[0,1,0] op_sel_hi:[1,1,0]
	s_delay_alu instid0(VALU_DEP_1) | instskip(NEXT) | instid1(VALU_DEP_1)
	v_fma_mix_f32 v10, v43, v7, v10 op_sel_hi:[1,1,0]
	v_fma_mix_f32 v10, v8, v7, v10 op_sel:[0,1,0] op_sel_hi:[1,1,0]
	s_delay_alu instid0(VALU_DEP_1) | instskip(NEXT) | instid1(VALU_DEP_1)
	v_fma_mixlo_f16 v10, v10, v18, 0 op_sel_hi:[0,1,0]
	v_add_f16_e32 v62, v76, v10
	v_fma_mix_f32 v10, v44, v4, 0 op_sel_hi:[1,1,0]
	s_delay_alu instid0(VALU_DEP_1) | instskip(NEXT) | instid1(VALU_DEP_1)
	v_fma_mix_f32 v10, v46, v4, v10 op_sel:[0,1,0] op_sel_hi:[1,1,0]
	v_fma_mix_f32 v10, v48, v5, v10 op_sel_hi:[1,1,0]
	s_delay_alu instid0(VALU_DEP_1) | instskip(NEXT) | instid1(VALU_DEP_1)
	v_fma_mix_f32 v10, v13, v5, v10 op_sel:[0,1,0] op_sel_hi:[1,1,0]
	v_fma_mix_f32 v10, v49, v6, v10 op_sel_hi:[1,1,0]
	s_delay_alu instid0(VALU_DEP_1) | instskip(NEXT) | instid1(VALU_DEP_1)
	v_fma_mix_f32 v10, v50, v6, v10 op_sel:[0,1,0] op_sel_hi:[1,1,0]
	v_fma_mix_f32 v10, v51, v7, v10 op_sel_hi:[1,1,0]
	s_delay_alu instid0(VALU_DEP_1) | instskip(NEXT) | instid1(VALU_DEP_1)
	v_fma_mix_f32 v10, v9, v7, v10 op_sel:[0,1,0] op_sel_hi:[1,1,0]
	v_fma_mixlo_f16 v10, v10, v18, 0 op_sel:[0,1,0] op_sel_hi:[0,1,0]
	s_delay_alu instid0(VALU_DEP_1) | instskip(SKIP_1) | instid1(VALU_DEP_1)
	v_add_f16_e32 v64, v77, v10
	v_fma_mix_f32 v10, v52, v4, 0 op_sel_hi:[1,1,0]
	v_fma_mix_f32 v10, v53, v4, v10 op_sel:[0,1,0] op_sel_hi:[1,1,0]
	s_delay_alu instid0(VALU_DEP_1) | instskip(NEXT) | instid1(VALU_DEP_1)
	v_fma_mix_f32 v10, v54, v5, v10 op_sel_hi:[1,1,0]
	v_fma_mix_f32 v10, v14, v5, v10 op_sel:[0,1,0] op_sel_hi:[1,1,0]
	s_delay_alu instid0(VALU_DEP_1) | instskip(NEXT) | instid1(VALU_DEP_1)
	v_fma_mix_f32 v10, v85, v6, v10 op_sel_hi:[1,1,0]
	v_fma_mix_f32 v10, v86, v6, v10 op_sel:[0,1,0] op_sel_hi:[1,1,0]
	s_delay_alu instid0(VALU_DEP_1) | instskip(NEXT) | instid1(VALU_DEP_1)
	v_fma_mix_f32 v10, v87, v7, v10 op_sel_hi:[1,1,0]
	v_fma_mix_f32 v10, v88, v7, v10 op_sel:[0,1,0] op_sel_hi:[1,1,0]
	s_delay_alu instid0(VALU_DEP_1) | instskip(NEXT) | instid1(VALU_DEP_1)
	v_fma_mixlo_f16 v10, v10, v19, 0 op_sel_hi:[0,1,0]
	v_add_f16_e32 v61, v78, v10
	v_fma_mix_f32 v10, v89, v4, 0 op_sel_hi:[1,1,0]
	s_delay_alu instid0(VALU_DEP_1) | instskip(NEXT) | instid1(VALU_DEP_1)
	v_fma_mix_f32 v4, v90, v4, v10 op_sel:[0,1,0] op_sel_hi:[1,1,0]
	v_fma_mix_f32 v4, v91, v5, v4 op_sel_hi:[1,1,0]
	s_delay_alu instid0(VALU_DEP_1) | instskip(NEXT) | instid1(VALU_DEP_1)
	v_fma_mix_f32 v4, v15, v5, v4 op_sel:[0,1,0] op_sel_hi:[1,1,0]
	v_fma_mix_f32 v4, v92, v6, v4 op_sel_hi:[1,1,0]
	s_delay_alu instid0(VALU_DEP_1) | instskip(NEXT) | instid1(VALU_DEP_1)
	v_fma_mix_f32 v4, v93, v6, v4 op_sel:[0,1,0] op_sel_hi:[1,1,0]
	v_fma_mix_f32 v4, v94, v7, v4 op_sel_hi:[1,1,0]
	s_delay_alu instid0(VALU_DEP_1) | instskip(NEXT) | instid1(VALU_DEP_1)
	v_fma_mix_f32 v4, v11, v7, v4 op_sel:[0,1,0] op_sel_hi:[1,1,0]
	v_fma_mixlo_f16 v4, v4, v19, 0 op_sel:[0,1,0] op_sel_hi:[0,1,0]
	s_delay_alu instid0(VALU_DEP_1) | instskip(SKIP_1) | instid1(VALU_DEP_1)
	v_add_f16_e32 v63, v79, v4
	;; [unrolled: 29-line block ×3, first 2 shown]
	v_fma_mix_f32 v4, v52, v70, 0 op_sel_hi:[1,1,0]
	v_fma_mix_f32 v4, v53, v70, v4 op_sel:[0,1,0] op_sel_hi:[1,1,0]
	s_delay_alu instid0(VALU_DEP_1) | instskip(NEXT) | instid1(VALU_DEP_1)
	v_fma_mix_f32 v4, v54, v71, v4 op_sel_hi:[1,1,0]
	v_fma_mix_f32 v4, v14, v71, v4 op_sel:[0,1,0] op_sel_hi:[1,1,0]
	s_delay_alu instid0(VALU_DEP_1) | instskip(NEXT) | instid1(VALU_DEP_1)
	;; [unrolled: 3-line block ×4, first 2 shown]
	v_fma_mixlo_f16 v4, v4, v19, 0 op_sel_hi:[0,1,0]
	v_add_f16_e32 v7, v42, v4
	v_fma_mix_f32 v4, v89, v70, 0 op_sel_hi:[1,1,0]
	s_delay_alu instid0(VALU_DEP_1) | instskip(NEXT) | instid1(VALU_DEP_1)
	v_fma_mix_f32 v4, v90, v70, v4 op_sel:[0,1,0] op_sel_hi:[1,1,0]
	v_fma_mix_f32 v4, v91, v71, v4 op_sel_hi:[1,1,0]
	s_delay_alu instid0(VALU_DEP_1) | instskip(NEXT) | instid1(VALU_DEP_1)
	v_fma_mix_f32 v4, v15, v71, v4 op_sel:[0,1,0] op_sel_hi:[1,1,0]
	;; [unrolled: 3-line block ×4, first 2 shown]
	v_fma_mixlo_f16 v4, v4, v19, 0 op_sel:[0,1,0] op_sel_hi:[0,1,0]
	s_delay_alu instid0(VALU_DEP_1)
	v_add_f16_e32 v6, v36, v4
	v_add_nc_u64_e32 v[4:5], s[6:7], v[20:21]
	global_load_b128 v[12:15], v[4:5], off
	s_wait_xcnt 0x0
	v_add_nc_u64_e32 v[4:5], s[6:7], v[4:5]
	global_load_b128 v[70:73], v[4:5], off
	s_wait_loadcnt 0x1
	v_and_b32_e32 v8, 0xff, v12
	s_delay_alu instid0(VALU_DEP_1) | instskip(NEXT) | instid1(VALU_DEP_1)
	v_sub_nc_u32_e32 v8, v8, v31
	v_cvt_f32_i32_e32 v8, v8
	s_delay_alu instid0(VALU_DEP_1) | instskip(SKIP_1) | instid1(VALU_DEP_1)
	v_cvt_f16_f32_e32 v41, v8
	v_bfe_u32 v8, v12, 8, 8
	v_sub_nc_u32_e32 v8, v8, v31
	s_delay_alu instid0(VALU_DEP_1) | instskip(NEXT) | instid1(VALU_DEP_1)
	v_cvt_f32_i32_e32 v8, v8
	v_cvt_f16_f32_e32 v43, v8
	v_bfe_u32 v8, v12, 16, 8
	s_delay_alu instid0(VALU_DEP_1) | instskip(NEXT) | instid1(VALU_DEP_1)
	v_sub_nc_u32_e32 v8, v8, v31
	v_cvt_f32_i32_e32 v8, v8
	s_delay_alu instid0(VALU_DEP_1) | instskip(SKIP_1) | instid1(VALU_DEP_1)
	v_cvt_f16_f32_e32 v45, v8
	v_lshrrev_b32_e32 v8, 24, v12
	v_sub_nc_u32_e32 v8, v8, v31
	s_delay_alu instid0(VALU_DEP_1) | instskip(NEXT) | instid1(VALU_DEP_1)
	v_cvt_f32_i32_e32 v8, v8
	v_cvt_f16_f32_e32 v47, v8
	s_wait_loadcnt 0x0
	v_and_b32_e32 v8, 0xff, v70
	s_delay_alu instid0(VALU_DEP_1) | instskip(NEXT) | instid1(VALU_DEP_1)
	v_sub_nc_u32_e32 v8, v8, v31
	v_cvt_f32_i32_e32 v8, v8
	s_delay_alu instid0(VALU_DEP_1) | instskip(SKIP_1) | instid1(VALU_DEP_1)
	v_cvt_f16_f32_e32 v49, v8
	v_bfe_u32 v8, v70, 8, 8
	v_sub_nc_u32_e32 v8, v8, v31
	s_delay_alu instid0(VALU_DEP_1) | instskip(NEXT) | instid1(VALU_DEP_1)
	v_cvt_f32_i32_e32 v8, v8
	v_cvt_f16_f32_e32 v51, v8
	v_bfe_u32 v8, v70, 16, 8
	s_delay_alu instid0(VALU_DEP_1) | instskip(NEXT) | instid1(VALU_DEP_1)
	v_sub_nc_u32_e32 v8, v8, v31
	v_cvt_f32_i32_e32 v8, v8
	s_delay_alu instid0(VALU_DEP_1) | instskip(SKIP_1) | instid1(VALU_DEP_1)
	v_cvt_f16_f32_e32 v53, v8
	v_lshrrev_b32_e32 v8, 24, v70
	v_sub_nc_u32_e32 v8, v8, v31
	s_delay_alu instid0(VALU_DEP_1) | instskip(NEXT) | instid1(VALU_DEP_1)
	v_cvt_f32_i32_e32 v8, v8
	v_cvt_f16_f32_e32 v54, v8
	v_and_b32_e32 v8, 0xff, v13
	s_delay_alu instid0(VALU_DEP_1) | instskip(NEXT) | instid1(VALU_DEP_1)
	v_sub_nc_u32_e32 v8, v8, v30
	v_cvt_f32_i32_e32 v8, v8
	s_delay_alu instid0(VALU_DEP_1) | instskip(SKIP_1) | instid1(VALU_DEP_1)
	v_cvt_f16_f32_e32 v37, v8
	v_bfe_u32 v8, v13, 8, 8
	v_sub_nc_u32_e32 v8, v8, v30
	s_delay_alu instid0(VALU_DEP_1) | instskip(NEXT) | instid1(VALU_DEP_1)
	v_cvt_f32_i32_e32 v8, v8
	v_cvt_f16_f32_e32 v39, v8
	v_bfe_u32 v8, v13, 16, 8
	s_delay_alu instid0(VALU_DEP_1) | instskip(NEXT) | instid1(VALU_DEP_1)
	v_sub_nc_u32_e32 v8, v8, v30
	v_cvt_f32_i32_e32 v8, v8
	s_delay_alu instid0(VALU_DEP_1) | instskip(SKIP_1) | instid1(VALU_DEP_1)
	v_cvt_f16_f32_e32 v42, v8
	v_lshrrev_b32_e32 v8, 24, v13
	v_sub_nc_u32_e32 v8, v8, v30
	s_delay_alu instid0(VALU_DEP_1) | instskip(NEXT) | instid1(VALU_DEP_1)
	v_cvt_f32_i32_e32 v8, v8
	v_cvt_f16_f32_e32 v44, v8
	;; [unrolled: 22-line block ×3, first 2 shown]
	v_and_b32_e32 v8, 0xff, v14
	s_delay_alu instid0(VALU_DEP_1) | instskip(NEXT) | instid1(VALU_DEP_1)
	v_sub_nc_u32_e32 v8, v8, v29
	v_cvt_f32_i32_e32 v8, v8
	s_delay_alu instid0(VALU_DEP_1) | instskip(SKIP_1) | instid1(VALU_DEP_1)
	v_cvt_f16_f32_e32 v30, v8
	v_bfe_u32 v8, v14, 8, 8
	v_sub_nc_u32_e32 v8, v8, v29
	s_delay_alu instid0(VALU_DEP_1) | instskip(NEXT) | instid1(VALU_DEP_1)
	v_cvt_f32_i32_e32 v8, v8
	v_cvt_f16_f32_e32 v31, v8
	v_bfe_u32 v8, v14, 16, 8
	s_delay_alu instid0(VALU_DEP_1) | instskip(NEXT) | instid1(VALU_DEP_1)
	v_sub_nc_u32_e32 v8, v8, v29
	v_cvt_f32_i32_e32 v8, v8
	s_delay_alu instid0(VALU_DEP_1) | instskip(SKIP_2) | instid1(VALU_DEP_2)
	v_cvt_f16_f32_e32 v33, v8
	v_lshrrev_b32_e32 v8, 24, v14
	v_fma_mix_f32 v14, v41, v0, 0 op_sel_hi:[1,1,0]
	v_sub_nc_u32_e32 v8, v8, v29
	s_delay_alu instid0(VALU_DEP_2) | instskip(NEXT) | instid1(VALU_DEP_2)
	v_fma_mix_f32 v14, v43, v0, v14 op_sel:[0,1,0] op_sel_hi:[1,1,0]
	v_cvt_f32_i32_e32 v8, v8
	s_delay_alu instid0(VALU_DEP_2) | instskip(NEXT) | instid1(VALU_DEP_2)
	v_fma_mix_f32 v14, v45, v1, v14 op_sel_hi:[1,1,0]
	v_cvt_f16_f32_e32 v34, v8
	v_and_b32_e32 v8, 0xff, v72
	s_delay_alu instid0(VALU_DEP_3) | instskip(NEXT) | instid1(VALU_DEP_2)
	v_fma_mix_f32 v14, v47, v1, v14 op_sel:[0,1,0] op_sel_hi:[1,1,0]
	v_sub_nc_u32_e32 v8, v8, v29
	s_delay_alu instid0(VALU_DEP_2) | instskip(NEXT) | instid1(VALU_DEP_2)
	v_fma_mix_f32 v14, v49, v2, v14 op_sel_hi:[1,1,0]
	v_cvt_f32_i32_e32 v8, v8
	s_delay_alu instid0(VALU_DEP_2) | instskip(NEXT) | instid1(VALU_DEP_2)
	v_fma_mix_f32 v14, v51, v2, v14 op_sel:[0,1,0] op_sel_hi:[1,1,0]
	v_cvt_f16_f32_e32 v35, v8
	v_bfe_u32 v8, v72, 8, 8
	s_delay_alu instid0(VALU_DEP_3) | instskip(NEXT) | instid1(VALU_DEP_2)
	v_fma_mix_f32 v14, v53, v3, v14 op_sel_hi:[1,1,0]
	v_sub_nc_u32_e32 v8, v8, v29
	s_delay_alu instid0(VALU_DEP_2) | instskip(NEXT) | instid1(VALU_DEP_2)
	v_fma_mix_f32 v14, v54, v3, v14 op_sel:[0,1,0] op_sel_hi:[1,1,0]
	v_cvt_f32_i32_e32 v8, v8
	s_delay_alu instid0(VALU_DEP_2) | instskip(NEXT) | instid1(VALU_DEP_2)
	v_fma_mixlo_f16 v14, v14, v18, 0 op_sel_hi:[0,1,0]
	v_cvt_f16_f32_e32 v36, v8
	v_bfe_u32 v8, v72, 16, 8
	s_delay_alu instid0(VALU_DEP_3) | instskip(NEXT) | instid1(VALU_DEP_2)
	v_add_f16_e32 v14, v95, v14
	v_sub_nc_u32_e32 v8, v8, v29
	s_delay_alu instid0(VALU_DEP_1) | instskip(NEXT) | instid1(VALU_DEP_1)
	v_cvt_f32_i32_e32 v8, v8
	v_cvt_f16_f32_e32 v38, v8
	v_lshrrev_b32_e32 v8, 24, v72
	s_delay_alu instid0(VALU_DEP_1) | instskip(NEXT) | instid1(VALU_DEP_1)
	v_sub_nc_u32_e32 v8, v8, v29
	v_cvt_f32_i32_e32 v8, v8
	s_delay_alu instid0(VALU_DEP_1) | instskip(SKIP_1) | instid1(VALU_DEP_1)
	v_cvt_f16_f32_e32 v40, v8
	v_and_b32_e32 v8, 0xff, v15
	v_sub_nc_u32_e32 v8, v8, v28
	s_delay_alu instid0(VALU_DEP_1) | instskip(NEXT) | instid1(VALU_DEP_1)
	v_cvt_f32_i32_e32 v8, v8
	v_cvt_f16_f32_e32 v29, v8
	v_bfe_u32 v8, v15, 8, 8
	s_delay_alu instid0(VALU_DEP_1) | instskip(NEXT) | instid1(VALU_DEP_1)
	v_sub_nc_u32_e32 v8, v8, v28
	v_cvt_f32_i32_e32 v8, v8
	s_delay_alu instid0(VALU_DEP_1) | instskip(SKIP_1) | instid1(VALU_DEP_1)
	v_cvt_f16_f32_e32 v21, v8
	v_bfe_u32 v8, v15, 16, 8
	v_sub_nc_u32_e32 v8, v8, v28
	s_delay_alu instid0(VALU_DEP_1) | instskip(NEXT) | instid1(VALU_DEP_1)
	v_cvt_f32_i32_e32 v8, v8
	v_cvt_f16_f32_e32 v20, v8
	v_lshrrev_b32_e32 v8, 24, v15
	v_fma_mix_f32 v15, v37, v0, 0 op_sel_hi:[1,1,0]
	s_delay_alu instid0(VALU_DEP_2) | instskip(NEXT) | instid1(VALU_DEP_2)
	v_sub_nc_u32_e32 v8, v8, v28
	v_fma_mix_f32 v15, v39, v0, v15 op_sel:[0,1,0] op_sel_hi:[1,1,0]
	s_delay_alu instid0(VALU_DEP_2) | instskip(NEXT) | instid1(VALU_DEP_2)
	v_cvt_f32_i32_e32 v8, v8
	v_fma_mix_f32 v15, v42, v1, v15 op_sel_hi:[1,1,0]
	s_delay_alu instid0(VALU_DEP_2) | instskip(SKIP_1) | instid1(VALU_DEP_3)
	v_cvt_f16_f32_e32 v13, v8
	v_and_b32_e32 v8, 0xff, v73
	v_fma_mix_f32 v15, v44, v1, v15 op_sel:[0,1,0] op_sel_hi:[1,1,0]
	s_delay_alu instid0(VALU_DEP_2) | instskip(NEXT) | instid1(VALU_DEP_2)
	v_sub_nc_u32_e32 v8, v8, v28
	v_fma_mix_f32 v15, v46, v2, v15 op_sel_hi:[1,1,0]
	s_delay_alu instid0(VALU_DEP_2) | instskip(NEXT) | instid1(VALU_DEP_2)
	v_cvt_f32_i32_e32 v8, v8
	v_fma_mix_f32 v15, v48, v2, v15 op_sel:[0,1,0] op_sel_hi:[1,1,0]
	s_delay_alu instid0(VALU_DEP_2) | instskip(SKIP_1) | instid1(VALU_DEP_3)
	v_cvt_f16_f32_e32 v12, v8
	v_bfe_u32 v8, v73, 8, 8
	v_fma_mix_f32 v15, v50, v3, v15 op_sel_hi:[1,1,0]
	s_delay_alu instid0(VALU_DEP_2) | instskip(NEXT) | instid1(VALU_DEP_2)
	v_sub_nc_u32_e32 v8, v8, v28
	v_fma_mix_f32 v15, v52, v3, v15 op_sel:[0,1,0] op_sel_hi:[1,1,0]
	s_delay_alu instid0(VALU_DEP_2) | instskip(NEXT) | instid1(VALU_DEP_2)
	v_cvt_f32_i32_e32 v8, v8
	v_fma_mixlo_f16 v15, v15, v18, 0 op_sel:[0,1,0] op_sel_hi:[0,1,0]
	s_delay_alu instid0(VALU_DEP_2) | instskip(SKIP_1) | instid1(VALU_DEP_3)
	v_cvt_f16_f32_e32 v11, v8
	v_bfe_u32 v8, v73, 16, 8
	v_add_f16_e32 v15, v96, v15
	s_delay_alu instid0(VALU_DEP_2) | instskip(NEXT) | instid1(VALU_DEP_2)
	v_sub_nc_u32_e32 v8, v8, v28
	v_pack_b32_f16 v15, v14, v15
	v_fma_mix_f32 v14, v30, v0, 0 op_sel_hi:[1,1,0]
	s_delay_alu instid0(VALU_DEP_3) | instskip(NEXT) | instid1(VALU_DEP_2)
	v_cvt_f32_i32_e32 v8, v8
	v_fma_mix_f32 v14, v31, v0, v14 op_sel:[0,1,0] op_sel_hi:[1,1,0]
	s_delay_alu instid0(VALU_DEP_2) | instskip(SKIP_1) | instid1(VALU_DEP_3)
	v_cvt_f16_f32_e32 v9, v8
	v_lshrrev_b32_e32 v8, 24, v73
	v_fma_mix_f32 v14, v33, v1, v14 op_sel_hi:[1,1,0]
	s_delay_alu instid0(VALU_DEP_2) | instskip(SKIP_1) | instid1(VALU_DEP_3)
	v_sub_nc_u32_e32 v8, v8, v28
	v_fma_mix_f32 v28, v29, v0, 0 op_sel_hi:[1,1,0]
	v_fma_mix_f32 v14, v34, v1, v14 op_sel:[0,1,0] op_sel_hi:[1,1,0]
	s_delay_alu instid0(VALU_DEP_3) | instskip(NEXT) | instid1(VALU_DEP_3)
	v_cvt_f32_i32_e32 v8, v8
	v_fma_mix_f32 v0, v21, v0, v28 op_sel:[0,1,0] op_sel_hi:[1,1,0]
	s_delay_alu instid0(VALU_DEP_3) | instskip(NEXT) | instid1(VALU_DEP_3)
	v_fma_mix_f32 v14, v35, v2, v14 op_sel_hi:[1,1,0]
	v_cvt_f16_f32_e32 v8, v8
	s_delay_alu instid0(VALU_DEP_3) | instskip(NEXT) | instid1(VALU_DEP_3)
	v_fma_mix_f32 v0, v20, v1, v0 op_sel_hi:[1,1,0]
	v_fma_mix_f32 v14, v36, v2, v14 op_sel:[0,1,0] op_sel_hi:[1,1,0]
	s_delay_alu instid0(VALU_DEP_2) | instskip(NEXT) | instid1(VALU_DEP_2)
	v_fma_mix_f32 v0, v13, v1, v0 op_sel:[0,1,0] op_sel_hi:[1,1,0]
	v_fma_mix_f32 v14, v38, v3, v14 op_sel_hi:[1,1,0]
	s_delay_alu instid0(VALU_DEP_2) | instskip(NEXT) | instid1(VALU_DEP_2)
	v_fma_mix_f32 v0, v12, v2, v0 op_sel_hi:[1,1,0]
	v_fma_mix_f32 v14, v40, v3, v14 op_sel:[0,1,0] op_sel_hi:[1,1,0]
	s_delay_alu instid0(VALU_DEP_2) | instskip(NEXT) | instid1(VALU_DEP_2)
	v_fma_mix_f32 v0, v11, v2, v0 op_sel:[0,1,0] op_sel_hi:[1,1,0]
	v_fma_mixlo_f16 v14, v14, v19, 0 op_sel_hi:[0,1,0]
	s_delay_alu instid0(VALU_DEP_2) | instskip(NEXT) | instid1(VALU_DEP_2)
	v_fma_mix_f32 v0, v9, v3, v0 op_sel_hi:[1,1,0]
	v_add_f16_e32 v14, v97, v14
	s_delay_alu instid0(VALU_DEP_2) | instskip(NEXT) | instid1(VALU_DEP_1)
	v_fma_mix_f32 v0, v8, v3, v0 op_sel:[0,1,0] op_sel_hi:[1,1,0]
	v_fma_mixlo_f16 v0, v0, v19, 0 op_sel:[0,1,0] op_sel_hi:[0,1,0]
	s_delay_alu instid0(VALU_DEP_1) | instskip(NEXT) | instid1(VALU_DEP_1)
	v_add_f16_e32 v0, v98, v0
	v_pack_b32_f16 v14, v14, v0
	ds_load_b128 v[0:3], v27 offset:304
	s_wait_dscnt 0x0
	v_fma_mix_f32 v28, v41, v0, 0 op_sel_hi:[1,1,0]
	s_delay_alu instid0(VALU_DEP_1) | instskip(NEXT) | instid1(VALU_DEP_1)
	v_fma_mix_f32 v28, v43, v0, v28 op_sel:[0,1,0] op_sel_hi:[1,1,0]
	v_fma_mix_f32 v28, v45, v1, v28 op_sel_hi:[1,1,0]
	s_delay_alu instid0(VALU_DEP_1) | instskip(NEXT) | instid1(VALU_DEP_1)
	v_fma_mix_f32 v28, v47, v1, v28 op_sel:[0,1,0] op_sel_hi:[1,1,0]
	v_fma_mix_f32 v28, v49, v2, v28 op_sel_hi:[1,1,0]
	s_delay_alu instid0(VALU_DEP_1) | instskip(NEXT) | instid1(VALU_DEP_1)
	v_fma_mix_f32 v28, v51, v2, v28 op_sel:[0,1,0] op_sel_hi:[1,1,0]
	v_fma_mix_f32 v28, v53, v3, v28 op_sel_hi:[1,1,0]
	s_delay_alu instid0(VALU_DEP_1) | instskip(NEXT) | instid1(VALU_DEP_1)
	v_fma_mix_f32 v28, v54, v3, v28 op_sel:[0,1,0] op_sel_hi:[1,1,0]
	v_fma_mixlo_f16 v28, v28, v18, 0 op_sel_hi:[0,1,0]
	s_delay_alu instid0(VALU_DEP_1) | instskip(SKIP_1) | instid1(VALU_DEP_1)
	v_add_f16_e32 v28, v56, v28
	v_fma_mix_f32 v56, v37, v0, 0 op_sel_hi:[1,1,0]
	v_fma_mix_f32 v56, v39, v0, v56 op_sel:[0,1,0] op_sel_hi:[1,1,0]
	s_delay_alu instid0(VALU_DEP_1) | instskip(NEXT) | instid1(VALU_DEP_1)
	v_fma_mix_f32 v56, v42, v1, v56 op_sel_hi:[1,1,0]
	v_fma_mix_f32 v56, v44, v1, v56 op_sel:[0,1,0] op_sel_hi:[1,1,0]
	s_delay_alu instid0(VALU_DEP_1) | instskip(NEXT) | instid1(VALU_DEP_1)
	v_fma_mix_f32 v56, v46, v2, v56 op_sel_hi:[1,1,0]
	v_fma_mix_f32 v56, v48, v2, v56 op_sel:[0,1,0] op_sel_hi:[1,1,0]
	s_delay_alu instid0(VALU_DEP_1) | instskip(NEXT) | instid1(VALU_DEP_1)
	v_fma_mix_f32 v56, v50, v3, v56 op_sel_hi:[1,1,0]
	v_fma_mix_f32 v56, v52, v3, v56 op_sel:[0,1,0] op_sel_hi:[1,1,0]
	s_delay_alu instid0(VALU_DEP_1) | instskip(NEXT) | instid1(VALU_DEP_1)
	v_fma_mixlo_f16 v56, v56, v18, 0 op_sel:[0,1,0] op_sel_hi:[0,1,0]
	v_add_f16_e32 v56, v84, v56
	s_delay_alu instid0(VALU_DEP_1) | instskip(SKIP_1) | instid1(VALU_DEP_1)
	v_pack_b32_f16 v56, v28, v56
	v_fma_mix_f32 v28, v30, v0, 0 op_sel_hi:[1,1,0]
	v_fma_mix_f32 v28, v31, v0, v28 op_sel:[0,1,0] op_sel_hi:[1,1,0]
	s_delay_alu instid0(VALU_DEP_1) | instskip(NEXT) | instid1(VALU_DEP_1)
	v_fma_mix_f32 v28, v33, v1, v28 op_sel_hi:[1,1,0]
	v_fma_mix_f32 v28, v34, v1, v28 op_sel:[0,1,0] op_sel_hi:[1,1,0]
	s_delay_alu instid0(VALU_DEP_1) | instskip(NEXT) | instid1(VALU_DEP_1)
	v_fma_mix_f32 v28, v35, v2, v28 op_sel_hi:[1,1,0]
	v_fma_mix_f32 v28, v36, v2, v28 op_sel:[0,1,0] op_sel_hi:[1,1,0]
	s_delay_alu instid0(VALU_DEP_1) | instskip(NEXT) | instid1(VALU_DEP_1)
	v_fma_mix_f32 v28, v38, v3, v28 op_sel_hi:[1,1,0]
	v_fma_mix_f32 v28, v40, v3, v28 op_sel:[0,1,0] op_sel_hi:[1,1,0]
	s_delay_alu instid0(VALU_DEP_1) | instskip(NEXT) | instid1(VALU_DEP_1)
	v_fma_mixlo_f16 v28, v28, v19, 0 op_sel_hi:[0,1,0]
	v_add_f16_e32 v28, v55, v28
	v_fma_mix_f32 v55, v29, v0, 0 op_sel_hi:[1,1,0]
	s_delay_alu instid0(VALU_DEP_1) | instskip(NEXT) | instid1(VALU_DEP_1)
	v_fma_mix_f32 v0, v21, v0, v55 op_sel:[0,1,0] op_sel_hi:[1,1,0]
	v_fma_mix_f32 v0, v20, v1, v0 op_sel_hi:[1,1,0]
	s_delay_alu instid0(VALU_DEP_1) | instskip(NEXT) | instid1(VALU_DEP_1)
	v_fma_mix_f32 v0, v13, v1, v0 op_sel:[0,1,0] op_sel_hi:[1,1,0]
	v_fma_mix_f32 v0, v12, v2, v0 op_sel_hi:[1,1,0]
	s_delay_alu instid0(VALU_DEP_1) | instskip(NEXT) | instid1(VALU_DEP_1)
	v_fma_mix_f32 v0, v11, v2, v0 op_sel:[0,1,0] op_sel_hi:[1,1,0]
	v_fma_mix_f32 v0, v9, v3, v0 op_sel_hi:[1,1,0]
	s_delay_alu instid0(VALU_DEP_1) | instskip(NEXT) | instid1(VALU_DEP_1)
	v_fma_mix_f32 v0, v8, v3, v0 op_sel:[0,1,0] op_sel_hi:[1,1,0]
	v_fma_mixlo_f16 v0, v0, v19, 0 op_sel:[0,1,0] op_sel_hi:[0,1,0]
	s_delay_alu instid0(VALU_DEP_1) | instskip(NEXT) | instid1(VALU_DEP_1)
	v_add_f16_e32 v0, v69, v0
	v_pack_b32_f16 v55, v28, v0
	ds_load_b128 v[0:3], v27 offset:560
	s_wait_dscnt 0x0
	v_fma_mix_f32 v28, v41, v0, 0 op_sel_hi:[1,1,0]
	s_delay_alu instid0(VALU_DEP_1) | instskip(NEXT) | instid1(VALU_DEP_1)
	v_fma_mix_f32 v28, v43, v0, v28 op_sel:[0,1,0] op_sel_hi:[1,1,0]
	v_fma_mix_f32 v28, v45, v1, v28 op_sel_hi:[1,1,0]
	s_delay_alu instid0(VALU_DEP_1) | instskip(NEXT) | instid1(VALU_DEP_1)
	v_fma_mix_f32 v28, v47, v1, v28 op_sel:[0,1,0] op_sel_hi:[1,1,0]
	v_fma_mix_f32 v28, v49, v2, v28 op_sel_hi:[1,1,0]
	s_delay_alu instid0(VALU_DEP_1) | instskip(NEXT) | instid1(VALU_DEP_1)
	v_fma_mix_f32 v28, v51, v2, v28 op_sel:[0,1,0] op_sel_hi:[1,1,0]
	v_fma_mix_f32 v28, v53, v3, v28 op_sel_hi:[1,1,0]
	s_delay_alu instid0(VALU_DEP_1) | instskip(NEXT) | instid1(VALU_DEP_1)
	v_fma_mix_f32 v28, v54, v3, v28 op_sel:[0,1,0] op_sel_hi:[1,1,0]
	v_fma_mixlo_f16 v28, v28, v18, 0 op_sel_hi:[0,1,0]
	s_delay_alu instid0(VALU_DEP_1) | instskip(SKIP_1) | instid1(VALU_DEP_1)
	v_add_f16_e32 v28, v58, v28
	v_fma_mix_f32 v58, v37, v0, 0 op_sel_hi:[1,1,0]
	v_fma_mix_f32 v58, v39, v0, v58 op_sel:[0,1,0] op_sel_hi:[1,1,0]
	s_delay_alu instid0(VALU_DEP_1) | instskip(NEXT) | instid1(VALU_DEP_1)
	v_fma_mix_f32 v58, v42, v1, v58 op_sel_hi:[1,1,0]
	v_fma_mix_f32 v58, v44, v1, v58 op_sel:[0,1,0] op_sel_hi:[1,1,0]
	s_delay_alu instid0(VALU_DEP_1) | instskip(NEXT) | instid1(VALU_DEP_1)
	v_fma_mix_f32 v58, v46, v2, v58 op_sel_hi:[1,1,0]
	v_fma_mix_f32 v58, v48, v2, v58 op_sel:[0,1,0] op_sel_hi:[1,1,0]
	s_delay_alu instid0(VALU_DEP_1) | instskip(NEXT) | instid1(VALU_DEP_1)
	v_fma_mix_f32 v58, v50, v3, v58 op_sel_hi:[1,1,0]
	v_fma_mix_f32 v58, v52, v3, v58 op_sel:[0,1,0] op_sel_hi:[1,1,0]
	s_delay_alu instid0(VALU_DEP_1) | instskip(NEXT) | instid1(VALU_DEP_1)
	v_fma_mixlo_f16 v58, v58, v18, 0 op_sel:[0,1,0] op_sel_hi:[0,1,0]
	v_add_f16_e32 v58, v68, v58
	s_delay_alu instid0(VALU_DEP_1) | instskip(SKIP_1) | instid1(VALU_DEP_1)
	v_pack_b32_f16 v58, v28, v58
	v_fma_mix_f32 v28, v30, v0, 0 op_sel_hi:[1,1,0]
	v_fma_mix_f32 v28, v31, v0, v28 op_sel:[0,1,0] op_sel_hi:[1,1,0]
	s_delay_alu instid0(VALU_DEP_1) | instskip(NEXT) | instid1(VALU_DEP_1)
	v_fma_mix_f32 v28, v33, v1, v28 op_sel_hi:[1,1,0]
	v_fma_mix_f32 v28, v34, v1, v28 op_sel:[0,1,0] op_sel_hi:[1,1,0]
	s_delay_alu instid0(VALU_DEP_1) | instskip(NEXT) | instid1(VALU_DEP_1)
	v_fma_mix_f32 v28, v35, v2, v28 op_sel_hi:[1,1,0]
	v_fma_mix_f32 v28, v36, v2, v28 op_sel:[0,1,0] op_sel_hi:[1,1,0]
	s_delay_alu instid0(VALU_DEP_1) | instskip(NEXT) | instid1(VALU_DEP_1)
	v_fma_mix_f32 v28, v38, v3, v28 op_sel_hi:[1,1,0]
	v_fma_mix_f32 v28, v40, v3, v28 op_sel:[0,1,0] op_sel_hi:[1,1,0]
	s_delay_alu instid0(VALU_DEP_1) | instskip(NEXT) | instid1(VALU_DEP_1)
	v_fma_mixlo_f16 v28, v28, v19, 0 op_sel_hi:[0,1,0]
	v_add_f16_e32 v28, v57, v28
	v_fma_mix_f32 v57, v29, v0, 0 op_sel_hi:[1,1,0]
	s_delay_alu instid0(VALU_DEP_1) | instskip(NEXT) | instid1(VALU_DEP_1)
	v_fma_mix_f32 v0, v21, v0, v57 op_sel:[0,1,0] op_sel_hi:[1,1,0]
	v_fma_mix_f32 v0, v20, v1, v0 op_sel_hi:[1,1,0]
	s_delay_alu instid0(VALU_DEP_1) | instskip(NEXT) | instid1(VALU_DEP_1)
	v_fma_mix_f32 v0, v13, v1, v0 op_sel:[0,1,0] op_sel_hi:[1,1,0]
	v_fma_mix_f32 v0, v12, v2, v0 op_sel_hi:[1,1,0]
	s_delay_alu instid0(VALU_DEP_1) | instskip(NEXT) | instid1(VALU_DEP_1)
	v_fma_mix_f32 v0, v11, v2, v0 op_sel:[0,1,0] op_sel_hi:[1,1,0]
	v_fma_mix_f32 v0, v9, v3, v0 op_sel_hi:[1,1,0]
	s_delay_alu instid0(VALU_DEP_1) | instskip(NEXT) | instid1(VALU_DEP_1)
	;; [unrolled: 63-line block ×4, first 2 shown]
	v_fma_mix_f32 v0, v8, v3, v0 op_sel:[0,1,0] op_sel_hi:[1,1,0]
	v_fma_mixlo_f16 v0, v0, v19, 0 op_sel:[0,1,0] op_sel_hi:[0,1,0]
	s_delay_alu instid0(VALU_DEP_1) | instskip(NEXT) | instid1(VALU_DEP_1)
	v_add_f16_e32 v0, v63, v0
	v_pack_b32_f16 v61, v28, v0
	ds_load_b128 v[0:3], v27 offset:1328
	s_wait_dscnt 0x0
	v_fma_mix_f32 v27, v41, v0, 0 op_sel_hi:[1,1,0]
	v_fma_mix_f32 v28, v37, v0, 0 op_sel_hi:[1,1,0]
	s_delay_alu instid0(VALU_DEP_2) | instskip(NEXT) | instid1(VALU_DEP_2)
	v_fma_mix_f32 v27, v43, v0, v27 op_sel:[0,1,0] op_sel_hi:[1,1,0]
	v_fma_mix_f32 v28, v39, v0, v28 op_sel:[0,1,0] op_sel_hi:[1,1,0]
	s_delay_alu instid0(VALU_DEP_2) | instskip(NEXT) | instid1(VALU_DEP_2)
	v_fma_mix_f32 v27, v45, v1, v27 op_sel_hi:[1,1,0]
	v_fma_mix_f32 v28, v42, v1, v28 op_sel_hi:[1,1,0]
	s_delay_alu instid0(VALU_DEP_2) | instskip(NEXT) | instid1(VALU_DEP_2)
	v_fma_mix_f32 v27, v47, v1, v27 op_sel:[0,1,0] op_sel_hi:[1,1,0]
	v_fma_mix_f32 v28, v44, v1, v28 op_sel:[0,1,0] op_sel_hi:[1,1,0]
	s_delay_alu instid0(VALU_DEP_2) | instskip(NEXT) | instid1(VALU_DEP_2)
	v_fma_mix_f32 v27, v49, v2, v27 op_sel_hi:[1,1,0]
	v_fma_mix_f32 v28, v46, v2, v28 op_sel_hi:[1,1,0]
	s_delay_alu instid0(VALU_DEP_2) | instskip(NEXT) | instid1(VALU_DEP_2)
	v_fma_mix_f32 v27, v51, v2, v27 op_sel:[0,1,0] op_sel_hi:[1,1,0]
	v_fma_mix_f32 v28, v48, v2, v28 op_sel:[0,1,0] op_sel_hi:[1,1,0]
	s_delay_alu instid0(VALU_DEP_2) | instskip(NEXT) | instid1(VALU_DEP_2)
	v_fma_mix_f32 v27, v53, v3, v27 op_sel_hi:[1,1,0]
	v_fma_mix_f32 v28, v50, v3, v28 op_sel_hi:[1,1,0]
	s_delay_alu instid0(VALU_DEP_2) | instskip(NEXT) | instid1(VALU_DEP_2)
	v_fma_mix_f32 v27, v54, v3, v27 op_sel:[0,1,0] op_sel_hi:[1,1,0]
	v_fma_mix_f32 v28, v52, v3, v28 op_sel:[0,1,0] op_sel_hi:[1,1,0]
	s_delay_alu instid0(VALU_DEP_2) | instskip(NEXT) | instid1(VALU_DEP_2)
	v_fma_mixlo_f16 v27, v27, v18, 0 op_sel_hi:[0,1,0]
	v_fma_mixlo_f16 v28, v28, v18, 0 op_sel:[0,1,0] op_sel_hi:[0,1,0]
	s_delay_alu instid0(VALU_DEP_2) | instskip(NEXT) | instid1(VALU_DEP_2)
	v_add_f16_e32 v27, v32, v27
	v_add_f16_e32 v10, v10, v28
	s_delay_alu instid0(VALU_DEP_1) | instskip(SKIP_1) | instid1(VALU_DEP_1)
	v_pack_b32_f16 v32, v27, v10
	v_fma_mix_f32 v10, v30, v0, 0 op_sel_hi:[1,1,0]
	v_fma_mix_f32 v10, v31, v0, v10 op_sel:[0,1,0] op_sel_hi:[1,1,0]
	s_delay_alu instid0(VALU_DEP_1) | instskip(NEXT) | instid1(VALU_DEP_1)
	v_fma_mix_f32 v10, v33, v1, v10 op_sel_hi:[1,1,0]
	v_fma_mix_f32 v10, v34, v1, v10 op_sel:[0,1,0] op_sel_hi:[1,1,0]
	s_delay_alu instid0(VALU_DEP_1) | instskip(NEXT) | instid1(VALU_DEP_1)
	;; [unrolled: 3-line block ×4, first 2 shown]
	v_fma_mixlo_f16 v10, v10, v19, 0 op_sel_hi:[0,1,0]
	v_add_f16_e32 v7, v7, v10
	v_fma_mix_f32 v10, v29, v0, 0 op_sel_hi:[1,1,0]
	s_delay_alu instid0(VALU_DEP_1) | instskip(NEXT) | instid1(VALU_DEP_1)
	v_fma_mix_f32 v0, v21, v0, v10 op_sel:[0,1,0] op_sel_hi:[1,1,0]
	v_fma_mix_f32 v0, v20, v1, v0 op_sel_hi:[1,1,0]
	s_delay_alu instid0(VALU_DEP_1) | instskip(NEXT) | instid1(VALU_DEP_1)
	v_fma_mix_f32 v0, v13, v1, v0 op_sel:[0,1,0] op_sel_hi:[1,1,0]
	;; [unrolled: 3-line block ×4, first 2 shown]
	v_fma_mixlo_f16 v0, v0, v19, 0 op_sel:[0,1,0] op_sel_hi:[0,1,0]
	s_delay_alu instid0(VALU_DEP_1) | instskip(NEXT) | instid1(VALU_DEP_1)
	v_add_f16_e32 v0, v6, v0
	v_pack_b32_f16 v33, v7, v0
	v_add_nc_u64_e32 v[0:1], s[6:7], v[4:5]
	s_cbranch_scc1 .LBB38_20
.LBB38_18:                              ; =>This Inner Loop Header: Depth=1
	s_cmp_lg_u32 s15, s12
	s_cbranch_scc1 .LBB38_17
; %bb.19:                               ;   in Loop: Header=BB38_18 Depth=1
	s_add_co_i32 s17, s17, 1
	s_add_co_i32 s12, s12, s0
	s_mul_i32 s5, s17, s4
	s_delay_alu instid0(SALU_CYCLE_1) | instskip(SKIP_2) | instid1(SALU_CYCLE_1)
	s_ashr_i32 s13, s5, 31
	v_add_nc_u32_e32 v2, s5, v16
	s_lshr_b32 s13, s13, 30
	s_add_co_i32 s13, s5, s13
	s_delay_alu instid0(SALU_CYCLE_1) | instskip(NEXT) | instid1(SALU_CYCLE_1)
	s_ashr_i32 s5, s13, 2
	v_add_nc_u32_e32 v4, s5, v22
	global_load_b32 v4, v4, s[2:3] scale_offset
	s_wait_loadcnt 0x0
	v_dual_ashrrev_i32 v3, 31, v2 :: v_dual_lshrrev_b32 v26, 24, v4
	s_delay_alu instid0(VALU_DEP_1)
	v_lshl_add_u64 v[2:3], v[2:3], 1, s[8:9]
	v_and_b32_e32 v17, 0xff, v4
	v_bfe_u32 v24, v4, 8, 8
	v_bfe_u32 v25, v4, 16, 8
	global_load_b64 v[18:19], v[2:3], off
	s_branch .LBB38_17
.LBB38_20:
	v_mad_u32 v0, s14, s4, v16
	s_mov_b32 s0, 0
	s_delay_alu instid0(VALU_DEP_1) | instskip(SKIP_1) | instid1(VALU_DEP_1)
	v_ashrrev_i32_e32 v1, 31, v0
	s_wait_kmcnt 0x0
	v_lshl_add_u64 v[2:3], v[0:1], 1, s[10:11]
	global_load_b32 v5, v[2:3], off
.LBB38_21:                              ; =>This Inner Loop Header: Depth=1
	s_wait_loadcnt 0x0
	v_pk_add_f16 v4, v15, v5
	global_atomic_cmpswap_b32 v1, v[2:3], v[4:5], off th:TH_ATOMIC_RETURN scope:SCOPE_DEV
	s_wait_loadcnt 0x0
	v_cmp_eq_u32_e32 vcc_lo, v5, v1
	v_mov_b32_e32 v5, v1
	s_or_b32 s0, vcc_lo, s0
	s_delay_alu instid0(SALU_CYCLE_1)
	s_and_not1_b32 exec_lo, exec_lo, s0
	s_cbranch_execnz .LBB38_21
; %bb.22:
	s_or_b32 exec_lo, exec_lo, s0
	global_load_b32 v5, v[2:3], off offset:4
	s_mov_b32 s0, 0
.LBB38_23:                              ; =>This Inner Loop Header: Depth=1
	s_wait_loadcnt 0x0
	v_pk_add_f16 v4, v14, v5
	global_atomic_cmpswap_b32 v1, v[2:3], v[4:5], off offset:4 th:TH_ATOMIC_RETURN scope:SCOPE_DEV
	s_wait_loadcnt 0x0
	v_cmp_eq_u32_e32 vcc_lo, v5, v1
	v_mov_b32_e32 v5, v1
	s_or_b32 s0, vcc_lo, s0
	s_delay_alu instid0(SALU_CYCLE_1)
	s_and_not1_b32 exec_lo, exec_lo, s0
	s_cbranch_execnz .LBB38_23
; %bb.24:
	s_or_b32 exec_lo, exec_lo, s0
	v_add_nc_u32_e32 v0, s4, v0
	s_mov_b32 s0, 0
	s_delay_alu instid0(VALU_DEP_1) | instskip(NEXT) | instid1(VALU_DEP_1)
	v_ashrrev_i32_e32 v1, 31, v0
	v_lshl_add_u64 v[2:3], v[0:1], 1, s[10:11]
	global_load_b32 v5, v[2:3], off
.LBB38_25:                              ; =>This Inner Loop Header: Depth=1
	s_wait_loadcnt 0x0
	v_pk_add_f16 v4, v56, v5
	global_atomic_cmpswap_b32 v1, v[2:3], v[4:5], off th:TH_ATOMIC_RETURN scope:SCOPE_DEV
	s_wait_loadcnt 0x0
	v_cmp_eq_u32_e32 vcc_lo, v5, v1
	v_mov_b32_e32 v5, v1
	s_or_b32 s0, vcc_lo, s0
	s_delay_alu instid0(SALU_CYCLE_1)
	s_and_not1_b32 exec_lo, exec_lo, s0
	s_cbranch_execnz .LBB38_25
; %bb.26:
	s_or_b32 exec_lo, exec_lo, s0
	global_load_b32 v5, v[2:3], off offset:4
	s_mov_b32 s0, 0
.LBB38_27:                              ; =>This Inner Loop Header: Depth=1
	s_wait_loadcnt 0x0
	v_pk_add_f16 v4, v55, v5
	global_atomic_cmpswap_b32 v1, v[2:3], v[4:5], off offset:4 th:TH_ATOMIC_RETURN scope:SCOPE_DEV
	s_wait_loadcnt 0x0
	v_cmp_eq_u32_e32 vcc_lo, v5, v1
	v_mov_b32_e32 v5, v1
	s_or_b32 s0, vcc_lo, s0
	s_delay_alu instid0(SALU_CYCLE_1)
	s_and_not1_b32 exec_lo, exec_lo, s0
	s_cbranch_execnz .LBB38_27
; %bb.28:
	s_or_b32 exec_lo, exec_lo, s0
	v_add_nc_u32_e32 v0, s4, v0
	s_mov_b32 s0, 0
	s_delay_alu instid0(VALU_DEP_1) | instskip(NEXT) | instid1(VALU_DEP_1)
	v_ashrrev_i32_e32 v1, 31, v0
	;; [unrolled: 34-line block ×5, first 2 shown]
	v_lshl_add_u64 v[0:1], v[0:1], 1, s[10:11]
	global_load_b32 v3, v[0:1], off
.LBB38_41:                              ; =>This Inner Loop Header: Depth=1
	s_wait_loadcnt 0x0
	v_pk_add_f16 v2, v32, v3
	global_atomic_cmpswap_b32 v2, v[0:1], v[2:3], off th:TH_ATOMIC_RETURN scope:SCOPE_DEV
	s_wait_loadcnt 0x0
	v_cmp_eq_u32_e32 vcc_lo, v3, v2
	v_mov_b32_e32 v3, v2
	s_or_b32 s0, vcc_lo, s0
	s_delay_alu instid0(SALU_CYCLE_1)
	s_and_not1_b32 exec_lo, exec_lo, s0
	s_cbranch_execnz .LBB38_41
; %bb.42:
	s_or_b32 exec_lo, exec_lo, s0
	global_load_b32 v3, v[0:1], off offset:4
	s_mov_b32 s0, 0
.LBB38_43:                              ; =>This Inner Loop Header: Depth=1
	s_wait_loadcnt 0x0
	v_pk_add_f16 v2, v33, v3
	global_atomic_cmpswap_b32 v2, v[0:1], v[2:3], off offset:4 th:TH_ATOMIC_RETURN scope:SCOPE_DEV
	s_wait_loadcnt 0x0
	v_cmp_eq_u32_e32 vcc_lo, v3, v2
	v_mov_b32_e32 v3, v2
	s_or_b32 s0, vcc_lo, s0
	s_delay_alu instid0(SALU_CYCLE_1)
	s_and_not1_b32 exec_lo, exec_lo, s0
	s_cbranch_execnz .LBB38_43
.LBB38_44:
	s_endpgm
	.section	.rodata,"a",@progbits
	.p2align	6, 0x0
	.amdhsa_kernel _ZN4vllm4gptq33gemm_half_q_half_gptq_8bit_kernelILb1ELi6EEEvPK6__halfPKjS6_S4_PS2_iiiibPKi
		.amdhsa_group_segment_fixed_size 1536
		.amdhsa_private_segment_fixed_size 0
		.amdhsa_kernarg_size 72
		.amdhsa_user_sgpr_count 2
		.amdhsa_user_sgpr_dispatch_ptr 0
		.amdhsa_user_sgpr_queue_ptr 0
		.amdhsa_user_sgpr_kernarg_segment_ptr 1
		.amdhsa_user_sgpr_dispatch_id 0
		.amdhsa_user_sgpr_kernarg_preload_length 0
		.amdhsa_user_sgpr_kernarg_preload_offset 0
		.amdhsa_user_sgpr_private_segment_size 0
		.amdhsa_wavefront_size32 1
		.amdhsa_uses_dynamic_stack 0
		.amdhsa_enable_private_segment 0
		.amdhsa_system_sgpr_workgroup_id_x 1
		.amdhsa_system_sgpr_workgroup_id_y 1
		.amdhsa_system_sgpr_workgroup_id_z 1
		.amdhsa_system_sgpr_workgroup_info 0
		.amdhsa_system_vgpr_workitem_id 0
		.amdhsa_next_free_vgpr 99
		.amdhsa_next_free_sgpr 21
		.amdhsa_named_barrier_count 0
		.amdhsa_reserve_vcc 1
		.amdhsa_float_round_mode_32 0
		.amdhsa_float_round_mode_16_64 0
		.amdhsa_float_denorm_mode_32 3
		.amdhsa_float_denorm_mode_16_64 3
		.amdhsa_fp16_overflow 0
		.amdhsa_memory_ordered 1
		.amdhsa_forward_progress 1
		.amdhsa_inst_pref_size 120
		.amdhsa_round_robin_scheduling 0
		.amdhsa_exception_fp_ieee_invalid_op 0
		.amdhsa_exception_fp_denorm_src 0
		.amdhsa_exception_fp_ieee_div_zero 0
		.amdhsa_exception_fp_ieee_overflow 0
		.amdhsa_exception_fp_ieee_underflow 0
		.amdhsa_exception_fp_ieee_inexact 0
		.amdhsa_exception_int_div_zero 0
	.end_amdhsa_kernel
	.section	.text._ZN4vllm4gptq33gemm_half_q_half_gptq_8bit_kernelILb1ELi6EEEvPK6__halfPKjS6_S4_PS2_iiiibPKi,"axG",@progbits,_ZN4vllm4gptq33gemm_half_q_half_gptq_8bit_kernelILb1ELi6EEEvPK6__halfPKjS6_S4_PS2_iiiibPKi,comdat
.Lfunc_end38:
	.size	_ZN4vllm4gptq33gemm_half_q_half_gptq_8bit_kernelILb1ELi6EEEvPK6__halfPKjS6_S4_PS2_iiiibPKi, .Lfunc_end38-_ZN4vllm4gptq33gemm_half_q_half_gptq_8bit_kernelILb1ELi6EEEvPK6__halfPKjS6_S4_PS2_iiiibPKi
                                        ; -- End function
	.set _ZN4vllm4gptq33gemm_half_q_half_gptq_8bit_kernelILb1ELi6EEEvPK6__halfPKjS6_S4_PS2_iiiibPKi.num_vgpr, 99
	.set _ZN4vllm4gptq33gemm_half_q_half_gptq_8bit_kernelILb1ELi6EEEvPK6__halfPKjS6_S4_PS2_iiiibPKi.num_agpr, 0
	.set _ZN4vllm4gptq33gemm_half_q_half_gptq_8bit_kernelILb1ELi6EEEvPK6__halfPKjS6_S4_PS2_iiiibPKi.numbered_sgpr, 21
	.set _ZN4vllm4gptq33gemm_half_q_half_gptq_8bit_kernelILb1ELi6EEEvPK6__halfPKjS6_S4_PS2_iiiibPKi.num_named_barrier, 0
	.set _ZN4vllm4gptq33gemm_half_q_half_gptq_8bit_kernelILb1ELi6EEEvPK6__halfPKjS6_S4_PS2_iiiibPKi.private_seg_size, 0
	.set _ZN4vllm4gptq33gemm_half_q_half_gptq_8bit_kernelILb1ELi6EEEvPK6__halfPKjS6_S4_PS2_iiiibPKi.uses_vcc, 1
	.set _ZN4vllm4gptq33gemm_half_q_half_gptq_8bit_kernelILb1ELi6EEEvPK6__halfPKjS6_S4_PS2_iiiibPKi.uses_flat_scratch, 0
	.set _ZN4vllm4gptq33gemm_half_q_half_gptq_8bit_kernelILb1ELi6EEEvPK6__halfPKjS6_S4_PS2_iiiibPKi.has_dyn_sized_stack, 0
	.set _ZN4vllm4gptq33gemm_half_q_half_gptq_8bit_kernelILb1ELi6EEEvPK6__halfPKjS6_S4_PS2_iiiibPKi.has_recursion, 0
	.set _ZN4vllm4gptq33gemm_half_q_half_gptq_8bit_kernelILb1ELi6EEEvPK6__halfPKjS6_S4_PS2_iiiibPKi.has_indirect_call, 0
	.section	.AMDGPU.csdata,"",@progbits
; Kernel info:
; codeLenInByte = 15316
; TotalNumSgprs: 23
; NumVgprs: 99
; ScratchSize: 0
; MemoryBound: 0
; FloatMode: 240
; IeeeMode: 1
; LDSByteSize: 1536 bytes/workgroup (compile time only)
; SGPRBlocks: 0
; VGPRBlocks: 6
; NumSGPRsForWavesPerEU: 23
; NumVGPRsForWavesPerEU: 99
; NamedBarCnt: 0
; Occupancy: 9
; WaveLimiterHint : 0
; COMPUTE_PGM_RSRC2:SCRATCH_EN: 0
; COMPUTE_PGM_RSRC2:USER_SGPR: 2
; COMPUTE_PGM_RSRC2:TRAP_HANDLER: 0
; COMPUTE_PGM_RSRC2:TGID_X_EN: 1
; COMPUTE_PGM_RSRC2:TGID_Y_EN: 1
; COMPUTE_PGM_RSRC2:TGID_Z_EN: 1
; COMPUTE_PGM_RSRC2:TIDIG_COMP_CNT: 0
	.section	.text._ZN4vllm4gptq33gemm_half_q_half_gptq_2bit_kernelILb1ELi7EEEvPK6__halfPKjS6_S4_PS2_iiiibPKi,"axG",@progbits,_ZN4vllm4gptq33gemm_half_q_half_gptq_2bit_kernelILb1ELi7EEEvPK6__halfPKjS6_S4_PS2_iiiibPKi,comdat
	.protected	_ZN4vllm4gptq33gemm_half_q_half_gptq_2bit_kernelILb1ELi7EEEvPK6__halfPKjS6_S4_PS2_iiiibPKi ; -- Begin function _ZN4vllm4gptq33gemm_half_q_half_gptq_2bit_kernelILb1ELi7EEEvPK6__halfPKjS6_S4_PS2_iiiibPKi
	.globl	_ZN4vllm4gptq33gemm_half_q_half_gptq_2bit_kernelILb1ELi7EEEvPK6__halfPKjS6_S4_PS2_iiiibPKi
	.p2align	8
	.type	_ZN4vllm4gptq33gemm_half_q_half_gptq_2bit_kernelILb1ELi7EEEvPK6__halfPKjS6_S4_PS2_iiiibPKi,@function
_ZN4vllm4gptq33gemm_half_q_half_gptq_2bit_kernelILb1ELi7EEEvPK6__halfPKjS6_S4_PS2_iiiibPKi: ; @_ZN4vllm4gptq33gemm_half_q_half_gptq_2bit_kernelILb1ELi7EEEvPK6__halfPKjS6_S4_PS2_iiiibPKi
; %bb.0:
	s_load_b128 s[4:7], s[0:1], 0x2c
	s_bfe_u32 s2, ttmp6, 0x40014
	s_lshr_b32 s3, ttmp7, 16
	s_add_co_i32 s2, s2, 1
	s_bfe_u32 s9, ttmp6, 0x40010
	s_mul_i32 s2, s3, s2
	s_bfe_u32 s8, ttmp6, 0x40008
	s_and_b32 s10, ttmp7, 0xffff
	s_add_co_i32 s9, s9, 1
	s_add_co_i32 s8, s8, s2
	s_mul_i32 s2, s10, s9
	s_bfe_u32 s9, ttmp6, 0x40004
	s_getreg_b32 s17, hwreg(HW_REG_IB_STS2, 6, 4)
	s_add_co_i32 s9, s9, s2
	s_cmp_eq_u32 s17, 0
	s_mov_b32 s12, exec_lo
	s_cselect_b32 s2, s3, s8
	s_cselect_b32 s14, s10, s9
	s_lshl_b32 s15, s2, 7
	s_mul_i32 s14, s14, 7
	s_add_co_i32 s2, s15, 0x80
	s_delay_alu instid0(SALU_CYCLE_1) | instskip(SKIP_3) | instid1(VALU_DEP_1)
	v_cvt_f64_u32_e32 v[2:3], s2
	s_load_b64 s[2:3], s[0:1], 0x10
	s_wait_kmcnt 0x0
	v_cvt_f64_i32_e32 v[4:5], s5
	v_min_num_f64_e32 v[2:3], v[2:3], v[4:5]
	s_delay_alu instid0(VALU_DEP_1) | instskip(SKIP_1) | instid1(VALU_DEP_2)
	v_cvt_i32_f64_e32 v1, v[2:3]
	v_add_nc_u32_e32 v2, s15, v0
	v_readfirstlane_b32 s16, v1
	s_delay_alu instid0(VALU_DEP_2)
	v_cmpx_lt_u32_e64 v2, v1
	s_cbranch_execz .LBB39_16
; %bb.1:
	s_clause 0x1
	s_load_b64 s[10:11], s[0:1], 0x40
	s_load_b64 s[8:9], s[0:1], 0x0
	v_mov_b32_e32 v3, 0
	s_delay_alu instid0(VALU_DEP_1)
	v_mov_b64_e32 v[6:7], v[2:3]
	s_wait_kmcnt 0x0
	v_lshl_add_u64 v[4:5], v[2:3], 2, s[10:11]
	s_cmp_lg_u64 s[10:11], 0
	s_cselect_b32 s13, -1, 0
	s_cmp_eq_u64 s[10:11], 0
	s_cbranch_scc1 .LBB39_3
; %bb.2:
	global_load_b32 v6, v[4:5], off
	s_wait_loadcnt 0x0
	v_ashrrev_i32_e32 v7, 31, v6
.LBB39_3:
	s_mul_i32 s10, s14, s5
	v_cndmask_b32_e64 v8, 0, 1, s13
	s_ashr_i32 s11, s10, 31
	v_lshlrev_b32_e32 v1, 1, v0
	s_lshl_b64 s[18:19], s[10:11], 1
	s_and_not1_b32 vcc_lo, exec_lo, s13
	s_add_nc_u64 s[18:19], s[8:9], s[18:19]
	s_delay_alu instid0(SALU_CYCLE_1)
	v_lshl_add_u64 v[6:7], v[6:7], 1, s[18:19]
	global_load_u16 v9, v[6:7], off
	s_wait_xcnt 0x0
	v_mov_b64_e32 v[6:7], v[2:3]
	s_wait_loadcnt 0x0
	ds_store_b16 v1, v9
	s_cbranch_vccnz .LBB39_5
; %bb.4:
	global_load_b32 v6, v[4:5], off
	s_wait_loadcnt 0x0
	v_ashrrev_i32_e32 v7, 31, v6
.LBB39_5:
	s_add_co_i32 s10, s10, s5
	v_cmp_ne_u32_e32 vcc_lo, 1, v8
	s_ashr_i32 s11, s10, 31
	s_delay_alu instid0(SALU_CYCLE_1) | instskip(SKIP_2) | instid1(SALU_CYCLE_1)
	s_lshl_b64 s[18:19], s[10:11], 1
	s_and_b32 vcc_lo, exec_lo, vcc_lo
	s_add_nc_u64 s[18:19], s[8:9], s[18:19]
	v_lshl_add_u64 v[6:7], v[6:7], 1, s[18:19]
	global_load_u16 v9, v[6:7], off
	s_wait_xcnt 0x0
	v_mov_b64_e32 v[6:7], v[2:3]
	s_wait_loadcnt 0x0
	ds_store_b16 v1, v9 offset:256
	s_cbranch_vccnz .LBB39_7
; %bb.6:
	global_load_b32 v6, v[4:5], off
	s_wait_loadcnt 0x0
	v_ashrrev_i32_e32 v7, 31, v6
.LBB39_7:
	s_add_co_i32 s10, s10, s5
	v_cmp_ne_u32_e32 vcc_lo, 1, v8
	s_ashr_i32 s11, s10, 31
	s_delay_alu instid0(SALU_CYCLE_1) | instskip(SKIP_2) | instid1(SALU_CYCLE_1)
	s_lshl_b64 s[18:19], s[10:11], 1
	s_and_b32 vcc_lo, exec_lo, vcc_lo
	s_add_nc_u64 s[18:19], s[8:9], s[18:19]
	v_lshl_add_u64 v[6:7], v[6:7], 1, s[18:19]
	global_load_u16 v9, v[6:7], off
	s_wait_xcnt 0x0
	v_mov_b64_e32 v[6:7], v[2:3]
	s_wait_loadcnt 0x0
	ds_store_b16 v1, v9 offset:512
	;; [unrolled: 19-line block ×4, first 2 shown]
	s_cbranch_vccnz .LBB39_13
; %bb.12:
	global_load_b32 v6, v[4:5], off
	s_wait_loadcnt 0x0
	v_ashrrev_i32_e32 v7, 31, v6
.LBB39_13:
	s_add_co_i32 s10, s10, s5
	v_cmp_ne_u32_e32 vcc_lo, 1, v8
	s_ashr_i32 s11, s10, 31
	s_delay_alu instid0(SALU_CYCLE_1) | instskip(SKIP_2) | instid1(SALU_CYCLE_1)
	s_lshl_b64 s[18:19], s[10:11], 1
	s_and_b32 vcc_lo, exec_lo, vcc_lo
	s_add_nc_u64 s[18:19], s[8:9], s[18:19]
	v_lshl_add_u64 v[6:7], v[6:7], 1, s[18:19]
	global_load_u16 v6, v[6:7], off
	s_wait_loadcnt 0x0
	ds_store_b16 v1, v6 offset:1280
	s_cbranch_vccnz .LBB39_15
; %bb.14:
	global_load_b32 v2, v[4:5], off
	s_wait_loadcnt 0x0
	v_ashrrev_i32_e32 v3, 31, v2
.LBB39_15:
	s_add_co_i32 s10, s10, s5
	s_delay_alu instid0(SALU_CYCLE_1) | instskip(NEXT) | instid1(SALU_CYCLE_1)
	s_ashr_i32 s11, s10, 31
	s_lshl_b64 s[10:11], s[10:11], 1
	s_delay_alu instid0(SALU_CYCLE_1) | instskip(NEXT) | instid1(SALU_CYCLE_1)
	s_add_nc_u64 s[8:9], s[8:9], s[10:11]
	v_lshl_add_u64 v[2:3], v[2:3], 1, s[8:9]
	global_load_u16 v2, v[2:3], off
	s_wait_loadcnt 0x0
	ds_store_b16 v1, v2 offset:1536
.LBB39_16:
	s_or_b32 exec_lo, exec_lo, s12
	s_clause 0x1
	s_load_b64 s[12:13], s[0:1], 0x8
	s_load_b128 s[8:11], s[0:1], 0x18
	s_wait_xcnt 0x0
	s_bfe_u32 s0, ttmp6, 0x4000c
	s_and_b32 s1, ttmp6, 15
	s_add_co_i32 s0, s0, 1
	v_lshlrev_b32_e32 v1, 2, v0
	s_mul_i32 s0, ttmp9, s0
	s_delay_alu instid0(SALU_CYCLE_1)
	s_add_co_i32 s1, s1, s0
	s_cmp_eq_u32 s17, 0
	s_cselect_b32 s0, ttmp9, s1
	s_mov_b32 s1, 0
	v_lshl_add_u32 v4, s0, 9, v1
	s_mov_b32 s0, exec_lo
	s_delay_alu instid0(VALU_DEP_1)
	v_cmpx_gt_i32_e64 s4, v4
	s_cbranch_execz .LBB39_50
; %bb.17:
	s_abs_i32 s17, s6
	v_dual_mov_b32 v27, 0 :: v_dual_mov_b32 v26, 0
	s_cvt_f32_u32 s0, s17
	v_dual_mov_b32 v25, 0 :: v_dual_mov_b32 v24, 0
	v_dual_mov_b32 v23, 0 :: v_dual_mov_b32 v22, 0
	s_delay_alu instid0(SALU_CYCLE_1) | instskip(SKIP_3) | instid1(TRANS32_DEP_1)
	v_rcp_iflag_f32_e32 v1, s0
	v_dual_mov_b32 v21, 0 :: v_dual_mov_b32 v20, 0
	v_dual_mov_b32 v19, 0 :: v_dual_mov_b32 v18, 0
	;; [unrolled: 1-line block ×3, first 2 shown]
	v_readfirstlane_b32 s0, v1
	v_dual_mov_b32 v15, 0 :: v_dual_mov_b32 v14, 0
	s_cmp_ge_i32 s15, s16
	s_wait_dscnt 0x0
	s_barrier_signal -1
	s_barrier_wait -1
	s_cbranch_scc1 .LBB39_22
; %bb.18:
	s_mul_f32 s0, s0, 0x4f7ffffe
	s_ashr_i32 s6, s6, 31
	v_dual_mov_b32 v16, 0 :: v_dual_ashrrev_i32 v5, 31, v4
	v_mov_b32_e32 v17, 0
	s_cvt_u32_f32 s18, s0
	s_sub_co_i32 s0, 0, s17
	v_dual_mov_b32 v18, 0 :: v_dual_mov_b32 v19, 0
	s_delay_alu instid0(SALU_CYCLE_1)
	s_mul_i32 s19, s0, s18
	s_abs_i32 s0, s5
	s_mul_hi_u32 s20, s18, s19
	s_mov_b32 s19, s1
	s_add_co_i32 s18, s18, s20
	s_ashr_i32 s5, s5, 31
	s_mul_u64 s[18:19], s[0:1], s[18:19]
	s_xor_b32 s5, s5, s6
	s_mul_i32 s18, s19, s17
	s_add_co_i32 s6, s19, 1
	s_sub_co_i32 s0, s0, s18
	v_dual_mov_b32 v20, 0 :: v_dual_mov_b32 v21, 0
	s_sub_co_i32 s18, s0, s17
	s_cmp_ge_u32 s0, s17
	v_dual_mov_b32 v22, 0 :: v_dual_mov_b32 v23, 0
	s_cselect_b32 s6, s6, s19
	s_cselect_b32 s0, s18, s0
	s_add_co_i32 s18, s6, 1
	s_cmp_ge_u32 s0, s17
	v_dual_mov_b32 v24, 0 :: v_dual_mov_b32 v25, 0
	s_cselect_b32 s0, s18, s6
	s_mov_b32 s18, 0x10001
	s_xor_b32 s0, s0, s5
	s_mov_b32 s19, 0x30003
	s_sub_co_i32 s0, s0, s5
	s_bitcmp1_b32 s7, 0
	s_cvt_f32_u32 s5, s0
	s_cselect_b32 s6, -1, 0
	s_sub_co_i32 s7, 0, s0
	s_xor_b32 s20, s6, -1
	v_rcp_iflag_f32_e32 v1, s5
	v_cndmask_b32_e64 v30, 0, 1, s20
	s_mov_b32 s20, 0xc000c0
	v_dual_mov_b32 v14, 0 :: v_dual_mov_b32 v15, 0
	v_mov_b32_e32 v27, 0
	s_delay_alu instid0(TRANS32_DEP_1) | instskip(SKIP_1) | instid1(SALU_CYCLE_3)
	v_readfirstlane_b32 s5, v1
	s_mul_f32 s5, s5, 0x4f7ffffe
	s_cvt_u32_f32 s5, s5
	s_delay_alu instid0(SALU_CYCLE_3) | instskip(NEXT) | instid1(SALU_CYCLE_1)
	s_mul_i32 s7, s7, s5
	s_mul_hi_u32 s7, s5, s7
	s_delay_alu instid0(SALU_CYCLE_1) | instskip(NEXT) | instid1(SALU_CYCLE_1)
	s_add_co_i32 s5, s5, s7
	s_mul_hi_u32 s5, s15, s5
	s_delay_alu instid0(SALU_CYCLE_1) | instskip(NEXT) | instid1(SALU_CYCLE_1)
	s_mul_i32 s7, s5, s0
	s_sub_co_i32 s6, s15, s7
	s_add_co_i32 s7, s5, 1
	s_sub_co_i32 s17, s6, s0
	s_cmp_ge_u32 s6, s0
	s_cselect_b32 s5, s7, s5
	s_cselect_b32 s6, s17, s6
	s_add_co_i32 s7, s5, 1
	s_cmp_ge_u32 s6, s0
	s_cselect_b32 s17, s7, s5
	s_delay_alu instid0(SALU_CYCLE_1) | instskip(NEXT) | instid1(SALU_CYCLE_1)
	s_mul_i32 s5, s17, s4
	v_dual_lshrrev_b32 v1, 28, v5 :: v_dual_add_nc_u32 v2, s5, v4
	s_ashr_i32 s6, s5, 31
	s_delay_alu instid0(SALU_CYCLE_1) | instskip(NEXT) | instid1(VALU_DEP_1)
	s_lshr_b32 s6, s6, 28
	v_add_nc_u32_e32 v1, v4, v1
	s_add_co_i32 s6, s5, s6
	v_ashrrev_i32_e32 v3, 31, v2
	s_ashr_i32 s6, s6, 4
	s_lshr_b32 s5, s15, 4
	v_ashrrev_i32_e32 v28, 4, v1
	s_wait_kmcnt 0x0
	v_lshl_add_u64 v[2:3], v[2:3], 1, s[8:9]
	s_delay_alu instid0(VALU_DEP_2)
	v_add_nc_u32_e32 v1, s6, v28
	s_mul_i32 s6, s4, s5
	global_load_b64 v[6:7], v[2:3], off
	s_ashr_i32 s7, s6, 31
	s_wait_xcnt 0x0
	v_lshlrev_b32_e32 v2, 3, v0
	global_load_b32 v10, v1, s[2:3] scale_offset
	s_lshl_b64 s[6:7], s[6:7], 2
	v_mov_b32_e32 v26, 0
	s_add_nc_u64 s[6:7], s[12:13], s[6:7]
	v_and_b32_e32 v29, 24, v2
	s_wait_xcnt 0x0
	v_lshl_add_u64 v[0:1], v[4:5], 2, s[6:7]
	s_ashr_i32 s5, s4, 31
	s_add_co_i32 s12, s0, s15
	s_lshl_b64 s[6:7], s[4:5], 2
	s_mov_b32 s5, 0xc000c
	v_add_nc_u64_e32 v[8:9], 8, v[0:1]
	s_mov_b32 s13, 0x300030
	s_wait_loadcnt 0x0
	v_lshrrev_b32_e32 v2, v2, v10
	v_bfe_u32 v5, v10, v29, 2
	s_delay_alu instid0(VALU_DEP_2)
	v_bfe_u32 v31, v2, 2, 2
	v_bfe_u32 v32, v2, 4, 2
	;; [unrolled: 1-line block ×3, first 2 shown]
	s_branch .LBB39_20
.LBB39_19:                              ;   in Loop: Header=BB39_20 Depth=1
	global_load_b128 v[0:3], v[8:9], off offset:-8
	v_dual_add_nc_u32 v11, v5, v30 :: v_dual_add_nc_u32 v12, v31, v30
	v_dual_add_nc_u32 v13, v32, v30 :: v_dual_add_nc_u32 v34, v33, v30
	v_mov_b32_e32 v10, s1
	s_delay_alu instid0(VALU_DEP_3)
	v_cvt_f32_i32_e32 v35, v11
	v_and_b32_e32 v11, 0x1bff, v11
	v_cvt_f32_i32_e32 v36, v12
	v_cvt_f32_i32_e32 v37, v13
	;; [unrolled: 1-line block ×3, first 2 shown]
	v_cvt_f16_f32_e32 v46, v35
	v_mad_u32_u24 v42, v11, s18, 0xe400e400
	v_and_b32_e32 v12, 0x1bff, v12
	v_cvt_f16_f32_e32 v47, v36
	v_cvt_f16_f32_e32 v39, v37
	v_sub_f16_e32 v11, 0xdc00, v46
	v_cvt_f16_f32_e32 v38, v38
	v_and_b32_e32 v13, 0x1bff, v13
	v_and_b32_e32 v34, 0x1bff, v34
	v_mad_u32_u24 v43, v12, s18, 0xe400e400
	v_and_b32_e32 v11, 0xffff, v11
	v_sub_f16_e32 v12, 0xdc00, v47
	v_sub_f16_e32 v35, 0xdc00, v39
	;; [unrolled: 1-line block ×3, first 2 shown]
	v_mad_u32_u24 v44, v13, s18, 0xe400e400
	v_mul_u32_u24_e32 v54, 0x10001, v11
	v_and_b32_e32 v12, 0xffff, v12
	v_and_b32_e32 v13, 0xffff, v35
	;; [unrolled: 1-line block ×3, first 2 shown]
	v_mad_u32_u24 v50, v34, s18, 0xe400e400
	s_add_co_i32 s21, s1, 0x400
	v_mul_u32_u24_e32 v45, 0x10001, v12
	v_mul_u32_u24_e32 v53, 0x10001, v13
	;; [unrolled: 1-line block ×3, first 2 shown]
	s_wait_xcnt 0x0
	v_add_nc_u64_e32 v[8:9], s[6:7], v[8:9]
	s_add_co_i32 s15, s15, 16
	s_wait_loadcnt 0x0
	v_lshrrev_b32_e32 v11, 8, v0
	ds_load_2addr_b32 v[56:57], v10 offset1:1
	ds_load_2addr_b32 v[70:71], v10 offset0:64 offset1:65
	ds_load_2addr_b32 v[72:73], v10 offset0:128 offset1:129
	v_and_or_b32 v34, v0, s19, 0x64006400
	v_and_or_b32 v35, v0, s5, 0x64006400
	;; [unrolled: 1-line block ×8, first 2 shown]
	v_pk_add_f16 v0, v42, v34
	v_and_or_b32 v48, v1, s13, 0x64006400
	v_and_or_b32 v67, v1, s20, 0x64006400
	v_dual_lshrrev_b32 v12, 8, v1 :: v_dual_lshrrev_b32 v13, 8, v2
	v_and_or_b32 v55, v2, s5, 0x64006400
	v_and_or_b32 v68, v2, s13, 0x64006400
	v_and_or_b32 v69, v2, s20, 0x64006400
	v_and_or_b32 v59, v3, s5, 0x64006400
	v_and_or_b32 v78, v3, s13, 0x64006400
	v_and_or_b32 v79, v3, s20, 0x64006400
	v_lshrrev_b32_e32 v51, 8, v3
	v_pk_fma_f16 v1, 0x3400, v35, v54 op_sel_hi:[0,1,1]
	v_pk_add_f16 v2, v43, v36
	v_pk_fma_f16 v3, 0x3400, v37, v45 op_sel_hi:[0,1,1]
	v_pk_add_f16 v37, v44, v49
	v_pk_add_f16 v36, v50, v58
	s_wait_dscnt 0x2
	v_pk_fma_f16 v49, v0, v56, 0
	v_pk_fma_f16 v34, 0x3400, v55, v53 op_sel_hi:[0,1,1]
	v_pk_fma_f16 v35, 0x3400, v59, v52 op_sel_hi:[0,1,1]
	s_wait_dscnt 0x1
	v_pk_fma_f16 v59, v0, v70, 0
	v_pk_fma_f16 v60, v2, v70, 0
	;; [unrolled: 1-line block ×10, first 2 shown]
	ds_load_2addr_b32 v[70:71], v10 offset0:192 offset1:193
	v_pk_fma_f16 v58, v37, v56, 0
	v_pk_fma_f16 v56, v36, v56, 0
	s_wait_dscnt 0x1
	v_pk_fma_f16 v49, v2, v72, 0
	v_pk_fma_f16 v64, v3, v57, v55
	;; [unrolled: 1-line block ×8, first 2 shown]
	v_sub_f16_e32 v72, 0xd400, v38
	v_sub_f16_e32 v38, 0xcc00, v38
	v_pk_fma_f16 v55, v1, v73, v55
	v_pk_fma_f16 v58, v35, v73, v49
	v_pk_fma_f16 v57, v34, v73, v57
	v_and_b32_e32 v92, 0xffff, v72
	v_and_b32_e32 v38, 0xffff, v38
	s_wait_dscnt 0x0
	v_pk_fma_f16 v49, v0, v70, 0
	s_delay_alu instid0(VALU_DEP_1) | instskip(SKIP_1) | instid1(VALU_DEP_1)
	v_pk_fma_f16 v80, v1, v71, v49
	v_pk_fma_f16 v49, v2, v70, 0
	v_pk_fma_f16 v83, v3, v71, v49
	v_pk_fma_f16 v49, v37, v70, 0
	s_delay_alu instid0(VALU_DEP_1) | instskip(SKIP_1) | instid1(VALU_DEP_1)
	v_pk_fma_f16 v86, v34, v71, v49
	v_pk_fma_f16 v49, v36, v70, 0
	;; [unrolled: 1-line block ×3, first 2 shown]
	v_mov_b32_e32 v49, s21
	s_add_co_i32 s21, s1, 0x500
	ds_load_2addr_b32 v[70:71], v49 offset1:1
	s_wait_dscnt 0x0
	v_pk_fma_f16 v49, v0, v70, 0
	s_delay_alu instid0(VALU_DEP_1) | instskip(SKIP_1) | instid1(VALU_DEP_1)
	v_pk_fma_f16 v81, v1, v71, v49
	v_pk_fma_f16 v49, v2, v70, 0
	v_pk_fma_f16 v84, v3, v71, v49
	v_pk_fma_f16 v49, v37, v70, 0
	s_delay_alu instid0(VALU_DEP_1) | instskip(SKIP_1) | instid1(VALU_DEP_1)
	v_pk_fma_f16 v87, v34, v71, v49
	v_pk_fma_f16 v49, v36, v70, 0
	;; [unrolled: 1-line block ×3, first 2 shown]
	v_mov_b32_e32 v49, s21
	s_add_co_i32 s21, s1, 0x408
	ds_load_2addr_b32 v[70:71], v49 offset1:1
	s_wait_dscnt 0x0
	v_pk_fma_f16 v49, v0, v70, 0
	s_delay_alu instid0(VALU_DEP_1) | instskip(SKIP_1) | instid1(VALU_DEP_1)
	v_pk_fma_f16 v82, v1, v71, v49
	v_pk_fma_f16 v49, v2, v70, 0
	;; [unrolled: 1-line block ×4, first 2 shown]
	s_delay_alu instid0(VALU_DEP_1) | instskip(SKIP_3) | instid1(VALU_DEP_3)
	v_pk_fma_f16 v88, v34, v71, v49
	v_pk_fma_f16 v49, v36, v70, 0
	v_sub_f16_e32 v70, 0xd400, v47
	v_sub_f16_e32 v47, 0xcc00, v47
	v_pk_fma_f16 v91, v35, v71, v49
	v_sub_f16_e32 v49, 0xd400, v46
	v_sub_f16_e32 v46, 0xcc00, v46
	;; [unrolled: 1-line block ×4, first 2 shown]
	v_and_b32_e32 v70, 0xffff, v70
	v_and_b32_e32 v49, 0xffff, v49
	;; [unrolled: 1-line block ×6, first 2 shown]
	v_mul_u32_u24_e32 v75, 0x10001, v70
	v_mul_u32_u24_e32 v72, 0x10001, v46
	;; [unrolled: 1-line block ×6, first 2 shown]
	v_pk_fma_f16 v46, 0x2400, v41, v72 op_sel_hi:[0,1,1]
	v_pk_fma_f16 v41, 0x2c00, v68, v77 op_sel_hi:[0,1,1]
	;; [unrolled: 1-line block ×3, first 2 shown]
	ds_load_2addr_b32 v[68:69], v10 offset0:2 offset1:3
	v_pk_fma_f16 v49, 0x2c00, v48, v75 op_sel_hi:[0,1,1]
	v_mul_u32_u24_e32 v71, 0x10001, v92
	v_mul_u32_u24_e32 v70, 0x10001, v38
	v_pk_fma_f16 v48, 0x2400, v67, v73 op_sel_hi:[0,1,1]
	v_pk_fma_f16 v47, 0x2c00, v40, v74 op_sel_hi:[0,1,1]
	s_delay_alu instid0(VALU_DEP_4) | instskip(NEXT) | instid1(VALU_DEP_4)
	v_pk_fma_f16 v40, 0x2c00, v78, v71 op_sel_hi:[0,1,1]
	v_pk_fma_f16 v38, 0x2400, v79, v70 op_sel_hi:[0,1,1]
	s_wait_dscnt 0x0
	v_pk_fma_f16 v64, v49, v68, v64
	v_pk_fma_f16 v65, v41, v68, v65
	v_pk_fma_f16 v66, v40, v68, v66
	v_pk_fma_f16 v63, v47, v68, v63
	s_delay_alu instid0(VALU_DEP_4) | instskip(NEXT) | instid1(VALU_DEP_4)
	v_pk_fma_f16 v78, v48, v69, v64
	v_pk_fma_f16 v79, v39, v69, v65
	ds_load_2addr_b32 v[64:65], v10 offset0:66 offset1:67
	v_pk_fma_f16 v92, v38, v69, v66
	v_pk_fma_f16 v63, v46, v69, v63
	s_wait_dscnt 0x0
	v_pk_fma_f16 v60, v49, v64, v60
	v_pk_fma_f16 v61, v41, v64, v61
	v_pk_fma_f16 v59, v47, v64, v59
	v_pk_fma_f16 v62, v40, v64, v62
	s_delay_alu instid0(VALU_DEP_4) | instskip(NEXT) | instid1(VALU_DEP_4)
	v_pk_fma_f16 v64, v48, v65, v60
	v_pk_fma_f16 v93, v39, v65, v61
	ds_load_2addr_b32 v[60:61], v10 offset0:130 offset1:131
	v_pk_fma_f16 v59, v46, v65, v59
	v_pk_fma_f16 v62, v38, v65, v62
	;; [unrolled: 11-line block ×3, first 2 shown]
	s_wait_dscnt 0x0
	v_pk_fma_f16 v61, v47, v56, v80
	v_pk_fma_f16 v66, v49, v56, v83
	;; [unrolled: 1-line block ×4, first 2 shown]
	s_delay_alu instid0(VALU_DEP_4) | instskip(NEXT) | instid1(VALU_DEP_4)
	v_pk_fma_f16 v61, v46, v57, v61
	v_pk_fma_f16 v80, v48, v57, v66
	s_delay_alu instid0(VALU_DEP_4) | instskip(NEXT) | instid1(VALU_DEP_4)
	v_pk_fma_f16 v83, v39, v57, v67
	v_pk_fma_f16 v86, v38, v57, v56
	v_mov_b32_e32 v56, s21
	s_add_co_i32 s21, s1, 0x508
	ds_load_2addr_b32 v[56:57], v56 offset1:1
	s_wait_dscnt 0x0
	v_pk_fma_f16 v66, v47, v56, v81
	v_pk_fma_f16 v67, v49, v56, v84
	;; [unrolled: 1-line block ×4, first 2 shown]
	s_delay_alu instid0(VALU_DEP_4) | instskip(NEXT) | instid1(VALU_DEP_4)
	v_pk_fma_f16 v81, v46, v57, v66
	v_pk_fma_f16 v84, v48, v57, v67
	s_delay_alu instid0(VALU_DEP_4) | instskip(NEXT) | instid1(VALU_DEP_4)
	v_pk_fma_f16 v87, v39, v57, v68
	v_pk_fma_f16 v89, v38, v57, v56
	v_mov_b32_e32 v56, s21
	s_add_co_i32 s21, s1, 0x410
	ds_load_2addr_b32 v[56:57], v56 offset1:1
	s_wait_dscnt 0x0
	v_pk_fma_f16 v66, v47, v56, v82
	v_pk_fma_f16 v67, v49, v56, v85
	;; [unrolled: 1-line block ×4, first 2 shown]
	s_delay_alu instid0(VALU_DEP_4) | instskip(NEXT) | instid1(VALU_DEP_4)
	v_pk_fma_f16 v85, v46, v57, v66
	v_pk_fma_f16 v88, v48, v57, v67
	s_delay_alu instid0(VALU_DEP_4) | instskip(NEXT) | instid1(VALU_DEP_4)
	v_pk_fma_f16 v90, v39, v57, v68
	v_pk_fma_f16 v56, v38, v57, v56
	v_and_or_b32 v57, v11, s19, 0x64006400
	s_delay_alu instid0(VALU_DEP_1) | instskip(SKIP_1) | instid1(VALU_DEP_1)
	v_pk_add_f16 v66, v42, v57
	v_and_or_b32 v42, v11, s5, 0x64006400
	v_pk_fma_f16 v67, 0x3400, v42, v54 op_sel_hi:[0,1,1]
	v_and_or_b32 v42, v12, s19, 0x64006400
	s_delay_alu instid0(VALU_DEP_1) | instskip(SKIP_1) | instid1(VALU_DEP_1)
	v_pk_add_f16 v68, v43, v42
	v_and_or_b32 v42, v12, s5, 0x64006400
	v_pk_fma_f16 v69, 0x3400, v42, v45 op_sel_hi:[0,1,1]
	;; [unrolled: 5-line block ×4, first 2 shown]
	ds_load_2addr_b32 v[52:53], v10 offset0:4 offset1:5
	s_wait_dscnt 0x0
	v_pk_fma_f16 v50, v66, v52, v63
	v_pk_fma_f16 v54, v68, v52, v78
	v_pk_fma_f16 v57, v45, v52, v79
	v_pk_fma_f16 v52, v44, v52, v92
	s_delay_alu instid0(VALU_DEP_4) | instskip(NEXT) | instid1(VALU_DEP_4)
	v_pk_fma_f16 v78, v67, v53, v50
	v_pk_fma_f16 v54, v69, v53, v54
	s_delay_alu instid0(VALU_DEP_4) | instskip(NEXT) | instid1(VALU_DEP_4)
	v_pk_fma_f16 v57, v43, v53, v57
	v_pk_fma_f16 v79, v42, v53, v52
	ds_load_2addr_b32 v[52:53], v10 offset0:68 offset1:69
	s_wait_dscnt 0x0
	v_pk_fma_f16 v50, v66, v52, v59
	v_pk_fma_f16 v59, v68, v52, v64
	v_pk_fma_f16 v63, v45, v52, v93
	v_pk_fma_f16 v52, v44, v52, v62
	s_delay_alu instid0(VALU_DEP_4) | instskip(NEXT) | instid1(VALU_DEP_4)
	v_pk_fma_f16 v91, v67, v53, v50
	v_pk_fma_f16 v59, v69, v53, v59
	s_delay_alu instid0(VALU_DEP_4) | instskip(NEXT) | instid1(VALU_DEP_4)
	v_pk_fma_f16 v92, v43, v53, v63
	v_pk_fma_f16 v93, v42, v53, v52
	;; [unrolled: 12-line block ×3, first 2 shown]
	ds_load_2addr_b32 v[52:53], v10 offset0:196 offset1:197
	s_wait_dscnt 0x0
	v_pk_fma_f16 v50, v66, v52, v61
	v_pk_fma_f16 v55, v68, v52, v80
	;; [unrolled: 1-line block ×4, first 2 shown]
	s_delay_alu instid0(VALU_DEP_4)
	v_pk_fma_f16 v96, v67, v53, v50
	v_mov_b32_e32 v50, s21
	v_pk_fma_f16 v97, v69, v53, v55
	v_pk_fma_f16 v61, v43, v53, v61
	;; [unrolled: 1-line block ×3, first 2 shown]
	s_add_co_i32 s21, s1, 0x510
	ds_load_2addr_b32 v[52:53], v50 offset1:1
	s_wait_dscnt 0x0
	v_pk_fma_f16 v50, v66, v52, v81
	v_pk_fma_f16 v55, v68, v52, v84
	;; [unrolled: 1-line block ×4, first 2 shown]
	s_delay_alu instid0(VALU_DEP_4)
	v_pk_fma_f16 v62, v67, v53, v50
	v_mov_b32_e32 v50, s21
	v_pk_fma_f16 v63, v69, v53, v55
	v_pk_fma_f16 v82, v43, v53, v64
	;; [unrolled: 1-line block ×3, first 2 shown]
	s_add_co_i32 s21, s1, 0x418
	ds_load_2addr_b32 v[52:53], v50 offset1:1
	s_wait_dscnt 0x0
	v_pk_fma_f16 v50, v66, v52, v85
	v_pk_fma_f16 v55, v68, v52, v88
	;; [unrolled: 1-line block ×4, first 2 shown]
	s_delay_alu instid0(VALU_DEP_4) | instskip(SKIP_2) | instid1(VALU_DEP_4)
	v_pk_fma_f16 v64, v67, v53, v50
	v_and_or_b32 v50, v11, s13, 0x64006400
	v_and_or_b32 v11, v11, s20, 0x64006400
	v_pk_fma_f16 v87, v42, v53, v52
	v_pk_fma_f16 v65, v69, v53, v55
	;; [unrolled: 1-line block ×3, first 2 shown]
	v_pk_fma_f16 v74, 0x2c00, v50, v74 op_sel_hi:[0,1,1]
	v_pk_fma_f16 v72, 0x2400, v11, v72 op_sel_hi:[0,1,1]
	v_and_or_b32 v11, v12, s13, 0x64006400
	s_delay_alu instid0(VALU_DEP_1) | instskip(SKIP_1) | instid1(VALU_DEP_1)
	v_pk_fma_f16 v75, 0x2c00, v11, v75 op_sel_hi:[0,1,1]
	v_and_or_b32 v11, v12, s20, 0x64006400
	v_pk_fma_f16 v73, 0x2400, v11, v73 op_sel_hi:[0,1,1]
	v_and_or_b32 v11, v13, s13, 0x64006400
	s_delay_alu instid0(VALU_DEP_1) | instskip(SKIP_4) | instid1(VALU_DEP_1)
	v_pk_fma_f16 v52, 0x2c00, v11, v77 op_sel_hi:[0,1,1]
	v_and_or_b32 v11, v13, s20, 0x64006400
	ds_load_2addr_b32 v[12:13], v10 offset0:6 offset1:7
	v_pk_fma_f16 v50, 0x2400, v11, v76 op_sel_hi:[0,1,1]
	v_and_or_b32 v11, v51, s13, 0x64006400
	v_pk_fma_f16 v53, 0x2c00, v11, v71 op_sel_hi:[0,1,1]
	v_and_or_b32 v11, v51, s20, 0x64006400
	s_delay_alu instid0(VALU_DEP_1)
	v_pk_fma_f16 v51, 0x2400, v11, v70 op_sel_hi:[0,1,1]
	s_wait_dscnt 0x0
	v_pk_fma_f16 v11, v74, v12, v78
	v_pk_fma_f16 v54, v75, v12, v54
	;; [unrolled: 1-line block ×4, first 2 shown]
	s_delay_alu instid0(VALU_DEP_4) | instskip(NEXT) | instid1(VALU_DEP_4)
	v_pk_fma_f16 v80, v72, v13, v11
	v_pk_fma_f16 v81, v73, v13, v54
	s_delay_alu instid0(VALU_DEP_4) | instskip(NEXT) | instid1(VALU_DEP_4)
	v_pk_fma_f16 v54, v50, v13, v55
	v_pk_fma_f16 v55, v51, v13, v12
	ds_load_2addr_b32 v[12:13], v10 offset0:70 offset1:71
	s_wait_dscnt 0x0
	v_pk_fma_f16 v11, v74, v12, v91
	v_pk_fma_f16 v56, v75, v12, v59
	v_pk_fma_f16 v57, v52, v12, v92
	v_pk_fma_f16 v12, v53, v12, v93
	s_delay_alu instid0(VALU_DEP_4) | instskip(NEXT) | instid1(VALU_DEP_4)
	v_pk_fma_f16 v76, v72, v13, v11
	v_pk_fma_f16 v77, v73, v13, v56
	s_delay_alu instid0(VALU_DEP_4) | instskip(NEXT) | instid1(VALU_DEP_4)
	v_pk_fma_f16 v56, v50, v13, v57
	v_pk_fma_f16 v57, v51, v13, v12
	ds_load_2addr_b32 v[12:13], v10 offset0:134 offset1:135
	s_wait_dscnt 0x0
	v_pk_fma_f16 v11, v74, v12, v58
	v_pk_fma_f16 v58, v75, v12, v94
	;; [unrolled: 1-line block ×4, first 2 shown]
	s_delay_alu instid0(VALU_DEP_4)
	v_pk_fma_f16 v78, v72, v13, v11
	ds_load_2addr_b32 v[10:11], v10 offset0:198 offset1:199
	v_pk_fma_f16 v79, v73, v13, v58
	v_pk_fma_f16 v58, v50, v13, v59
	;; [unrolled: 1-line block ×3, first 2 shown]
	s_wait_dscnt 0x0
	v_pk_fma_f16 v12, v74, v10, v96
	v_pk_fma_f16 v13, v75, v10, v97
	v_pk_fma_f16 v60, v52, v10, v61
	v_pk_fma_f16 v10, v53, v10, v98
	s_delay_alu instid0(VALU_DEP_4) | instskip(NEXT) | instid1(VALU_DEP_4)
	v_pk_fma_f16 v84, v72, v11, v12
	v_pk_fma_f16 v85, v73, v11, v13
	s_delay_alu instid0(VALU_DEP_4) | instskip(NEXT) | instid1(VALU_DEP_4)
	v_pk_fma_f16 v60, v50, v11, v60
	v_pk_fma_f16 v61, v51, v11, v10
	v_mov_b32_e32 v10, s21
	s_add_co_i32 s21, s1, 0x518
	ds_load_2addr_b32 v[10:11], v10 offset1:1
	s_wait_dscnt 0x0
	v_pk_fma_f16 v12, v74, v10, v62
	v_pk_fma_f16 v13, v75, v10, v63
	v_pk_fma_f16 v62, v52, v10, v82
	v_pk_fma_f16 v10, v53, v10, v83
	s_delay_alu instid0(VALU_DEP_4) | instskip(NEXT) | instid1(VALU_DEP_4)
	v_pk_fma_f16 v82, v72, v11, v12
	v_pk_fma_f16 v83, v73, v11, v13
	s_delay_alu instid0(VALU_DEP_4) | instskip(NEXT) | instid1(VALU_DEP_4)
	v_pk_fma_f16 v62, v50, v11, v62
	v_pk_fma_f16 v63, v51, v11, v10
	v_mov_b32_e32 v10, s21
	s_add_co_i32 s21, s1, 0x600
	ds_load_2addr_b32 v[10:11], v10 offset1:1
	;; [unrolled: 14-line block ×3, first 2 shown]
	s_wait_dscnt 0x0
	v_pk_fma_f16 v0, v0, v12, 0
	v_pk_fma_f16 v37, v37, v12, 0
	s_delay_alu instid0(VALU_DEP_2)
	v_pk_fma_f16 v0, v1, v13, v0
	v_pk_fma_f16 v1, v2, v12, 0
	v_mov_b32_e32 v2, s21
	s_add_co_i32 s21, s1, 0x610
	v_pk_fma_f16 v12, v36, v12, 0
	v_pk_fma_f16 v34, v34, v13, v37
	v_pk_fma_f16 v1, v3, v13, v1
	ds_load_2addr_b32 v[10:11], v2 offset1:1
	v_pack_b32_f16 v37, v70, v71
	v_pk_fma_f16 v12, v35, v13, v12
	v_pack_b32_f16 v13, v82, v83
	v_perm_b32 v35, v83, v82, 0x7060302
	s_delay_alu instid0(VALU_DEP_1) | instskip(NEXT) | instid1(VALU_DEP_1)
	v_pk_add_f16 v13, v13, v35
	v_pk_fma_f16 v19, v13, v6, v19
	v_pack_b32_f16 v13, v56, v57
	s_wait_dscnt 0x0
	v_pk_fma_f16 v0, v47, v10, v0
	v_pk_fma_f16 v1, v49, v10, v1
	;; [unrolled: 1-line block ×4, first 2 shown]
	v_perm_b32 v12, v71, v70, 0x7060302
	v_pk_fma_f16 v2, v46, v11, v0
	v_mov_b32_e32 v0, s21
	v_pk_fma_f16 v3, v48, v11, v1
	s_add_co_i32 s21, s1, 0x618
	v_pk_fma_f16 v34, v39, v11, v34
	v_pk_fma_f16 v10, v38, v11, v10
	ds_load_2addr_b32 v[0:1], v0 offset1:1
	v_pk_add_f16 v11, v37, v12
	v_pack_b32_f16 v48, v80, v81
	v_perm_b32 v49, v81, v80, 0x7060302
	s_add_co_i32 s1, s1, 32
	s_cmp_ge_i32 s15, s16
	v_pk_fma_f16 v17, v11, v6, v17
	s_delay_alu instid0(VALU_DEP_2) | instskip(SKIP_1) | instid1(VALU_DEP_2)
	v_pk_add_f16 v48, v48, v49
	v_pack_b32_f16 v49, v76, v77
	v_pk_fma_f16 v27, v48, v6, v27
	s_wait_dscnt 0x0
	v_pk_fma_f16 v2, v66, v0, v2
	v_pk_fma_f16 v3, v68, v0, v3
	v_pk_fma_f16 v34, v45, v0, v34
	v_pk_fma_f16 v0, v44, v0, v10
	v_perm_b32 v66, v77, v76, 0x7060302
	v_pk_fma_f16 v46, v67, v1, v2
	v_mov_b32_e32 v2, s21
	v_pk_fma_f16 v47, v69, v1, v3
	v_pk_fma_f16 v11, v43, v1, v34
	;; [unrolled: 1-line block ×3, first 2 shown]
	v_pack_b32_f16 v1, v54, v55
	ds_load_2addr_b32 v[2:3], v2 offset1:1
	v_perm_b32 v34, v57, v56, 0x7060302
	v_pack_b32_f16 v67, v78, v79
	v_perm_b32 v68, v79, v78, 0x7060302
	v_pk_add_f16 v48, v49, v66
	v_pack_b32_f16 v66, v84, v85
	s_delay_alu instid0(VALU_DEP_3) | instskip(SKIP_1) | instid1(VALU_DEP_4)
	v_pk_add_f16 v49, v67, v68
	v_perm_b32 v67, v85, v84, 0x7060302
	v_pk_fma_f16 v25, v48, v6, v25
	s_delay_alu instid0(VALU_DEP_3) | instskip(NEXT) | instid1(VALU_DEP_3)
	v_pk_fma_f16 v23, v49, v6, v23
	v_pk_add_f16 v36, v66, v67
	s_delay_alu instid0(VALU_DEP_1) | instskip(SKIP_4) | instid1(VALU_DEP_3)
	v_pk_fma_f16 v21, v36, v6, v21
	s_wait_dscnt 0x0
	v_pk_fma_f16 v46, v74, v2, v46
	v_pk_fma_f16 v47, v75, v2, v47
	;; [unrolled: 1-line block ×4, first 2 shown]
	s_delay_alu instid0(VALU_DEP_3) | instskip(NEXT) | instid1(VALU_DEP_3)
	v_pk_fma_f16 v47, v73, v3, v47
	v_pk_fma_f16 v0, v51, v3, v0
	s_delay_alu instid0(VALU_DEP_2) | instskip(SKIP_1) | instid1(VALU_DEP_1)
	v_pack_b32_f16 v12, v46, v47
	v_perm_b32 v35, v47, v46, 0x7060302
	v_pk_add_f16 v10, v12, v35
	v_perm_b32 v12, v55, v54, 0x7060302
	s_delay_alu instid0(VALU_DEP_2) | instskip(SKIP_1) | instid1(VALU_DEP_3)
	v_pk_fma_f16 v15, v10, v6, v15
	v_pk_fma_f16 v10, v52, v2, v11
	v_pk_add_f16 v1, v1, v12
	v_pk_add_f16 v2, v13, v34
	v_pack_b32_f16 v11, v58, v59
	v_perm_b32 v12, v59, v58, 0x7060302
	v_pk_fma_f16 v10, v50, v3, v10
	v_pk_fma_f16 v26, v1, v7, v26
	;; [unrolled: 1-line block ×3, first 2 shown]
	v_pack_b32_f16 v2, v60, v61
	v_pk_add_f16 v1, v11, v12
	v_perm_b32 v3, v61, v60, 0x7060302
	v_pack_b32_f16 v11, v62, v63
	v_perm_b32 v12, v63, v62, 0x7060302
	v_pack_b32_f16 v13, v64, v65
	;; [unrolled: 2-line block ×3, first 2 shown]
	v_perm_b32 v0, v0, v10, 0x7060302
	v_pk_add_f16 v2, v2, v3
	v_pk_add_f16 v3, v11, v12
	;; [unrolled: 1-line block ×3, first 2 shown]
	v_pk_fma_f16 v22, v1, v7, v22
	v_pk_add_f16 v0, v35, v0
	v_pk_fma_f16 v20, v2, v7, v20
	v_pk_fma_f16 v18, v3, v7, v18
	;; [unrolled: 1-line block ×3, first 2 shown]
	s_delay_alu instid0(VALU_DEP_4)
	v_pk_fma_f16 v14, v0, v7, v14
	s_cbranch_scc1 .LBB39_22
.LBB39_20:                              ; =>This Inner Loop Header: Depth=1
	s_cmp_lg_u32 s15, s12
	s_cbranch_scc1 .LBB39_19
; %bb.21:                               ;   in Loop: Header=BB39_20 Depth=1
	s_add_co_i32 s17, s17, 1
	s_add_co_i32 s12, s12, s0
	s_mul_i32 s21, s17, s4
	s_delay_alu instid0(SALU_CYCLE_1) | instskip(SKIP_2) | instid1(SALU_CYCLE_1)
	s_ashr_i32 s22, s21, 31
	v_add_nc_u32_e32 v0, s21, v4
	s_lshr_b32 s22, s22, 28
	s_add_co_i32 s22, s21, s22
	s_delay_alu instid0(SALU_CYCLE_1) | instskip(NEXT) | instid1(SALU_CYCLE_1)
	s_ashr_i32 s22, s22, 4
	v_add_nc_u32_e32 v1, s22, v28
	global_load_b32 v2, v1, s[2:3] scale_offset
	s_wait_xcnt 0x0
	v_ashrrev_i32_e32 v1, 31, v0
	s_delay_alu instid0(VALU_DEP_1)
	v_lshl_add_u64 v[0:1], v[0:1], 1, s[8:9]
	global_load_b64 v[6:7], v[0:1], off
	s_wait_loadcnt 0x1
	s_wait_xcnt 0x0
	v_lshrrev_b32_e32 v0, v29, v2
	v_bfe_u32 v5, v2, v29, 2
	s_delay_alu instid0(VALU_DEP_2)
	v_bfe_u32 v31, v0, 2, 2
	v_bfe_u32 v32, v0, 4, 2
	;; [unrolled: 1-line block ×3, first 2 shown]
	s_branch .LBB39_19
.LBB39_22:
	v_mad_u32 v0, s14, s4, v4
	s_mov_b32 s0, 0
	s_delay_alu instid0(VALU_DEP_1) | instskip(SKIP_1) | instid1(VALU_DEP_1)
	v_ashrrev_i32_e32 v1, 31, v0
	s_wait_kmcnt 0x0
	v_lshl_add_u64 v[2:3], v[0:1], 1, s[10:11]
	global_load_b32 v5, v[2:3], off
.LBB39_23:                              ; =>This Inner Loop Header: Depth=1
	s_wait_loadcnt 0x0
	v_pk_add_f16 v4, v27, v5
	global_atomic_cmpswap_b32 v1, v[2:3], v[4:5], off th:TH_ATOMIC_RETURN scope:SCOPE_DEV
	s_wait_loadcnt 0x0
	v_cmp_eq_u32_e32 vcc_lo, v5, v1
	v_mov_b32_e32 v5, v1
	s_or_b32 s0, vcc_lo, s0
	s_delay_alu instid0(SALU_CYCLE_1)
	s_and_not1_b32 exec_lo, exec_lo, s0
	s_cbranch_execnz .LBB39_23
; %bb.24:
	s_or_b32 exec_lo, exec_lo, s0
	global_load_b32 v5, v[2:3], off offset:4
	s_mov_b32 s0, 0
.LBB39_25:                              ; =>This Inner Loop Header: Depth=1
	s_wait_loadcnt 0x0
	v_pk_add_f16 v4, v26, v5
	global_atomic_cmpswap_b32 v1, v[2:3], v[4:5], off offset:4 th:TH_ATOMIC_RETURN scope:SCOPE_DEV
	s_wait_loadcnt 0x0
	v_cmp_eq_u32_e32 vcc_lo, v5, v1
	v_mov_b32_e32 v5, v1
	s_or_b32 s0, vcc_lo, s0
	s_delay_alu instid0(SALU_CYCLE_1)
	s_and_not1_b32 exec_lo, exec_lo, s0
	s_cbranch_execnz .LBB39_25
; %bb.26:
	s_or_b32 exec_lo, exec_lo, s0
	v_add_nc_u32_e32 v0, s4, v0
	s_mov_b32 s0, 0
	s_delay_alu instid0(VALU_DEP_1) | instskip(NEXT) | instid1(VALU_DEP_1)
	v_ashrrev_i32_e32 v1, 31, v0
	v_lshl_add_u64 v[2:3], v[0:1], 1, s[10:11]
	global_load_b32 v5, v[2:3], off
.LBB39_27:                              ; =>This Inner Loop Header: Depth=1
	s_wait_loadcnt 0x0
	v_pk_add_f16 v4, v25, v5
	global_atomic_cmpswap_b32 v1, v[2:3], v[4:5], off th:TH_ATOMIC_RETURN scope:SCOPE_DEV
	s_wait_loadcnt 0x0
	v_cmp_eq_u32_e32 vcc_lo, v5, v1
	v_mov_b32_e32 v5, v1
	s_or_b32 s0, vcc_lo, s0
	s_delay_alu instid0(SALU_CYCLE_1)
	s_and_not1_b32 exec_lo, exec_lo, s0
	s_cbranch_execnz .LBB39_27
; %bb.28:
	s_or_b32 exec_lo, exec_lo, s0
	global_load_b32 v5, v[2:3], off offset:4
	s_mov_b32 s0, 0
.LBB39_29:                              ; =>This Inner Loop Header: Depth=1
	s_wait_loadcnt 0x0
	v_pk_add_f16 v4, v24, v5
	global_atomic_cmpswap_b32 v1, v[2:3], v[4:5], off offset:4 th:TH_ATOMIC_RETURN scope:SCOPE_DEV
	s_wait_loadcnt 0x0
	v_cmp_eq_u32_e32 vcc_lo, v5, v1
	v_mov_b32_e32 v5, v1
	s_or_b32 s0, vcc_lo, s0
	s_delay_alu instid0(SALU_CYCLE_1)
	s_and_not1_b32 exec_lo, exec_lo, s0
	s_cbranch_execnz .LBB39_29
; %bb.30:
	s_or_b32 exec_lo, exec_lo, s0
	v_add_nc_u32_e32 v0, s4, v0
	s_mov_b32 s0, 0
	s_delay_alu instid0(VALU_DEP_1) | instskip(NEXT) | instid1(VALU_DEP_1)
	v_ashrrev_i32_e32 v1, 31, v0
	;; [unrolled: 34-line block ×6, first 2 shown]
	v_lshl_add_u64 v[0:1], v[0:1], 1, s[10:11]
	global_load_b32 v3, v[0:1], off
.LBB39_47:                              ; =>This Inner Loop Header: Depth=1
	s_wait_loadcnt 0x0
	v_pk_add_f16 v2, v15, v3
	global_atomic_cmpswap_b32 v2, v[0:1], v[2:3], off th:TH_ATOMIC_RETURN scope:SCOPE_DEV
	s_wait_loadcnt 0x0
	v_cmp_eq_u32_e32 vcc_lo, v3, v2
	v_mov_b32_e32 v3, v2
	s_or_b32 s0, vcc_lo, s0
	s_delay_alu instid0(SALU_CYCLE_1)
	s_and_not1_b32 exec_lo, exec_lo, s0
	s_cbranch_execnz .LBB39_47
; %bb.48:
	s_or_b32 exec_lo, exec_lo, s0
	global_load_b32 v3, v[0:1], off offset:4
	s_mov_b32 s0, 0
.LBB39_49:                              ; =>This Inner Loop Header: Depth=1
	s_wait_loadcnt 0x0
	v_pk_add_f16 v2, v14, v3
	global_atomic_cmpswap_b32 v2, v[0:1], v[2:3], off offset:4 th:TH_ATOMIC_RETURN scope:SCOPE_DEV
	s_wait_loadcnt 0x0
	v_cmp_eq_u32_e32 vcc_lo, v3, v2
	v_mov_b32_e32 v3, v2
	s_or_b32 s0, vcc_lo, s0
	s_delay_alu instid0(SALU_CYCLE_1)
	s_and_not1_b32 exec_lo, exec_lo, s0
	s_cbranch_execnz .LBB39_49
.LBB39_50:
	s_endpgm
	.section	.rodata,"a",@progbits
	.p2align	6, 0x0
	.amdhsa_kernel _ZN4vllm4gptq33gemm_half_q_half_gptq_2bit_kernelILb1ELi7EEEvPK6__halfPKjS6_S4_PS2_iiiibPKi
		.amdhsa_group_segment_fixed_size 1792
		.amdhsa_private_segment_fixed_size 0
		.amdhsa_kernarg_size 72
		.amdhsa_user_sgpr_count 2
		.amdhsa_user_sgpr_dispatch_ptr 0
		.amdhsa_user_sgpr_queue_ptr 0
		.amdhsa_user_sgpr_kernarg_segment_ptr 1
		.amdhsa_user_sgpr_dispatch_id 0
		.amdhsa_user_sgpr_kernarg_preload_length 0
		.amdhsa_user_sgpr_kernarg_preload_offset 0
		.amdhsa_user_sgpr_private_segment_size 0
		.amdhsa_wavefront_size32 1
		.amdhsa_uses_dynamic_stack 0
		.amdhsa_enable_private_segment 0
		.amdhsa_system_sgpr_workgroup_id_x 1
		.amdhsa_system_sgpr_workgroup_id_y 1
		.amdhsa_system_sgpr_workgroup_id_z 1
		.amdhsa_system_sgpr_workgroup_info 0
		.amdhsa_system_vgpr_workitem_id 0
		.amdhsa_next_free_vgpr 99
		.amdhsa_next_free_sgpr 23
		.amdhsa_named_barrier_count 0
		.amdhsa_reserve_vcc 1
		.amdhsa_float_round_mode_32 0
		.amdhsa_float_round_mode_16_64 0
		.amdhsa_float_denorm_mode_32 3
		.amdhsa_float_denorm_mode_16_64 3
		.amdhsa_fp16_overflow 0
		.amdhsa_memory_ordered 1
		.amdhsa_forward_progress 1
		.amdhsa_inst_pref_size 56
		.amdhsa_round_robin_scheduling 0
		.amdhsa_exception_fp_ieee_invalid_op 0
		.amdhsa_exception_fp_denorm_src 0
		.amdhsa_exception_fp_ieee_div_zero 0
		.amdhsa_exception_fp_ieee_overflow 0
		.amdhsa_exception_fp_ieee_underflow 0
		.amdhsa_exception_fp_ieee_inexact 0
		.amdhsa_exception_int_div_zero 0
	.end_amdhsa_kernel
	.section	.text._ZN4vllm4gptq33gemm_half_q_half_gptq_2bit_kernelILb1ELi7EEEvPK6__halfPKjS6_S4_PS2_iiiibPKi,"axG",@progbits,_ZN4vllm4gptq33gemm_half_q_half_gptq_2bit_kernelILb1ELi7EEEvPK6__halfPKjS6_S4_PS2_iiiibPKi,comdat
.Lfunc_end39:
	.size	_ZN4vllm4gptq33gemm_half_q_half_gptq_2bit_kernelILb1ELi7EEEvPK6__halfPKjS6_S4_PS2_iiiibPKi, .Lfunc_end39-_ZN4vllm4gptq33gemm_half_q_half_gptq_2bit_kernelILb1ELi7EEEvPK6__halfPKjS6_S4_PS2_iiiibPKi
                                        ; -- End function
	.set _ZN4vllm4gptq33gemm_half_q_half_gptq_2bit_kernelILb1ELi7EEEvPK6__halfPKjS6_S4_PS2_iiiibPKi.num_vgpr, 99
	.set _ZN4vllm4gptq33gemm_half_q_half_gptq_2bit_kernelILb1ELi7EEEvPK6__halfPKjS6_S4_PS2_iiiibPKi.num_agpr, 0
	.set _ZN4vllm4gptq33gemm_half_q_half_gptq_2bit_kernelILb1ELi7EEEvPK6__halfPKjS6_S4_PS2_iiiibPKi.numbered_sgpr, 23
	.set _ZN4vllm4gptq33gemm_half_q_half_gptq_2bit_kernelILb1ELi7EEEvPK6__halfPKjS6_S4_PS2_iiiibPKi.num_named_barrier, 0
	.set _ZN4vllm4gptq33gemm_half_q_half_gptq_2bit_kernelILb1ELi7EEEvPK6__halfPKjS6_S4_PS2_iiiibPKi.private_seg_size, 0
	.set _ZN4vllm4gptq33gemm_half_q_half_gptq_2bit_kernelILb1ELi7EEEvPK6__halfPKjS6_S4_PS2_iiiibPKi.uses_vcc, 1
	.set _ZN4vllm4gptq33gemm_half_q_half_gptq_2bit_kernelILb1ELi7EEEvPK6__halfPKjS6_S4_PS2_iiiibPKi.uses_flat_scratch, 0
	.set _ZN4vllm4gptq33gemm_half_q_half_gptq_2bit_kernelILb1ELi7EEEvPK6__halfPKjS6_S4_PS2_iiiibPKi.has_dyn_sized_stack, 0
	.set _ZN4vllm4gptq33gemm_half_q_half_gptq_2bit_kernelILb1ELi7EEEvPK6__halfPKjS6_S4_PS2_iiiibPKi.has_recursion, 0
	.set _ZN4vllm4gptq33gemm_half_q_half_gptq_2bit_kernelILb1ELi7EEEvPK6__halfPKjS6_S4_PS2_iiiibPKi.has_indirect_call, 0
	.section	.AMDGPU.csdata,"",@progbits
; Kernel info:
; codeLenInByte = 7104
; TotalNumSgprs: 25
; NumVgprs: 99
; ScratchSize: 0
; MemoryBound: 0
; FloatMode: 240
; IeeeMode: 1
; LDSByteSize: 1792 bytes/workgroup (compile time only)
; SGPRBlocks: 0
; VGPRBlocks: 6
; NumSGPRsForWavesPerEU: 25
; NumVGPRsForWavesPerEU: 99
; NamedBarCnt: 0
; Occupancy: 9
; WaveLimiterHint : 0
; COMPUTE_PGM_RSRC2:SCRATCH_EN: 0
; COMPUTE_PGM_RSRC2:USER_SGPR: 2
; COMPUTE_PGM_RSRC2:TRAP_HANDLER: 0
; COMPUTE_PGM_RSRC2:TGID_X_EN: 1
; COMPUTE_PGM_RSRC2:TGID_Y_EN: 1
; COMPUTE_PGM_RSRC2:TGID_Z_EN: 1
; COMPUTE_PGM_RSRC2:TIDIG_COMP_CNT: 0
	.section	.text._ZN4vllm4gptq33gemm_half_q_half_gptq_3bit_kernelILb1ELi7EEEvPK6__halfPKjS6_S4_PS2_iiiibPKi,"axG",@progbits,_ZN4vllm4gptq33gemm_half_q_half_gptq_3bit_kernelILb1ELi7EEEvPK6__halfPKjS6_S4_PS2_iiiibPKi,comdat
	.protected	_ZN4vllm4gptq33gemm_half_q_half_gptq_3bit_kernelILb1ELi7EEEvPK6__halfPKjS6_S4_PS2_iiiibPKi ; -- Begin function _ZN4vllm4gptq33gemm_half_q_half_gptq_3bit_kernelILb1ELi7EEEvPK6__halfPKjS6_S4_PS2_iiiibPKi
	.globl	_ZN4vllm4gptq33gemm_half_q_half_gptq_3bit_kernelILb1ELi7EEEvPK6__halfPKjS6_S4_PS2_iiiibPKi
	.p2align	8
	.type	_ZN4vllm4gptq33gemm_half_q_half_gptq_3bit_kernelILb1ELi7EEEvPK6__halfPKjS6_S4_PS2_iiiibPKi,@function
_ZN4vllm4gptq33gemm_half_q_half_gptq_3bit_kernelILb1ELi7EEEvPK6__halfPKjS6_S4_PS2_iiiibPKi: ; @_ZN4vllm4gptq33gemm_half_q_half_gptq_3bit_kernelILb1ELi7EEEvPK6__halfPKjS6_S4_PS2_iiiibPKi
; %bb.0:
	s_clause 0x1
	s_load_b128 s[4:7], s[0:1], 0x2c
	s_load_b64 s[12:13], s[0:1], 0x10
	s_bfe_u32 s2, ttmp6, 0x40014
	s_lshr_b32 s3, ttmp7, 16
	s_add_co_i32 s2, s2, 1
	s_bfe_u32 s9, ttmp6, 0x40010
	s_mul_i32 s2, s3, s2
	s_bfe_u32 s8, ttmp6, 0x40008
	s_and_b32 s10, ttmp7, 0xffff
	s_add_co_i32 s9, s9, 1
	s_add_co_i32 s8, s8, s2
	s_mul_i32 s2, s10, s9
	s_bfe_u32 s9, ttmp6, 0x40004
	s_getreg_b32 s19, hwreg(HW_REG_IB_STS2, 6, 4)
	s_add_co_i32 s9, s9, s2
	s_cmp_eq_u32 s19, 0
	s_cselect_b32 s2, s3, s8
	s_cselect_b32 s16, s10, s9
	s_lshl_b32 s17, s2, 7
	s_wait_kmcnt 0x0
	v_cvt_f64_i32_e32 v[4:5], s5
	s_add_co_i32 s2, s17, 0x80
	s_mul_i32 s16, s16, 7
	v_cvt_f64_u32_e32 v[2:3], s2
	s_mov_b32 s10, exec_lo
	s_delay_alu instid0(VALU_DEP_1) | instskip(NEXT) | instid1(VALU_DEP_1)
	v_min_num_f64_e32 v[2:3], v[2:3], v[4:5]
	v_cvt_i32_f64_e32 v1, v[2:3]
	v_add_nc_u32_e32 v2, s17, v0
	s_delay_alu instid0(VALU_DEP_2) | instskip(NEXT) | instid1(VALU_DEP_2)
	v_readfirstlane_b32 s18, v1
	v_cmpx_lt_u32_e64 v2, v1
	s_cbranch_execz .LBB40_16
; %bb.1:
	s_clause 0x1
	s_load_b64 s[8:9], s[0:1], 0x40
	s_load_b64 s[2:3], s[0:1], 0x0
	v_mov_b32_e32 v3, 0
	s_delay_alu instid0(VALU_DEP_1)
	v_mov_b64_e32 v[6:7], v[2:3]
	s_wait_kmcnt 0x0
	v_lshl_add_u64 v[4:5], v[2:3], 2, s[8:9]
	s_cmp_lg_u64 s[8:9], 0
	s_cselect_b32 s11, -1, 0
	s_cmp_eq_u64 s[8:9], 0
	s_cbranch_scc1 .LBB40_3
; %bb.2:
	global_load_b32 v6, v[4:5], off
	s_wait_loadcnt 0x0
	v_ashrrev_i32_e32 v7, 31, v6
.LBB40_3:
	s_mul_i32 s8, s16, s5
	v_cndmask_b32_e64 v8, 0, 1, s11
	s_ashr_i32 s9, s8, 31
	v_lshlrev_b32_e32 v1, 1, v0
	s_lshl_b64 s[14:15], s[8:9], 1
	s_and_not1_b32 vcc_lo, exec_lo, s11
	s_add_nc_u64 s[14:15], s[2:3], s[14:15]
	s_delay_alu instid0(SALU_CYCLE_1)
	v_lshl_add_u64 v[6:7], v[6:7], 1, s[14:15]
	global_load_u16 v9, v[6:7], off
	s_wait_xcnt 0x0
	v_mov_b64_e32 v[6:7], v[2:3]
	s_wait_loadcnt 0x0
	ds_store_b16 v1, v9
	s_cbranch_vccnz .LBB40_5
; %bb.4:
	global_load_b32 v6, v[4:5], off
	s_wait_loadcnt 0x0
	v_ashrrev_i32_e32 v7, 31, v6
.LBB40_5:
	s_add_co_i32 s8, s8, s5
	v_cmp_ne_u32_e32 vcc_lo, 1, v8
	s_ashr_i32 s9, s8, 31
	s_delay_alu instid0(SALU_CYCLE_1) | instskip(SKIP_2) | instid1(SALU_CYCLE_1)
	s_lshl_b64 s[14:15], s[8:9], 1
	s_and_b32 vcc_lo, exec_lo, vcc_lo
	s_add_nc_u64 s[14:15], s[2:3], s[14:15]
	v_lshl_add_u64 v[6:7], v[6:7], 1, s[14:15]
	global_load_u16 v9, v[6:7], off
	s_wait_xcnt 0x0
	v_mov_b64_e32 v[6:7], v[2:3]
	s_wait_loadcnt 0x0
	ds_store_b16 v1, v9 offset:256
	s_cbranch_vccnz .LBB40_7
; %bb.6:
	global_load_b32 v6, v[4:5], off
	s_wait_loadcnt 0x0
	v_ashrrev_i32_e32 v7, 31, v6
.LBB40_7:
	s_add_co_i32 s8, s8, s5
	v_cmp_ne_u32_e32 vcc_lo, 1, v8
	s_ashr_i32 s9, s8, 31
	s_delay_alu instid0(SALU_CYCLE_1) | instskip(SKIP_2) | instid1(SALU_CYCLE_1)
	s_lshl_b64 s[14:15], s[8:9], 1
	s_and_b32 vcc_lo, exec_lo, vcc_lo
	s_add_nc_u64 s[14:15], s[2:3], s[14:15]
	v_lshl_add_u64 v[6:7], v[6:7], 1, s[14:15]
	global_load_u16 v9, v[6:7], off
	s_wait_xcnt 0x0
	v_mov_b64_e32 v[6:7], v[2:3]
	s_wait_loadcnt 0x0
	ds_store_b16 v1, v9 offset:512
	;; [unrolled: 19-line block ×4, first 2 shown]
	s_cbranch_vccnz .LBB40_13
; %bb.12:
	global_load_b32 v6, v[4:5], off
	s_wait_loadcnt 0x0
	v_ashrrev_i32_e32 v7, 31, v6
.LBB40_13:
	s_add_co_i32 s8, s8, s5
	v_cmp_ne_u32_e32 vcc_lo, 1, v8
	s_ashr_i32 s9, s8, 31
	s_delay_alu instid0(SALU_CYCLE_1) | instskip(SKIP_2) | instid1(SALU_CYCLE_1)
	s_lshl_b64 s[14:15], s[8:9], 1
	s_and_b32 vcc_lo, exec_lo, vcc_lo
	s_add_nc_u64 s[14:15], s[2:3], s[14:15]
	v_lshl_add_u64 v[6:7], v[6:7], 1, s[14:15]
	global_load_u16 v6, v[6:7], off
	s_wait_loadcnt 0x0
	ds_store_b16 v1, v6 offset:1280
	s_cbranch_vccnz .LBB40_15
; %bb.14:
	global_load_b32 v2, v[4:5], off
	s_wait_loadcnt 0x0
	v_ashrrev_i32_e32 v3, 31, v2
.LBB40_15:
	s_add_co_i32 s8, s8, s5
	s_delay_alu instid0(SALU_CYCLE_1) | instskip(NEXT) | instid1(SALU_CYCLE_1)
	s_ashr_i32 s9, s8, 31
	s_lshl_b64 s[8:9], s[8:9], 1
	s_delay_alu instid0(SALU_CYCLE_1) | instskip(NEXT) | instid1(SALU_CYCLE_1)
	s_add_nc_u64 s[2:3], s[2:3], s[8:9]
	v_lshl_add_u64 v[2:3], v[2:3], 1, s[2:3]
	global_load_u16 v2, v[2:3], off
	s_wait_loadcnt 0x0
	ds_store_b16 v1, v2 offset:1536
.LBB40_16:
	s_or_b32 exec_lo, exec_lo, s10
	s_clause 0x1
	s_load_b64 s[14:15], s[0:1], 0x8
	s_load_b128 s[8:11], s[0:1], 0x18
	s_wait_xcnt 0x0
	s_bfe_u32 s0, ttmp6, 0x4000c
	s_and_b32 s1, ttmp6, 15
	s_add_co_i32 s0, s0, 1
	v_lshlrev_b32_e32 v0, 2, v0
	s_mul_i32 s0, ttmp9, s0
	s_delay_alu instid0(SALU_CYCLE_1) | instskip(SKIP_2) | instid1(SALU_CYCLE_1)
	s_add_co_i32 s1, s1, s0
	s_cmp_eq_u32 s19, 0
	s_cselect_b32 s0, ttmp9, s1
	v_lshl_add_u32 v4, s0, 9, v0
	s_mov_b32 s0, exec_lo
	s_delay_alu instid0(VALU_DEP_1)
	v_mov_b32_e32 v2, v4
	scratch_store_b64 off, v[2:3], off      ; 8-byte Folded Spill
	s_wait_xcnt 0x0
	v_cmpx_gt_i32_e64 s4, v4
	s_cbranch_execz .LBB40_82
; %bb.17:
	s_abs_i32 s0, s6
	s_abs_i32 s3, s5
	s_cvt_f32_u32 s1, s0
	s_sub_co_i32 s2, 0, s0
	v_and_b32_e32 v2, 28, v0
	s_wait_storecnt_dscnt 0x0
	v_rcp_iflag_f32_e32 v1, s1
	s_barrier_signal -1
	s_barrier_wait -1
	v_cmp_lt_u32_e32 vcc_lo, 4, v2
                                        ; implicit-def: $vgpr0
	s_delay_alu instid0(TRANS32_DEP_1) | instskip(SKIP_1) | instid1(SALU_CYCLE_3)
	v_readfirstlane_b32 s1, v1
	s_mul_f32 s1, s1, 0x4f7ffffe
	s_cvt_u32_f32 s1, s1
	s_delay_alu instid0(SALU_CYCLE_3) | instskip(NEXT) | instid1(SALU_CYCLE_1)
	s_mul_i32 s2, s2, s1
	s_mul_hi_u32 s2, s1, s2
	s_delay_alu instid0(SALU_CYCLE_1) | instskip(SKIP_4) | instid1(SALU_CYCLE_1)
	s_add_co_i32 s1, s1, s2
	s_xor_b32 s2, s5, s6
	s_mul_hi_u32 s1, s3, s1
	s_ashr_i32 s2, s2, 31
	s_mul_i32 s5, s1, s0
	s_sub_co_i32 s3, s3, s5
	s_add_co_i32 s5, s1, 1
	s_sub_co_i32 s6, s3, s0
	s_cmp_ge_u32 s3, s0
	s_cselect_b32 s1, s5, s1
	s_cselect_b32 s3, s6, s3
	s_add_co_i32 s5, s1, 1
	s_cmp_ge_u32 s3, s0
	s_cselect_b32 s0, s5, s1
	s_delay_alu instid0(SALU_CYCLE_1) | instskip(NEXT) | instid1(SALU_CYCLE_1)
	s_xor_b32 s0, s0, s2
	s_sub_co_i32 s3, s0, s2
	s_delay_alu instid0(SALU_CYCLE_1) | instskip(SKIP_1) | instid1(SALU_CYCLE_2)
	s_cvt_f32_u32 s0, s3
	s_sub_co_i32 s1, 0, s3
	v_rcp_iflag_f32_e32 v1, s0
	v_nop
	s_delay_alu instid0(TRANS32_DEP_1) | instskip(SKIP_1) | instid1(SALU_CYCLE_3)
	v_readfirstlane_b32 s0, v1
                                        ; implicit-def: $vgpr1
	s_mul_f32 s0, s0, 0x4f7ffffe
	s_cvt_u32_f32 s0, s0
	s_delay_alu instid0(SALU_CYCLE_3) | instskip(NEXT) | instid1(SALU_CYCLE_1)
	s_mul_i32 s1, s1, s0
	s_mul_hi_u32 s1, s0, s1
	s_delay_alu instid0(SALU_CYCLE_1) | instskip(NEXT) | instid1(SALU_CYCLE_1)
	s_add_co_i32 s0, s0, s1
	s_mul_hi_u32 s0, s17, s0
	s_delay_alu instid0(SALU_CYCLE_1) | instskip(SKIP_2) | instid1(SALU_CYCLE_1)
	s_mul_i32 s1, s0, s3
	s_add_co_i32 s2, s0, 1
	s_sub_co_i32 s1, s17, s1
	s_sub_co_i32 s5, s1, s3
	s_cmp_ge_u32 s1, s3
	s_cselect_b32 s0, s2, s0
	s_cselect_b32 s1, s5, s1
	s_add_co_i32 s2, s0, 1
	s_cmp_ge_u32 s1, s3
	s_cselect_b32 s19, s2, s0
	s_and_saveexec_b32 s0, vcc_lo
	s_delay_alu instid0(SALU_CYCLE_1)
	s_xor_b32 s1, exec_lo, s0
	s_cbranch_execz .LBB40_31
; %bb.18:
	s_mov_b32 s2, exec_lo
                                        ; implicit-def: $vgpr1
                                        ; implicit-def: $vgpr0
	v_cmpx_ne_u32_e32 8, v2
	s_xor_b32 s2, exec_lo, s2
	s_cbranch_execz .LBB40_28
; %bb.19:
	s_mov_b32 s5, exec_lo
                                        ; implicit-def: $vgpr1
                                        ; implicit-def: $vgpr0
	v_cmpx_lt_u32_e32 16, v2
	s_xor_b32 s5, exec_lo, s5
	s_cbranch_execz .LBB40_25
; %bb.20:
	scratch_load_b64 v[0:1], off, off       ; 8-byte Folded Reload
	s_mul_i32 s6, s19, s4
	s_delay_alu instid0(SALU_CYCLE_1) | instskip(NEXT) | instid1(SALU_CYCLE_1)
	s_ashr_i32 s0, s6, 31
	s_lshr_b32 s0, s0, 27
	s_delay_alu instid0(SALU_CYCLE_1) | instskip(NEXT) | instid1(SALU_CYCLE_1)
	s_add_co_i32 s0, s6, s0
	s_ashr_i32 s0, s0, 5
	s_wait_loadcnt 0x0
	v_lshl_add_u32 v0, v0, 1, v0
	s_delay_alu instid0(VALU_DEP_1) | instskip(NEXT) | instid1(VALU_DEP_1)
	v_ashrrev_i32_e32 v1, 31, v0
	v_lshrrev_b32_e32 v1, 27, v1
	s_delay_alu instid0(VALU_DEP_1) | instskip(NEXT) | instid1(VALU_DEP_1)
	v_add_nc_u32_e32 v0, v0, v1
                                        ; implicit-def: $vgpr1
	v_ashrrev_i32_e32 v0, 5, v0
	s_delay_alu instid0(VALU_DEP_1) | instskip(SKIP_4) | instid1(SALU_CYCLE_1)
	v_mad_u32 v0, s0, 3, v0
	v_cmp_ne_u32_e64 s0, 20, v2
	global_load_b32 v3, v0, s[12:13] scale_offset
	s_wait_xcnt 0x0
	s_and_saveexec_b32 s20, s0
	s_xor_b32 s0, exec_lo, s20
	s_cbranch_execz .LBB40_22
; %bb.21:
	v_mad_u32_u24 v0, v2, 3, 0xffffffc0
	s_wait_loadcnt 0x0
	s_delay_alu instid0(VALU_DEP_1)
	v_lshrrev_b32_e32 v1, v0, v3
                                        ; implicit-def: $vgpr0
                                        ; implicit-def: $vgpr3
.LBB40_22:
	s_and_not1_saveexec_b32 s0, s0
	s_cbranch_execz .LBB40_24
; %bb.23:
	v_ashrrev_i32_e32 v1, 31, v0
	s_delay_alu instid0(VALU_DEP_1) | instskip(SKIP_3) | instid1(VALU_DEP_1)
	v_lshl_add_u64 v[0:1], v[0:1], 2, s[12:13]
	global_load_b32 v0, v[0:1], off offset:4
	s_wait_loadcnt 0x0
	v_alignbit_b32 v0, v0, v3, 28
	v_and_b32_e32 v1, 0xfff, v0
.LBB40_24:
	s_or_b32 exec_lo, exec_lo, s0
	v_mov_b32_e32 v0, s6
.LBB40_25:
	s_and_not1_saveexec_b32 s0, s5
	s_cbranch_execz .LBB40_27
; %bb.26:
	scratch_load_b64 v[0:1], off, off       ; 8-byte Folded Reload
	s_mul_i32 s5, s19, s4
	s_delay_alu instid0(SALU_CYCLE_1) | instskip(NEXT) | instid1(SALU_CYCLE_1)
	s_ashr_i32 s6, s5, 31
	s_lshr_b32 s6, s6, 27
	s_delay_alu instid0(SALU_CYCLE_1) | instskip(NEXT) | instid1(SALU_CYCLE_1)
	s_add_co_i32 s6, s5, s6
	s_ashr_i32 s6, s6, 5
	s_wait_loadcnt 0x0
	v_lshl_add_u32 v0, v0, 1, v0
	s_delay_alu instid0(VALU_DEP_1) | instskip(NEXT) | instid1(VALU_DEP_1)
	v_ashrrev_i32_e32 v1, 31, v0
	v_lshrrev_b32_e32 v1, 27, v1
	s_delay_alu instid0(VALU_DEP_1) | instskip(SKIP_1) | instid1(VALU_DEP_2)
	v_add_nc_u32_e32 v0, v0, v1
	v_mad_u32_u24 v1, v2, 3, 0xffffffe0
	v_ashrrev_i32_e32 v0, 5, v0
	s_delay_alu instid0(VALU_DEP_1)
	v_mad_u32 v0, s6, 3, v0
	global_load_b32 v0, v0, s[12:13] scale_offset
	s_wait_loadcnt 0x0
	v_dual_mov_b32 v0, s5 :: v_dual_lshrrev_b32 v1, v1, v0
.LBB40_27:
	s_or_b32 exec_lo, exec_lo, s0
.LBB40_28:
	s_and_not1_saveexec_b32 s0, s2
	s_cbranch_execz .LBB40_30
; %bb.29:
	scratch_load_b64 v[0:1], off, off       ; 8-byte Folded Reload
	s_mul_i32 s2, s19, s4
	s_delay_alu instid0(SALU_CYCLE_1) | instskip(NEXT) | instid1(SALU_CYCLE_1)
	s_ashr_i32 s5, s2, 31
	s_lshr_b32 s5, s5, 27
	s_delay_alu instid0(SALU_CYCLE_1) | instskip(NEXT) | instid1(SALU_CYCLE_1)
	s_add_co_i32 s5, s2, s5
	s_ashr_i32 s5, s5, 5
	s_wait_loadcnt 0x0
	v_lshl_add_u32 v0, v0, 1, v0
	s_delay_alu instid0(VALU_DEP_1) | instskip(NEXT) | instid1(VALU_DEP_1)
	v_ashrrev_i32_e32 v1, 31, v0
	v_lshrrev_b32_e32 v1, 27, v1
	s_delay_alu instid0(VALU_DEP_1) | instskip(NEXT) | instid1(VALU_DEP_1)
	v_add_nc_u32_e32 v0, v0, v1
	v_ashrrev_i32_e32 v0, 5, v0
	s_delay_alu instid0(VALU_DEP_1) | instskip(NEXT) | instid1(VALU_DEP_1)
	v_mad_u32 v0, s5, 3, v0
	v_ashrrev_i32_e32 v1, 31, v0
	s_delay_alu instid0(VALU_DEP_1) | instskip(SKIP_3) | instid1(VALU_DEP_1)
	v_lshl_add_u64 v[0:1], v[0:1], 2, s[12:13]
	global_load_b64 v[0:1], v[0:1], off
	s_wait_loadcnt 0x0
	v_perm_b32 v0, v0, v1, 0x2010007
	v_and_b32_e32 v1, 0xfff, v0
	v_mov_b32_e32 v0, s2
.LBB40_30:
	s_or_b32 exec_lo, exec_lo, s0
.LBB40_31:
	s_or_saveexec_b32 s0, s1
	scratch_load_b64 v[4:5], off, off       ; 8-byte Folded Reload
	s_wait_loadcnt 0x0
	v_mul_u32_u24_e32 v5, 3, v2
	scratch_store_b32 off, v5, off offset:12 ; 4-byte Folded Spill
	v_lshl_add_u32 v3, v4, 1, v4
	s_delay_alu instid0(VALU_DEP_1)
	v_ashrrev_i32_e32 v4, 31, v3
	s_wait_xcnt 0x0
	s_xor_b32 exec_lo, exec_lo, s0
	s_cbranch_execz .LBB40_33
; %bb.32:
	s_delay_alu instid0(VALU_DEP_1) | instskip(SKIP_3) | instid1(SALU_CYCLE_1)
	v_lshrrev_b32_e32 v0, 27, v4
	s_mul_i32 s1, s19, s4
	v_mul_u32_u24_e32 v1, 3, v2
	s_ashr_i32 s2, s1, 31
	s_lshr_b32 s2, s2, 27
	v_add_nc_u32_e32 v0, v3, v0
	s_add_co_i32 s2, s1, s2
	s_delay_alu instid0(SALU_CYCLE_1) | instskip(NEXT) | instid1(VALU_DEP_1)
	s_ashr_i32 s2, s2, 5
	v_ashrrev_i32_e32 v0, 5, v0
	s_delay_alu instid0(VALU_DEP_1)
	v_mad_u32 v0, s2, 3, v0
	global_load_b32 v0, v0, s[12:13] scale_offset
	s_wait_loadcnt 0x0
	v_dual_mov_b32 v0, s1 :: v_dual_lshrrev_b32 v1, v1, v0
.LBB40_33:
	s_or_b32 exec_lo, exec_lo, s0
	v_dual_mov_b32 v41, 0 :: v_dual_mov_b32 v40, 0
	v_dual_mov_b32 v39, 0 :: v_dual_mov_b32 v37, 0
	v_dual_mov_b32 v36, 0 :: v_dual_mov_b32 v35, 0
	v_dual_mov_b32 v34, 0 :: v_dual_mov_b32 v33, 0
	v_dual_mov_b32 v32, 0 :: v_dual_mov_b32 v31, 0
	v_dual_mov_b32 v30, 0 :: v_dual_mov_b32 v29, 0
	v_dual_mov_b32 v28, 0 :: v_dual_mov_b32 v13, 0
	s_cmp_ge_i32 s17, s18
	s_mov_b32 s20, 0
	s_cbranch_scc1 .LBB40_54
; %bb.34:
	scratch_load_b64 v[6:7], off, off th:TH_LOAD_LU ; 8-byte Folded Reload
	s_lshr_b32 s0, s17, 5
	s_add_co_i32 s21, s3, s17
	s_mul_i32 s0, s0, s4
	v_bfe_u32 v46, v1, 9, 3
	s_mul_i32 s22, s0, 3
	v_bfe_u32 v47, v1, 6, 3
	s_ashr_i32 s23, s22, 31
	s_bitcmp1_b32 s7, 0
	v_bfe_u32 v48, v1, 3, 3
	s_cselect_b32 s0, -1, 0
	s_lshl_b64 s[6:7], s[22:23], 2
	s_xor_b32 s0, s0, -1
	s_wait_kmcnt 0x0
	s_add_nc_u64 s[6:7], s[14:15], s[6:7]
	v_cndmask_b32_e64 v42, 0, 1, s0
	v_cmp_ne_u32_e64 s0, 8, v2
	v_cmp_lt_u32_e64 s1, 16, v2
	v_cmp_ne_u32_e64 s2, 20, v2
	v_dual_mov_b32 v30, 0 :: v_dual_mov_b32 v31, 0
	v_dual_mov_b32 v32, 0 :: v_dual_mov_b32 v33, 0
	;; [unrolled: 1-line block ×5, first 2 shown]
	v_mov_b32_e32 v41, 0
	s_ashr_i32 s5, s4, 31
	s_mov_b32 s22, 0x70007
	s_lshl_b64 s[14:15], s[4:5], 2
	s_mov_b32 s23, 0x380038
	s_mov_b32 s24, 0x1c001c0
	v_dual_mov_b32 v13, 0 :: v_dual_bitop2_b32 v49, 7, v1 bitop3:0x40
	v_dual_mov_b32 v28, 0 :: v_dual_mov_b32 v29, 0
	s_wait_loadcnt 0x0
	v_mov_b32_e32 v8, v6
	s_delay_alu instid0(VALU_DEP_1) | instskip(NEXT) | instid1(VALU_DEP_1)
	v_add_nc_u32_e32 v6, v0, v8
	v_dual_lshrrev_b32 v0, 27, v4 :: v_dual_ashrrev_i32 v7, 31, v6
	v_ashrrev_i32_e32 v9, 31, v8
	s_delay_alu instid0(VALU_DEP_2) | instskip(NEXT) | instid1(VALU_DEP_3)
	v_add_nc_u32_e32 v0, v3, v0
	v_lshl_add_u64 v[6:7], v[6:7], 1, s[8:9]
	s_delay_alu instid0(VALU_DEP_3) | instskip(NEXT) | instid1(VALU_DEP_3)
	v_lshl_add_u64 v[14:15], v[8:9], 2, s[6:7]
	v_ashrrev_i32_e32 v0, 5, v0
	s_mul_u64 s[6:7], s[4:5], 12
	s_mov_b32 s5, 0x10001
	global_load_b64 v[16:17], v[6:7], off
	scratch_store_b32 off, v0, off offset:8 ; 4-byte Folded Spill
	s_wait_xcnt 0x0
	v_mad_u32_u24 v0, v2, 3, 0xffffffc0
	scratch_store_b32 off, v0, off offset:20 ; 4-byte Folded Spill
	s_wait_xcnt 0x0
	v_mad_u32_u24 v0, v2, 3, 0xffffffe0
	scratch_store_b32 off, v0, off offset:16 ; 4-byte Folded Spill
	s_wait_xcnt 0x0
	v_mov_b32_e32 v0, v8
	scratch_store_b64 off, v[0:1], off      ; 8-byte Folded Spill
	s_branch .LBB40_37
.LBB40_35:                              ;   in Loop: Header=BB40_37 Depth=1
	s_wait_xcnt 0x0
	s_or_b32 exec_lo, exec_lo, s26
	scratch_load_b64 v[0:1], off, off       ; 8-byte Folded Reload
	v_bfe_u32 v48, v2, 3, 3
	v_bfe_u32 v47, v2, 6, 3
	;; [unrolled: 1-line block ×3, first 2 shown]
	s_add_co_i32 s21, s21, s3
	s_wait_loadcnt 0x0
	v_dual_add_nc_u32 v0, s25, v0 :: v_dual_bitop2_b32 v49, 7, v2 bitop3:0x40
	s_delay_alu instid0(VALU_DEP_1) | instskip(NEXT) | instid1(VALU_DEP_1)
	v_ashrrev_i32_e32 v1, 31, v0
	v_lshl_add_u64 v[0:1], v[0:1], 1, s[8:9]
	global_load_b64 v[16:17], v[0:1], off
.LBB40_36:                              ;   in Loop: Header=BB40_37 Depth=1
	global_load_b128 v[8:11], v[14:15], off
	s_wait_xcnt 0x1
	v_add_nc_u64_e32 v[0:1], s[14:15], v[14:15]
	v_dual_add_nc_u32 v21, v49, v42 :: v_dual_add_nc_u32 v20, v48, v42
	v_dual_add_nc_u32 v19, v47, v42 :: v_dual_add_nc_u32 v18, v46, v42
	s_add_co_i32 s25, s20, 0x400
	s_delay_alu instid0(VALU_DEP_2)
	v_cvt_f32_u32_e32 v44, v21
	global_load_b128 v[4:7], v[0:1], off
	s_wait_xcnt 0x0
	v_add_nc_u64_e32 v[0:1], s[14:15], v[0:1]
	v_cvt_f32_u32_e32 v50, v20
	v_cvt_f32_u32_e32 v51, v19
	;; [unrolled: 1-line block ×3, first 2 shown]
	v_mov_b32_e32 v112, s20
	v_cvt_f16_f32_e32 v53, v44
	v_cvt_f16_f32_e32 v52, v50
	global_load_b128 v[0:3], v[0:1], off
	v_cvt_f16_f32_e32 v50, v51
	v_cvt_f16_f32_e32 v51, v54
	v_mad_u32_u24 v68, v21, s5, 0xe400e400
	v_mad_u32_u24 v45, v20, s5, 0xe400e400
	;; [unrolled: 1-line block ×4, first 2 shown]
	v_sub_f16_e32 v44, 0xd800, v53
	v_sub_f16_e32 v58, 0xd800, v52
	;; [unrolled: 1-line block ×5, first 2 shown]
	v_and_b32_e32 v44, 0xffff, v44
	v_and_b32_e32 v58, 0xffff, v58
	v_and_b32_e32 v59, 0xffff, v59
	v_and_b32_e32 v60, 0xffff, v60
	v_add_nc_u64_e32 v[14:15], s[6:7], v[14:15]
	v_mul_u32_u24_e32 v62, 0x10001, v44
	v_mul_u32_u24_e32 v58, 0x10001, v58
	;; [unrolled: 1-line block ×4, first 2 shown]
	s_add_co_i32 s17, s17, 32
	s_wait_loadcnt 0x2
	v_lshrrev_b32_e32 v61, 6, v8
	ds_load_2addr_b32 v[26:27], v112 offset1:1
	ds_load_2addr_b32 v[24:25], v112 offset0:2 offset1:3
	ds_load_2addr_b32 v[22:23], v112 offset0:4 offset1:5
	ds_load_2addr_b32 v[20:21], v112 offset0:6 offset1:7
	ds_load_2addr_b32 v[18:19], v112 offset0:8 offset1:9
	ds_load_2addr_b32 v[54:55], v112 offset0:64 offset1:65
	ds_load_2addr_b32 v[56:57], v112 offset0:66 offset1:67
	ds_load_2addr_b32 v[74:75], v112 offset0:128 offset1:129
	v_and_or_b32 v44, v8, s22, 0x64006400
	v_and_or_b32 v59, v8, s23, 0x64006400
	v_dual_lshrrev_b32 v73, 15, v8 :: v_dual_lshrrev_b32 v71, 6, v9
	v_and_or_b32 v8, v9, s22, 0x64006400
	v_and_or_b32 v60, v9, s23, 0x64006400
	v_dual_lshrrev_b32 v76, 15, v9 :: v_dual_lshrrev_b32 v77, 6, v10
	;; [unrolled: 3-line block ×3, first 2 shown]
	v_and_or_b32 v10, v11, s22, 0x64006400
	v_and_or_b32 v66, v11, s23, 0x64006400
	;; [unrolled: 1-line block ×3, first 2 shown]
	v_pk_add_f16 v93, v68, v44
	v_pk_add_f16 v84, v45, v8
	v_pk_fma_f16 v79, 0x3000, v60, v58 op_sel_hi:[0,1,1]
	v_and_or_b32 v60, v77, s22, 0x64006400
	v_pk_add_f16 v72, v63, v9
	v_pk_fma_f16 v65, 0x3000, v64, v78 op_sel_hi:[0,1,1]
	v_and_or_b32 v64, v85, s22, 0x64006400
	v_pk_add_f16 v67, v104, v10
	s_wait_loadcnt 0x1
	v_dual_lshrrev_b32 v87, 15, v11 :: v_dual_lshrrev_b32 v96, 6, v4
	v_and_or_b32 v69, v61, s22, 0x64006400
	v_pk_fma_f16 v90, 0x3000, v59, v62 op_sel_hi:[0,1,1]
	v_and_or_b32 v59, v71, s22, 0x64006400
	v_and_or_b32 v83, v77, s23, 0x64006400
	v_pk_fma_f16 v66, 0x3000, v66, v94 op_sel_hi:[0,1,1]
	v_and_or_b32 v88, v4, s22, 0x64006400
	v_and_or_b32 v92, v4, s23, 0x64006400
	v_dual_lshrrev_b32 v89, 14, v4 :: v_dual_lshrrev_b32 v102, 6, v5
	v_and_or_b32 v9, v5, s22, 0x64006400
	v_and_or_b32 v101, v5, s23, 0x64006400
	v_dual_lshrrev_b32 v97, 14, v5 :: v_dual_lshrrev_b32 v11, 6, v6
	s_wait_loadcnt 0x0
	v_dual_lshrrev_b32 v105, 14, v7 :: v_dual_lshrrev_b32 v115, 6, v0
	v_pk_fma_f16 v91, 0x3000, v70, v62 op_sel_hi:[0,1,1]
	v_pk_add_f16 v70, v63, v60
	v_pk_add_f16 v60, v104, v64
	s_wait_dscnt 0x7
	v_pk_fma_f16 v4, v93, v26, 0
	v_pk_fma_f16 v5, v84, v26, 0
	v_pk_fma_f16 v64, v72, v26, 0
	v_pk_fma_f16 v26, v67, v26, 0
	v_and_or_b32 v111, v0, s22, 0x64006400
	v_and_or_b32 v113, v0, s23, 0x64006400
	v_lshrrev_b32_e32 v123, 13, v0
	s_wait_dscnt 0x2
	s_wait_xcnt 0x0
	v_pk_fma_f16 v0, v72, v54, 0
	v_and_or_b32 v10, v6, s22, 0x64006400
	v_and_or_b32 v103, v6, s23, 0x64006400
	v_dual_lshrrev_b32 v98, 14, v6 :: v_dual_lshrrev_b32 v44, 6, v7
	v_and_or_b32 v8, v7, s22, 0x64006400
	v_and_or_b32 v109, v7, s23, 0x64006400
	v_pk_add_f16 v95, v68, v69
	v_pk_add_f16 v81, v45, v59
	v_pk_fma_f16 v59, 0x3000, v83, v78 op_sel_hi:[0,1,1]
	v_pk_fma_f16 v106, v93, v54, 0
	v_pk_fma_f16 v107, v84, v54, 0
	v_and_or_b32 v6, v1, s22, 0x64006400
	v_and_or_b32 v124, v1, s23, 0x64006400
	v_dual_lshrrev_b32 v69, 6, v1 :: v_dual_lshrrev_b32 v125, 13, v1
	v_lshrrev_b32_e32 v83, 6, v2
	v_and_or_b32 v7, v2, s22, 0x64006400
	v_and_or_b32 v126, v2, s23, 0x64006400
	v_dual_lshrrev_b32 v127, 13, v2 :: v_dual_lshrrev_b32 v100, 6, v3
	v_and_or_b32 v99, v3, s22, 0x64006400
	v_and_or_b32 v38, v3, s23, 0x64006400
	v_lshrrev_b32_e32 v43, 13, v3
	v_pk_fma_f16 v1, v67, v54, 0
	s_wait_dscnt 0x0
	v_pk_fma_f16 v2, v93, v74, 0
	v_pk_fma_f16 v3, v90, v27, v4
	;; [unrolled: 1-line block ×9, first 2 shown]
	v_and_or_b32 v80, v71, s23, 0x64006400
	v_and_or_b32 v86, v85, s23, 0x64006400
	v_pk_fma_f16 v106, v90, v55, v106
	v_pk_fma_f16 v107, v79, v55, v107
	;; [unrolled: 1-line block ×7, first 2 shown]
	ds_load_2addr_b32 v[0:1], v112 offset0:130 offset1:131
	v_pk_fma_f16 v80, 0x3000, v80, v58 op_sel_hi:[0,1,1]
	v_pk_fma_f16 v64, 0x3000, v86, v94 op_sel_hi:[0,1,1]
	v_pk_fma_f16 v2, v95, v24, v3
	v_pk_fma_f16 v3, v81, v24, v4
	;; [unrolled: 1-line block ×11, first 2 shown]
	v_sub_f16_e32 v26, 0xcc00, v51
	v_sub_f16_e32 v24, 0xcc00, v53
	v_pk_fma_f16 v2, v95, v56, v106
	v_pk_fma_f16 v121, v59, v57, v25
	v_sub_f16_e32 v25, 0xcc00, v50
	v_and_b32_e32 v26, 0xffff, v26
	s_wait_dscnt 0x0
	v_pk_fma_f16 v51, v95, v0, v74
	v_and_b32_e32 v50, 0xffff, v52
	v_and_b32_e32 v53, 0x20002, v89
	;; [unrolled: 1-line block ×3, first 2 shown]
	v_mul_u32_u24_e32 v12, 0x10001, v26
	v_pk_fma_f16 v106, v91, v1, v51
	v_and_or_b32 v26, v77, s24, 0x64006400
	v_and_b32_e32 v24, 0xffff, v24
	v_mul_u32_u24_e32 v51, 0x10001, v25
	v_pk_fma_f16 v27, v81, v0, v27
	v_pk_fma_f16 v52, v70, v0, v54
	;; [unrolled: 1-line block ×3, first 2 shown]
	v_mul_u32_u24_e32 v50, 0x10001, v50
	v_and_or_b32 v25, v71, s24, 0x64006400
	v_pk_fma_f16 v71, 0x2400, v26, v51 op_sel_hi:[0,1,1]
	v_and_or_b32 v26, 0x10001, v73, v53
	v_and_b32_e32 v75, 0x40004, v123
	v_pk_fma_f16 v3, v81, v56, v107
	v_pk_fma_f16 v107, v80, v1, v27
	;; [unrolled: 1-line block ×3, first 2 shown]
	v_mul_u32_u24_e32 v27, 0x10001, v24
	v_and_or_b32 v52, v85, s24, 0x64006400
	v_pk_fma_f16 v89, 0x2400, v25, v50 op_sel_hi:[0,1,1]
	v_and_b32_e32 v53, 0x20002, v97
	v_pk_fma_f16 v25, 0x3000, v92, v62 op_sel_hi:[0,1,1]
	v_and_b32_e32 v73, 0x20002, v105
	v_pk_fma_f16 v92, 0x3000, v101, v58 op_sel_hi:[0,1,1]
	v_or3_b32 v101, v26, v75, 0x64006400
	v_and_or_b32 v26, v115, s24, 0x64006400
	v_and_or_b32 v24, v61, s24, 0x64006400
	v_pk_fma_f16 v61, 0x2400, v52, v12 op_sel_hi:[0,1,1]
	v_and_or_b32 v55, v96, s22, 0x64006400
	v_and_or_b32 v52, v96, s23, 0x64006400
	;; [unrolled: 1-line block ×3, first 2 shown]
	v_and_b32_e32 v56, 0x20002, v98
	v_and_or_b32 v53, 0x10001, v76, v53
	v_and_or_b32 v96, 0x10001, v87, v73
	v_and_b32_e32 v75, 0x40004, v125
	v_pk_fma_f16 v73, 0x2400, v26, v27 op_sel_hi:[0,1,1]
	v_and_or_b32 v26, v69, s23, 0x64006400
	v_pk_fma_f16 v119, v91, v57, v2
	v_pk_fma_f16 v120, v80, v57, v3
	v_and_or_b32 v98, v102, s22, 0x64006400
	v_and_or_b32 v56, 0x10001, v82, v56
	v_and_or_b32 v57, v102, s23, 0x64006400
	v_and_or_b32 v74, v102, s24, 0x64006400
	v_pk_fma_f16 v86, 0x3000, v52, v62 op_sel_hi:[0,1,1]
	v_and_or_b32 v52, v115, s23, 0x64006400
	v_or3_b32 v102, v53, v75, 0x64006400
	v_pk_fma_f16 v75, 0x3000, v26, v58 op_sel_hi:[0,1,1]
	v_and_or_b32 v26, v69, s24, 0x64006400
	v_and_b32_e32 v53, 0x40004, v127
	v_and_b32_e32 v43, 0x40004, v43
	ds_load_2addr_b32 v[4:5], v112 offset0:10 offset1:11
	ds_load_2addr_b32 v[2:3], v112 offset0:12 offset1:13
	v_pk_fma_f16 v110, v64, v1, v0
	ds_load_2addr_b32 v[0:1], v112 offset0:14 offset1:15
	v_pk_fma_f16 v24, 0x2400, v24, v27 op_sel_hi:[0,1,1]
	v_pk_fma_f16 v76, 0x3000, v52, v62 op_sel_hi:[0,1,1]
	v_and_or_b32 v52, v11, s23, 0x64006400
	v_pk_fma_f16 v85, 0x2400, v54, v27 op_sel_hi:[0,1,1]
	v_and_or_b32 v27, v11, s24, 0x64006400
	v_pk_fma_f16 v77, 0x3000, v124, v58 op_sel_hi:[0,1,1]
	v_pk_fma_f16 v87, 0x2400, v74, v50 op_sel_hi:[0,1,1]
	;; [unrolled: 1-line block ×3, first 2 shown]
	v_and_or_b32 v26, v83, s23, 0x64006400
	v_or3_b32 v123, v56, v53, 0x64006400
	v_and_or_b32 v53, v83, s24, 0x64006400
	v_and_or_b32 v56, v44, s23, 0x64006400
	v_or3_b32 v105, v96, v43, 0x64006400
	v_and_or_b32 v43, v100, s23, 0x64006400
	ds_load_2addr_b32 v[124:125], v112 offset0:68 offset1:69
	v_pk_add_f16 v97, v68, v88
	v_pk_fma_f16 v82, 0x3000, v113, v62 op_sel_hi:[0,1,1]
	v_pk_fma_f16 v88, 0x3000, v57, v58 op_sel_hi:[0,1,1]
	;; [unrolled: 1-line block ×10, first 2 shown]
	v_and_or_b32 v78, v115, s22, 0x64006400
	v_pk_fma_f16 v53, 0x3000, v38, v94 op_sel_hi:[0,1,1]
	v_pk_fma_f16 v51, 0x3000, v43, v94 op_sel_hi:[0,1,1]
	v_pk_add_f16 v94, v68, v111
	v_pk_add_f16 v115, v45, v9
	v_and_or_b32 v9, v11, s22, 0x64006400
	v_and_or_b32 v11, v83, s22, 0x64006400
	v_pk_add_f16 v111, v45, v6
	v_pk_add_f16 v83, v63, v7
	ds_load_2addr_b32 v[6:7], v112 offset0:132 offset1:133
	v_pk_add_f16 v96, v68, v55
	v_pk_add_f16 v78, v68, v78
	;; [unrolled: 1-line block ×4, first 2 shown]
	v_and_or_b32 v10, v69, s22, 0x64006400
	v_and_or_b32 v27, v44, s24, 0x64006400
	;; [unrolled: 1-line block ×3, first 2 shown]
	v_pk_add_f16 v113, v45, v98
	v_pk_add_f16 v98, v63, v9
	;; [unrolled: 1-line block ×6, first 2 shown]
	v_pk_fma_f16 v8, v24, v22, v114
	v_pk_fma_f16 v9, v89, v22, v116
	;; [unrolled: 1-line block ×4, first 2 shown]
	v_pk_fma_f16 v55, 0x2400, v27, v12 op_sel_hi:[0,1,1]
	v_pk_fma_f16 v27, 0x2400, v38, v12 op_sel_hi:[0,1,1]
	s_wait_dscnt 0x1
	v_pk_fma_f16 v12, v24, v124, v119
	v_pk_fma_f16 v38, v89, v124, v120
	;; [unrolled: 1-line block ×7, first 2 shown]
	ds_load_2addr_b32 v[10:11], v112 offset0:70 offset1:71
	ds_load_2addr_b32 v[8:9], v112 offset0:134 offset1:135
	v_pk_fma_f16 v116, v97, v125, v12
	v_pk_fma_f16 v117, v115, v125, v38
	;; [unrolled: 1-line block ×3, first 2 shown]
	v_and_or_b32 v12, v44, s22, 0x64006400
	s_wait_dscnt 0x2
	v_pk_fma_f16 v38, v24, v6, v106
	v_pk_fma_f16 v43, v89, v6, v107
	;; [unrolled: 1-line block ×5, first 2 shown]
	v_pk_add_f16 v110, v104, v12
	v_pk_fma_f16 v12, v97, v7, v38
	v_pk_fma_f16 v38, v115, v7, v43
	;; [unrolled: 1-line block ×4, first 2 shown]
	ds_load_2addr_b32 v[6:7], v112 offset0:72 offset1:73
	v_pk_fma_f16 v119, v102, v125, v119
	v_pk_fma_f16 v22, v25, v20, v22
	;; [unrolled: 1-line block ×5, first 2 shown]
	v_pk_add_f16 v99, v104, v99
	v_pk_fma_f16 v107, v96, v21, v22
	v_pk_fma_f16 v45, v113, v21, v45
	;; [unrolled: 1-line block ×4, first 2 shown]
	ds_load_2addr_b32 v[22:23], v112 offset0:74 offset1:75
	s_wait_dscnt 0x3
	v_pk_fma_f16 v21, v25, v10, v116
	v_pk_fma_f16 v108, v92, v10, v117
	;; [unrolled: 1-line block ×4, first 2 shown]
	s_wait_dscnt 0x2
	v_pk_fma_f16 v12, v25, v8, v12
	v_pk_fma_f16 v38, v92, v8, v38
	;; [unrolled: 1-line block ×16, first 2 shown]
	ds_load_2addr_b32 v[10:11], v112 offset0:76 offset1:77
	ds_load_2addr_b32 v[20:21], v112 offset0:78 offset1:79
	v_pk_fma_f16 v8, v85, v19, v8
	v_pk_fma_f16 v9, v87, v19, v9
	;; [unrolled: 1-line block ×4, first 2 shown]
	s_wait_dscnt 0x3
	v_pk_fma_f16 v44, v86, v6, v44
	v_pk_fma_f16 v107, v88, v6, v108
	;; [unrolled: 1-line block ×12, first 2 shown]
	ds_load_2addr_b32 v[18:19], v112 offset0:136 offset1:137
	ds_load_2addr_b32 v[8:9], v112 offset0:138 offset1:139
	v_pk_fma_f16 v106, v82, v5, v6
	v_pk_fma_f16 v116, v77, v5, v7
	;; [unrolled: 1-line block ×4, first 2 shown]
	v_and_or_b32 v4, v100, s22, 0x64006400
	s_wait_dscnt 0x4
	v_pk_fma_f16 v5, v94, v22, v44
	v_pk_fma_f16 v44, v111, v22, v107
	;; [unrolled: 1-line block ×4, first 2 shown]
	v_pk_add_f16 v100, v104, v4
	v_pk_fma_f16 v108, v82, v23, v5
	v_pk_fma_f16 v44, v77, v23, v44
	;; [unrolled: 1-line block ×5, first 2 shown]
	ds_load_2addr_b32 v[4:5], v112 offset0:192 offset1:193
	ds_load_2addr_b32 v[6:7], v112 offset0:140 offset1:141
	v_pk_fma_f16 v45, v69, v2, v45
	s_wait_dscnt 0x5
	v_pk_fma_f16 v108, v78, v10, v108
	v_pk_fma_f16 v44, v109, v10, v44
	;; [unrolled: 1-line block ×8, first 2 shown]
	v_pk_add_f16 v63, v63, v123
	v_pk_fma_f16 v22, v73, v0, v22
	v_pk_fma_f16 v23, v75, v3, v106
	;; [unrolled: 1-line block ×7, first 2 shown]
	ds_load_2addr_b32 v[10:11], v112 offset0:194 offset1:195
	ds_load_2addr_b32 v[2:3], v112 offset0:142 offset1:143
	v_pk_fma_f16 v45, v26, v0, v45
	s_wait_dscnt 0x5
	v_pk_fma_f16 v12, v86, v18, v12
	v_pk_fma_f16 v119, v68, v1, v22
	;; [unrolled: 1-line block ×3, first 2 shown]
	v_pk_add_f16 v104, v104, v105
	v_pk_fma_f16 v23, v74, v0, v23
	v_pk_fma_f16 v0, v27, v0, v106
	;; [unrolled: 1-line block ×13, first 2 shown]
	ds_load_2addr_b32 v[0:1], v112 offset0:196 offset1:197
	s_wait_dscnt 0x4
	v_pk_fma_f16 v23, v93, v4, 0
	v_pk_fma_f16 v12, v94, v8, v12
	;; [unrolled: 1-line block ×14, first 2 shown]
	s_wait_dscnt 0x3
	v_pk_fma_f16 v12, v78, v6, v12
	s_wait_dscnt 0x2
	v_pk_fma_f16 v22, v95, v10, v19
	ds_load_2addr_b32 v[18:19], v112 offset0:198 offset1:199
	v_pk_fma_f16 v20, v109, v6, v20
	v_pk_fma_f16 v21, v52, v9, v21
	;; [unrolled: 1-line block ×8, first 2 shown]
	s_wait_dscnt 0x2
	v_pk_fma_f16 v22, v73, v2, v9
	s_wait_dscnt 0x1
	v_pk_fma_f16 v8, v24, v0, v12
	v_pk_fma_f16 v12, v74, v2, v20
	;; [unrolled: 1-line block ×4, first 2 shown]
	ds_load_2addr_b32 v[6:7], v112 offset0:200 offset1:201
	v_pk_fma_f16 v21, v84, v4, 0
	v_pk_fma_f16 v8, v97, v1, v8
	;; [unrolled: 1-line block ×6, first 2 shown]
	s_wait_dscnt 0x1
	v_pk_fma_f16 v43, v25, v18, v8
	v_pk_fma_f16 v23, v65, v5, v23
	;; [unrolled: 1-line block ×3, first 2 shown]
	ds_load_2addr_b32 v[8:9], v112 offset0:202 offset1:203
	v_pk_fma_f16 v5, v81, v10, v21
	v_pk_fma_f16 v122, v103, v3, v12
	;; [unrolled: 1-line block ×9, first 2 shown]
	s_wait_dscnt 0x1
	v_pk_fma_f16 v10, v86, v6, v12
	v_pk_fma_f16 v12, v59, v11, v21
	;; [unrolled: 1-line block ×8, first 2 shown]
	ds_load_2addr_b32 v[10:11], v112 offset0:204 offset1:205
	v_pk_fma_f16 v2, v115, v1, v2
	s_wait_dscnt 0x1
	v_pk_fma_f16 v3, v94, v8, v3
	v_pk_fma_f16 v4, v101, v1, v5
	;; [unrolled: 1-line block ×4, first 2 shown]
	v_mov_b32_e32 v2, s25
	s_delay_alu instid0(VALU_DEP_4) | instskip(NEXT) | instid1(VALU_DEP_4)
	v_pk_fma_f16 v4, v62, v18, v4
	v_pk_fma_f16 v12, v58, v18, v0
	;; [unrolled: 1-line block ×4, first 2 shown]
	ds_load_2addr_b32 v[2:3], v2 offset1:1
	ds_load_2addr_b32 v[0:1], v112 offset0:206 offset1:207
	s_add_co_i32 s25, s20, 0x408
	v_pk_fma_f16 v4, v98, v19, v4
	v_pk_fma_f16 v12, v110, v19, v12
	v_mov_b32_e32 v19, s25
	v_pk_fma_f16 v18, v88, v6, v18
	s_add_co_i32 s25, s20, 0x410
	v_pk_fma_f16 v20, v57, v6, v4
	v_pk_fma_f16 v6, v56, v6, v12
	s_wait_dscnt 0x2
	v_pk_fma_f16 v12, v78, v10, v5
	ds_load_2addr_b32 v[4:5], v19 offset1:1
	v_pk_fma_f16 v18, v87, v7, v18
	v_pk_fma_f16 v19, v54, v7, v20
	;; [unrolled: 1-line block ×3, first 2 shown]
	v_mov_b32_e32 v7, s25
	s_add_co_i32 s25, s20, 0x418
	v_pk_fma_f16 v18, v111, v8, v18
	v_pk_fma_f16 v19, v83, v8, v19
	;; [unrolled: 1-line block ×3, first 2 shown]
	s_wait_dscnt 0x2
	v_pk_fma_f16 v20, v93, v2, 0
	ds_load_2addr_b32 v[6:7], v7 offset1:1
	v_pk_fma_f16 v18, v77, v9, v18
	v_pk_fma_f16 v19, v52, v9, v19
	;; [unrolled: 1-line block ×4, first 2 shown]
	v_mov_b32_e32 v20, s25
	v_pk_fma_f16 v18, v109, v10, v18
	v_pk_fma_f16 v19, v69, v10, v19
	;; [unrolled: 1-line block ×4, first 2 shown]
	s_wait_dscnt 0x1
	v_pk_fma_f16 v21, v95, v4, v9
	ds_load_2addr_b32 v[8:9], v20 offset1:1
	v_pk_fma_f16 v18, v75, v11, v18
	v_pk_fma_f16 v19, v50, v11, v19
	s_add_co_i32 s25, s20, 0x420
	v_pk_fma_f16 v20, v91, v5, v21
	v_pk_fma_f16 v21, v51, v11, v10
	;; [unrolled: 1-line block ×6, first 2 shown]
	s_wait_dscnt 0x1
	v_pk_fma_f16 v20, v24, v6, v20
	v_pk_fma_f16 v10, v79, v3, v10
	;; [unrolled: 1-line block ×4, first 2 shown]
	v_mov_b32_e32 v2, s25
	s_add_co_i32 s25, s20, 0x428
	v_pk_fma_f16 v10, v81, v4, v10
	v_pk_fma_f16 v11, v70, v4, v11
	;; [unrolled: 1-line block ×3, first 2 shown]
	ds_load_2addr_b32 v[2:3], v2 offset1:1
	v_pk_fma_f16 v126, v68, v1, v12
	v_pk_fma_f16 v10, v80, v5, v10
	;; [unrolled: 1-line block ×6, first 2 shown]
	v_mov_b32_e32 v5, s25
	v_pk_fma_f16 v20, v89, v6, v10
	s_add_co_i32 s25, s20, 0x430
	s_wait_dscnt 0x1
	v_pk_fma_f16 v18, v25, v8, v18
	v_pk_fma_f16 v22, v71, v6, v11
	;; [unrolled: 1-line block ×3, first 2 shown]
	v_mov_b32_e32 v6, s25
	ds_load_2addr_b32 v[10:11], v5 offset1:1
	v_pk_fma_f16 v5, v115, v7, v20
	v_pk_fma_f16 v18, v96, v9, v18
	;; [unrolled: 1-line block ×7, first 2 shown]
	s_wait_dscnt 0x1
	v_pk_fma_f16 v18, v86, v2, v18
	ds_load_2addr_b32 v[6:7], v6 offset1:1
	v_pk_fma_f16 v19, v62, v8, v20
	v_pk_fma_f16 v5, v113, v9, v5
	;; [unrolled: 1-line block ×4, first 2 shown]
	s_add_co_i32 s25, s20, 0x438
	v_pk_fma_f16 v18, v98, v9, v19
	v_pk_fma_f16 v5, v88, v2, v5
	;; [unrolled: 1-line block ×3, first 2 shown]
	v_mov_b32_e32 v9, s25
	v_pk_fma_f16 v112, v63, v1, v12
	s_wait_dscnt 0x1
	v_pk_fma_f16 v12, v94, v10, v8
	v_pk_fma_f16 v5, v87, v3, v5
	;; [unrolled: 1-line block ×4, first 2 shown]
	s_add_co_i32 s25, s20, 0x500
	v_pk_fma_f16 v4, v82, v11, v12
	v_pk_fma_f16 v5, v111, v10, v5
	;; [unrolled: 1-line block ×4, first 2 shown]
	v_mov_b32_e32 v3, s25
	ds_load_2addr_b32 v[8:9], v9 offset1:1
	s_wait_dscnt 0x1
	v_pk_fma_f16 v18, v78, v6, v4
	v_pk_fma_f16 v19, v77, v11, v5
	;; [unrolled: 1-line block ×4, first 2 shown]
	ds_load_2addr_b32 v[4:5], v3 offset1:1
	s_add_co_i32 s25, s20, 0x508
	v_pk_fma_f16 v10, v109, v6, v19
	v_pk_fma_f16 v12, v52, v11, v12
	;; [unrolled: 1-line block ×4, first 2 shown]
	v_mov_b32_e32 v2, s25
	v_pk_fma_f16 v0, v27, v0, v21
	v_pk_fma_f16 v12, v69, v6, v12
	;; [unrolled: 1-line block ×4, first 2 shown]
	s_add_co_i32 s25, s20, 0x510
	v_pk_fma_f16 v123, v104, v1, v0
	v_pk_fma_f16 v11, v50, v7, v12
	s_wait_dscnt 0x1
	v_pk_fma_f16 v18, v73, v8, v3
	v_pk_fma_f16 v0, v74, v8, v10
	;; [unrolled: 1-line block ×3, first 2 shown]
	v_mov_b32_e32 v10, s25
	ds_load_2addr_b32 v[2:3], v2 offset1:1
	v_pk_fma_f16 v6, v26, v8, v11
	s_wait_dscnt 0x1
	v_pk_fma_f16 v7, v93, v4, 0
	v_pk_fma_f16 v8, v27, v8, v1
	;; [unrolled: 1-line block ×3, first 2 shown]
	ds_load_2addr_b32 v[0:1], v10 offset1:1
	v_pk_fma_f16 v124, v63, v9, v6
	v_pk_fma_f16 v6, v90, v5, v7
	;; [unrolled: 1-line block ×6, first 2 shown]
	s_add_co_i32 s25, s20, 0x518
	v_pk_fma_f16 v127, v68, v9, v18
	v_pk_fma_f16 v7, v79, v5, v7
	;; [unrolled: 1-line block ×4, first 2 shown]
	v_mov_b32_e32 v4, s25
	s_add_co_i32 s25, s20, 0x520
	ds_load_2addr_b32 v[4:5], v4 offset1:1
	s_wait_dscnt 0x2
	v_pk_fma_f16 v6, v95, v2, v6
	v_pk_fma_f16 v7, v81, v2, v7
	;; [unrolled: 1-line block ×4, first 2 shown]
	s_delay_alu instid0(VALU_DEP_4) | instskip(NEXT) | instid1(VALU_DEP_4)
	v_pk_fma_f16 v6, v91, v3, v6
	v_pk_fma_f16 v7, v80, v3, v7
	s_delay_alu instid0(VALU_DEP_4) | instskip(NEXT) | instid1(VALU_DEP_4)
	v_pk_fma_f16 v8, v59, v3, v8
	v_pk_fma_f16 v9, v64, v3, v2
	v_mov_b32_e32 v2, s25
	s_add_co_i32 s25, s20, 0x600
	ds_load_2addr_b32 v[2:3], v2 offset1:1
	s_wait_dscnt 0x2
	v_pk_fma_f16 v6, v24, v0, v6
	v_pk_fma_f16 v7, v89, v0, v7
	;; [unrolled: 1-line block ×4, first 2 shown]
	s_delay_alu instid0(VALU_DEP_4) | instskip(NEXT) | instid1(VALU_DEP_4)
	v_pk_fma_f16 v6, v97, v1, v6
	v_pk_fma_f16 v7, v115, v1, v7
	s_delay_alu instid0(VALU_DEP_4) | instskip(NEXT) | instid1(VALU_DEP_4)
	v_pk_fma_f16 v8, v101, v1, v8
	v_pk_fma_f16 v0, v102, v1, v0
	v_mov_b32_e32 v1, s25
	s_wait_dscnt 0x1
	v_pk_fma_f16 v6, v25, v4, v6
	v_pk_fma_f16 v7, v92, v4, v7
	;; [unrolled: 1-line block ×4, first 2 shown]
	ds_load_2addr_b32 v[20:21], v1 offset1:1
	s_add_co_i32 s25, s20, 0x608
	v_pk_fma_f16 v6, v96, v5, v6
	v_pk_fma_f16 v1, v113, v5, v7
	;; [unrolled: 1-line block ×4, first 2 shown]
	v_mov_b32_e32 v5, s25
	s_add_co_i32 s25, s20, 0x610
	s_wait_dscnt 0x1
	v_pk_fma_f16 v6, v86, v2, v6
	v_pk_fma_f16 v1, v88, v2, v1
	;; [unrolled: 1-line block ×3, first 2 shown]
	ds_load_2addr_b32 v[18:19], v5 offset1:1
	v_pk_fma_f16 v4, v57, v2, v4
	v_pk_fma_f16 v1, v87, v3, v1
	;; [unrolled: 1-line block ×3, first 2 shown]
	v_mov_b32_e32 v0, s25
	s_add_co_i32 s25, s20, 0x618
	v_pk_fma_f16 v4, v54, v3, v4
	s_wait_dscnt 0x1
	v_pk_fma_f16 v2, v93, v20, 0
	ds_load_2addr_b32 v[10:11], v0 offset1:1
	v_pk_fma_f16 v5, v85, v3, v6
	v_pk_fma_f16 v0, v90, v21, v2
	v_mov_b32_e32 v2, s25
	s_add_co_i32 s25, s20, 0x528
	s_wait_dscnt 0x1
	s_delay_alu instid0(VALU_DEP_2)
	v_pk_fma_f16 v0, v95, v18, v0
	ds_load_2addr_b32 v[8:9], v2 offset1:1
	v_mov_b32_e32 v2, s25
	s_add_co_i32 s25, s20, 0x530
	v_pk_fma_f16 v0, v91, v19, v0
	v_mov_b32_e32 v6, s25
	ds_load_2addr_b32 v[2:3], v2 offset1:1
	s_add_co_i32 s25, s20, 0x538
	s_wait_dscnt 0x2
	v_pk_fma_f16 v0, v24, v10, v0
	v_mov_b32_e32 v7, s25
	s_add_co_i32 s25, s20, 0x620
	s_delay_alu instid0(VALU_DEP_2) | instskip(SKIP_3) | instid1(SALU_CYCLE_1)
	v_pk_fma_f16 v0, v97, v11, v0
	ds_load_2addr_b32 v[22:23], v7 offset1:1
	v_mov_b32_e32 v7, s25
	s_add_co_i32 s25, s20, 0x628
	v_mov_b32_e32 v43, s25
	s_wait_dscnt 0x2
	v_pk_fma_f16 v0, v25, v8, v0
	ds_load_2addr_b32 v[24:25], v6 offset1:1
	v_pk_fma_f16 v6, v84, v20, 0
	s_add_co_i32 s25, s20, 0x630
	v_pk_fma_f16 v0, v96, v9, v0
	s_wait_dscnt 0x2
	v_pk_fma_f16 v5, v94, v2, v5
	v_pk_fma_f16 v6, v79, v21, v6
	;; [unrolled: 1-line block ×9, first 2 shown]
	s_delay_alu instid0(VALU_DEP_3) | instskip(SKIP_2) | instid1(VALU_DEP_2)
	v_pk_fma_f16 v6, v80, v19, v6
	s_wait_dscnt 0x0
	v_pk_fma_f16 v5, v78, v24, v5
	v_pk_fma_f16 v38, v89, v10, v6
	;; [unrolled: 1-line block ×3, first 2 shown]
	s_delay_alu instid0(VALU_DEP_3) | instskip(NEXT) | instid1(VALU_DEP_3)
	v_pk_fma_f16 v5, v76, v25, v5
	v_pk_fma_f16 v38, v115, v11, v38
	s_delay_alu instid0(VALU_DEP_3) | instskip(NEXT) | instid1(VALU_DEP_3)
	v_pk_fma_f16 v1, v75, v25, v1
	v_pk_fma_f16 v79, v73, v22, v5
	ds_load_2addr_b32 v[4:5], v43 offset1:1
	v_pk_fma_f16 v38, v92, v8, v38
	v_pk_fma_f16 v43, v69, v24, v81
	;; [unrolled: 1-line block ×4, first 2 shown]
	v_mov_b32_e32 v79, s25
	ds_load_2addr_b32 v[6:7], v7 offset1:1
	v_pk_fma_f16 v38, v113, v9, v38
	s_add_co_i32 s25, s20, 0x638
	v_pk_fma_f16 v43, v50, v25, v43
	v_pk_fma_f16 v81, v103, v23, v81
	s_add_co_i32 s20, s20, 64
	s_cmp_ge_i32 s17, s18
	s_delay_alu instid0(VALU_DEP_2)
	v_pk_fma_f16 v43, v26, v22, v43
	s_wait_dscnt 0x0
	v_pk_fma_f16 v84, v86, v6, v0
	ds_load_2addr_b32 v[0:1], v79 offset1:1
	v_pk_fma_f16 v12, v88, v6, v38
	v_mov_b32_e32 v79, s25
	v_pk_fma_f16 v38, v85, v7, v84
	v_pk_fma_f16 v84, v53, v3, v2
	s_delay_alu instid0(VALU_DEP_4)
	v_pk_fma_f16 v12, v87, v7, v12
	ds_load_2addr_b32 v[2:3], v79 offset1:1
	v_pk_fma_f16 v79, v63, v23, v43
	v_pk_fma_f16 v38, v94, v4, v38
	;; [unrolled: 1-line block ×9, first 2 shown]
	s_delay_alu instid0(VALU_DEP_4)
	v_pk_fma_f16 v20, v66, v21, v20
	s_wait_dscnt 0x1
	v_pk_fma_f16 v25, v78, v0, v38
	v_pk_fma_f16 v38, v65, v21, v43
	;; [unrolled: 1-line block ×9, first 2 shown]
	v_perm_b32 v23, v120, v119, 0x7060302
	s_wait_dscnt 0x0
	v_pk_fma_f16 v21, v73, v2, v22
	v_pk_fma_f16 v22, v59, v19, v24
	;; [unrolled: 1-line block ×4, first 2 shown]
	v_pack_b32_f16 v20, v119, v120
	s_delay_alu instid0(VALU_DEP_4) | instskip(NEXT) | instid1(VALU_DEP_4)
	v_pk_fma_f16 v22, v71, v10, v22
	v_pk_fma_f16 v24, v61, v10, v19
	s_delay_alu instid0(VALU_DEP_4) | instskip(NEXT) | instid1(VALU_DEP_4)
	v_pk_fma_f16 v19, v103, v3, v12
	v_pk_add_f16 v12, v20, v23
	v_pack_b32_f16 v23, v121, v122
	v_pk_fma_f16 v20, v101, v11, v22
	v_pk_fma_f16 v11, v102, v11, v24
	;; [unrolled: 1-line block ×3, first 2 shown]
	v_pack_b32_f16 v21, v117, v118
	v_perm_b32 v22, v118, v117, 0x7060302
	v_pk_fma_f16 v20, v62, v8, v20
	v_pk_fma_f16 v8, v58, v8, v11
	v_perm_b32 v11, v122, v121, 0x7060302
	v_pk_fma_f16 v41, v12, v16, v41
	v_pk_add_f16 v12, v21, v22
	v_pk_fma_f16 v20, v98, v9, v20
	v_pk_fma_f16 v8, v110, v9, v8
	v_pk_add_f16 v9, v23, v11
	v_pack_b32_f16 v11, v126, v45
	v_perm_b32 v21, v45, v126, 0x7060302
	v_pk_fma_f16 v20, v57, v6, v20
	v_pk_fma_f16 v6, v56, v6, v8
	;; [unrolled: 1-line block ×4, first 2 shown]
	v_pk_add_f16 v8, v11, v21
	v_pk_fma_f16 v9, v54, v7, v20
	v_pk_fma_f16 v6, v55, v7, v6
	v_pack_b32_f16 v12, v80, v81
	v_pack_b32_f16 v7, v127, v44
	v_pk_fma_f16 v34, v8, v16, v34
	v_pk_fma_f16 v9, v83, v4, v9
	;; [unrolled: 1-line block ×3, first 2 shown]
	v_perm_b32 v6, v81, v80, 0x7060302
	v_perm_b32 v11, v44, v127, 0x7060302
	s_delay_alu instid0(VALU_DEP_4) | instskip(NEXT) | instid1(VALU_DEP_4)
	v_pk_fma_f16 v8, v52, v5, v9
	v_pk_fma_f16 v4, v53, v5, v4
	s_delay_alu instid0(VALU_DEP_4)
	v_pk_add_f16 v5, v12, v6
	v_pack_b32_f16 v6, v10, v19
	v_perm_b32 v9, v19, v10, 0x7060302
	v_pk_fma_f16 v8, v69, v0, v8
	v_pk_fma_f16 v0, v100, v0, v4
	v_pk_add_f16 v7, v7, v11
	v_pk_fma_f16 v30, v5, v16, v30
	v_pk_add_f16 v4, v6, v9
	v_pk_fma_f16 v5, v50, v1, v8
	v_pk_fma_f16 v0, v51, v1, v0
	;; [unrolled: 1-line block ×3, first 2 shown]
	v_pack_b32_f16 v1, v105, v106
	v_perm_b32 v6, v106, v105, 0x7060302
	v_pack_b32_f16 v7, v107, v108
	v_perm_b32 v8, v108, v107, 0x7060302
	v_pk_fma_f16 v28, v4, v16, v28
	v_pk_fma_f16 v4, v26, v2, v5
	;; [unrolled: 1-line block ×3, first 2 shown]
	v_pk_add_f16 v1, v1, v6
	v_pk_add_f16 v2, v7, v8
	v_pack_b32_f16 v5, v114, v116
	v_perm_b32 v6, v116, v114, 0x7060302
	v_pk_fma_f16 v4, v63, v3, v4
	v_pk_fma_f16 v0, v104, v3, v0
	;; [unrolled: 1-line block ×4, first 2 shown]
	v_pk_add_f16 v1, v5, v6
	v_pack_b32_f16 v2, v112, v123
	v_perm_b32 v3, v123, v112, 0x7060302
	v_pack_b32_f16 v5, v124, v125
	v_perm_b32 v6, v125, v124, 0x7060302
	;; [unrolled: 2-line block ×4, first 2 shown]
	v_pk_add_f16 v2, v2, v3
	v_pk_add_f16 v3, v5, v6
	;; [unrolled: 1-line block ×3, first 2 shown]
	v_pk_fma_f16 v35, v1, v17, v35
	v_pk_add_f16 v0, v9, v0
	v_pk_fma_f16 v33, v2, v17, v33
	v_pk_fma_f16 v31, v3, v17, v31
	;; [unrolled: 1-line block ×3, first 2 shown]
	s_delay_alu instid0(VALU_DEP_4)
	v_pk_fma_f16 v13, v0, v17, v13
	s_cbranch_scc1 .LBB40_54
.LBB40_37:                              ; =>This Inner Loop Header: Depth=1
	s_cmp_lg_u32 s17, s21
	s_cbranch_scc1 .LBB40_36
; %bb.38:                               ;   in Loop: Header=BB40_37 Depth=1
	scratch_load_b32 v0, off, off offset:8  ; 4-byte Folded Reload
	s_add_co_i32 s19, s19, 1
                                        ; implicit-def: $vgpr2
	s_delay_alu instid0(SALU_CYCLE_1) | instskip(NEXT) | instid1(SALU_CYCLE_1)
	s_mul_i32 s25, s19, s4
	s_ashr_i32 s26, s25, 31
	s_delay_alu instid0(SALU_CYCLE_1) | instskip(NEXT) | instid1(SALU_CYCLE_1)
	s_lshr_b32 s26, s26, 27
	s_add_co_i32 s26, s25, s26
	s_delay_alu instid0(SALU_CYCLE_1)
	s_ashr_i32 s26, s26, 5
	s_wait_loadcnt 0x0
	v_mad_u32 v0, s26, 3, v0
	global_load_b32 v3, v0, s[12:13] scale_offset
	s_wait_xcnt 0x0
	s_and_saveexec_b32 s26, vcc_lo
	s_delay_alu instid0(SALU_CYCLE_1)
	s_xor_b32 s26, exec_lo, s26
	s_cbranch_execz .LBB40_52
; %bb.39:                               ;   in Loop: Header=BB40_37 Depth=1
	v_ashrrev_i32_e32 v1, 31, v0
                                        ; implicit-def: $vgpr2
	s_delay_alu instid0(VALU_DEP_1) | instskip(SKIP_1) | instid1(SALU_CYCLE_1)
	v_lshl_add_u64 v[0:1], v[0:1], 2, s[12:13]
	s_and_saveexec_b32 s27, s0
	s_xor_b32 s27, exec_lo, s27
	s_cbranch_execz .LBB40_49
; %bb.40:                               ;   in Loop: Header=BB40_37 Depth=1
                                        ; implicit-def: $vgpr2
	s_and_saveexec_b32 s28, s1
	s_delay_alu instid0(SALU_CYCLE_1)
	s_xor_b32 s28, exec_lo, s28
	s_cbranch_execz .LBB40_46
; %bb.41:                               ;   in Loop: Header=BB40_37 Depth=1
                                        ; implicit-def: $vgpr2
	s_and_saveexec_b32 s29, s2
	s_delay_alu instid0(SALU_CYCLE_1)
	s_xor_b32 s29, exec_lo, s29
	s_cbranch_execz .LBB40_43
; %bb.42:                               ;   in Loop: Header=BB40_37 Depth=1
	scratch_load_b32 v0, off, off offset:20 ; 4-byte Folded Reload
	s_wait_loadcnt 0x0
	v_lshrrev_b32_e32 v2, v0, v3
                                        ; implicit-def: $vgpr0_vgpr1
                                        ; implicit-def: $vgpr3
.LBB40_43:                              ;   in Loop: Header=BB40_37 Depth=1
	s_wait_xcnt 0x0
	s_and_not1_saveexec_b32 s29, s29
	s_cbranch_execz .LBB40_45
; %bb.44:                               ;   in Loop: Header=BB40_37 Depth=1
	global_load_b32 v0, v[0:1], off offset:4
	s_wait_loadcnt 0x0
	v_alignbit_b32 v0, v0, v3, 28
	s_delay_alu instid0(VALU_DEP_1)
	v_and_b32_e32 v2, 0xfff, v0
.LBB40_45:                              ;   in Loop: Header=BB40_37 Depth=1
	s_or_b32 exec_lo, exec_lo, s29
                                        ; implicit-def: $vgpr3
.LBB40_46:                              ;   in Loop: Header=BB40_37 Depth=1
	s_and_not1_saveexec_b32 s28, s28
	s_cbranch_execz .LBB40_48
; %bb.47:                               ;   in Loop: Header=BB40_37 Depth=1
	scratch_load_b32 v0, off, off offset:16 ; 4-byte Folded Reload
	s_wait_loadcnt 0x0
	v_lshrrev_b32_e32 v2, v0, v3
.LBB40_48:                              ;   in Loop: Header=BB40_37 Depth=1
	s_wait_xcnt 0x0
	s_or_b32 exec_lo, exec_lo, s28
                                        ; implicit-def: $vgpr0_vgpr1
                                        ; implicit-def: $vgpr3
.LBB40_49:                              ;   in Loop: Header=BB40_37 Depth=1
	s_and_not1_saveexec_b32 s27, s27
	s_cbranch_execz .LBB40_51
; %bb.50:                               ;   in Loop: Header=BB40_37 Depth=1
	global_load_b32 v0, v[0:1], off offset:4
	s_wait_loadcnt 0x0
	v_perm_b32 v0, v3, v0, 0x2010007
	s_delay_alu instid0(VALU_DEP_1)
	v_and_b32_e32 v2, 0xfff, v0
.LBB40_51:                              ;   in Loop: Header=BB40_37 Depth=1
	s_or_b32 exec_lo, exec_lo, s27
                                        ; implicit-def: $vgpr3
.LBB40_52:                              ;   in Loop: Header=BB40_37 Depth=1
	s_and_not1_saveexec_b32 s26, s26
	s_cbranch_execz .LBB40_35
; %bb.53:                               ;   in Loop: Header=BB40_37 Depth=1
	scratch_load_b32 v0, off, off offset:12 ; 4-byte Folded Reload
	s_wait_loadcnt 0x0
	v_lshrrev_b32_e32 v2, v0, v3
	s_branch .LBB40_35
.LBB40_54:
	scratch_load_b64 v[0:1], off, off th:TH_LOAD_LU ; 8-byte Folded Reload
	s_mov_b32 s0, 0
	s_wait_loadcnt 0x0
	v_mad_u32 v0, s16, s4, v0
	s_delay_alu instid0(VALU_DEP_1) | instskip(SKIP_1) | instid1(VALU_DEP_1)
	v_ashrrev_i32_e32 v1, 31, v0
	s_wait_kmcnt 0x0
	v_lshl_add_u64 v[2:3], v[0:1], 1, s[10:11]
	global_load_b32 v5, v[2:3], off
.LBB40_55:                              ; =>This Inner Loop Header: Depth=1
	s_wait_loadcnt 0x0
	v_pk_add_f16 v4, v41, v5
	s_wait_xcnt 0x0
	global_atomic_cmpswap_b32 v1, v[2:3], v[4:5], off th:TH_ATOMIC_RETURN scope:SCOPE_DEV
	s_wait_loadcnt 0x0
	v_cmp_eq_u32_e32 vcc_lo, v5, v1
	s_wait_xcnt 0x0
	v_mov_b32_e32 v5, v1
	s_or_b32 s0, vcc_lo, s0
	s_delay_alu instid0(SALU_CYCLE_1)
	s_and_not1_b32 exec_lo, exec_lo, s0
	s_cbranch_execnz .LBB40_55
; %bb.56:
	s_or_b32 exec_lo, exec_lo, s0
	global_load_b32 v5, v[2:3], off offset:4
	s_mov_b32 s0, 0
.LBB40_57:                              ; =>This Inner Loop Header: Depth=1
	s_wait_loadcnt 0x0
	v_pk_add_f16 v4, v40, v5
	s_wait_xcnt 0x0
	global_atomic_cmpswap_b32 v1, v[2:3], v[4:5], off offset:4 th:TH_ATOMIC_RETURN scope:SCOPE_DEV
	s_wait_loadcnt 0x0
	v_cmp_eq_u32_e32 vcc_lo, v5, v1
	s_wait_xcnt 0x0
	v_mov_b32_e32 v5, v1
	s_or_b32 s0, vcc_lo, s0
	s_delay_alu instid0(SALU_CYCLE_1)
	s_and_not1_b32 exec_lo, exec_lo, s0
	s_cbranch_execnz .LBB40_57
; %bb.58:
	s_or_b32 exec_lo, exec_lo, s0
	v_add_nc_u32_e32 v0, s4, v0
	s_mov_b32 s0, 0
	s_delay_alu instid0(VALU_DEP_1) | instskip(NEXT) | instid1(VALU_DEP_1)
	v_ashrrev_i32_e32 v1, 31, v0
	v_lshl_add_u64 v[2:3], v[0:1], 1, s[10:11]
	global_load_b32 v5, v[2:3], off
.LBB40_59:                              ; =>This Inner Loop Header: Depth=1
	s_wait_loadcnt 0x0
	v_pk_add_f16 v4, v39, v5
	s_wait_xcnt 0x0
	global_atomic_cmpswap_b32 v1, v[2:3], v[4:5], off th:TH_ATOMIC_RETURN scope:SCOPE_DEV
	s_wait_loadcnt 0x0
	v_cmp_eq_u32_e32 vcc_lo, v5, v1
	s_wait_xcnt 0x0
	v_mov_b32_e32 v5, v1
	s_or_b32 s0, vcc_lo, s0
	s_delay_alu instid0(SALU_CYCLE_1)
	s_and_not1_b32 exec_lo, exec_lo, s0
	s_cbranch_execnz .LBB40_59
; %bb.60:
	s_or_b32 exec_lo, exec_lo, s0
	global_load_b32 v5, v[2:3], off offset:4
	s_mov_b32 s0, 0
.LBB40_61:                              ; =>This Inner Loop Header: Depth=1
	s_wait_loadcnt 0x0
	v_pk_add_f16 v4, v37, v5
	s_wait_xcnt 0x0
	global_atomic_cmpswap_b32 v1, v[2:3], v[4:5], off offset:4 th:TH_ATOMIC_RETURN scope:SCOPE_DEV
	s_wait_loadcnt 0x0
	v_cmp_eq_u32_e32 vcc_lo, v5, v1
	s_wait_xcnt 0x0
	v_mov_b32_e32 v5, v1
	s_or_b32 s0, vcc_lo, s0
	s_delay_alu instid0(SALU_CYCLE_1)
	s_and_not1_b32 exec_lo, exec_lo, s0
	s_cbranch_execnz .LBB40_61
; %bb.62:
	s_or_b32 exec_lo, exec_lo, s0
	v_add_nc_u32_e32 v0, s4, v0
	s_mov_b32 s0, 0
	s_delay_alu instid0(VALU_DEP_1) | instskip(NEXT) | instid1(VALU_DEP_1)
	v_ashrrev_i32_e32 v1, 31, v0
	;; [unrolled: 38-line block ×6, first 2 shown]
	v_lshl_add_u64 v[0:1], v[0:1], 1, s[10:11]
	global_load_b32 v3, v[0:1], off
.LBB40_79:                              ; =>This Inner Loop Header: Depth=1
	s_wait_loadcnt 0x0
	v_pk_add_f16 v2, v28, v3
	s_wait_xcnt 0x0
	global_atomic_cmpswap_b32 v2, v[0:1], v[2:3], off th:TH_ATOMIC_RETURN scope:SCOPE_DEV
	s_wait_loadcnt 0x0
	v_cmp_eq_u32_e32 vcc_lo, v3, v2
	s_wait_xcnt 0x0
	v_mov_b32_e32 v3, v2
	s_or_b32 s0, vcc_lo, s0
	s_delay_alu instid0(SALU_CYCLE_1)
	s_and_not1_b32 exec_lo, exec_lo, s0
	s_cbranch_execnz .LBB40_79
; %bb.80:
	s_or_b32 exec_lo, exec_lo, s0
	global_load_b32 v3, v[0:1], off offset:4
	s_mov_b32 s0, 0
.LBB40_81:                              ; =>This Inner Loop Header: Depth=1
	s_wait_loadcnt 0x0
	v_pk_add_f16 v2, v13, v3
	s_wait_xcnt 0x0
	global_atomic_cmpswap_b32 v2, v[0:1], v[2:3], off offset:4 th:TH_ATOMIC_RETURN scope:SCOPE_DEV
	s_wait_loadcnt 0x0
	v_cmp_eq_u32_e32 vcc_lo, v3, v2
	s_wait_xcnt 0x0
	v_mov_b32_e32 v3, v2
	s_or_b32 s0, vcc_lo, s0
	s_delay_alu instid0(SALU_CYCLE_1)
	s_and_not1_b32 exec_lo, exec_lo, s0
	s_cbranch_execnz .LBB40_81
.LBB40_82:
	s_sendmsg sendmsg(MSG_DEALLOC_VGPRS)
	s_endpgm
	.section	.rodata,"a",@progbits
	.p2align	6, 0x0
	.amdhsa_kernel _ZN4vllm4gptq33gemm_half_q_half_gptq_3bit_kernelILb1ELi7EEEvPK6__halfPKjS6_S4_PS2_iiiibPKi
		.amdhsa_group_segment_fixed_size 1792
		.amdhsa_private_segment_fixed_size 28
		.amdhsa_kernarg_size 72
		.amdhsa_user_sgpr_count 2
		.amdhsa_user_sgpr_dispatch_ptr 0
		.amdhsa_user_sgpr_queue_ptr 0
		.amdhsa_user_sgpr_kernarg_segment_ptr 1
		.amdhsa_user_sgpr_dispatch_id 0
		.amdhsa_user_sgpr_kernarg_preload_length 0
		.amdhsa_user_sgpr_kernarg_preload_offset 0
		.amdhsa_user_sgpr_private_segment_size 0
		.amdhsa_wavefront_size32 1
		.amdhsa_uses_dynamic_stack 0
		.amdhsa_enable_private_segment 1
		.amdhsa_system_sgpr_workgroup_id_x 1
		.amdhsa_system_sgpr_workgroup_id_y 1
		.amdhsa_system_sgpr_workgroup_id_z 1
		.amdhsa_system_sgpr_workgroup_info 0
		.amdhsa_system_vgpr_workitem_id 0
		.amdhsa_next_free_vgpr 128
		.amdhsa_next_free_sgpr 30
		.amdhsa_named_barrier_count 0
		.amdhsa_reserve_vcc 1
		.amdhsa_float_round_mode_32 0
		.amdhsa_float_round_mode_16_64 0
		.amdhsa_float_denorm_mode_32 3
		.amdhsa_float_denorm_mode_16_64 3
		.amdhsa_fp16_overflow 0
		.amdhsa_memory_ordered 1
		.amdhsa_forward_progress 1
		.amdhsa_inst_pref_size 88
		.amdhsa_round_robin_scheduling 0
		.amdhsa_exception_fp_ieee_invalid_op 0
		.amdhsa_exception_fp_denorm_src 0
		.amdhsa_exception_fp_ieee_div_zero 0
		.amdhsa_exception_fp_ieee_overflow 0
		.amdhsa_exception_fp_ieee_underflow 0
		.amdhsa_exception_fp_ieee_inexact 0
		.amdhsa_exception_int_div_zero 0
	.end_amdhsa_kernel
	.section	.text._ZN4vllm4gptq33gemm_half_q_half_gptq_3bit_kernelILb1ELi7EEEvPK6__halfPKjS6_S4_PS2_iiiibPKi,"axG",@progbits,_ZN4vllm4gptq33gemm_half_q_half_gptq_3bit_kernelILb1ELi7EEEvPK6__halfPKjS6_S4_PS2_iiiibPKi,comdat
.Lfunc_end40:
	.size	_ZN4vllm4gptq33gemm_half_q_half_gptq_3bit_kernelILb1ELi7EEEvPK6__halfPKjS6_S4_PS2_iiiibPKi, .Lfunc_end40-_ZN4vllm4gptq33gemm_half_q_half_gptq_3bit_kernelILb1ELi7EEEvPK6__halfPKjS6_S4_PS2_iiiibPKi
                                        ; -- End function
	.set _ZN4vllm4gptq33gemm_half_q_half_gptq_3bit_kernelILb1ELi7EEEvPK6__halfPKjS6_S4_PS2_iiiibPKi.num_vgpr, 128
	.set _ZN4vllm4gptq33gemm_half_q_half_gptq_3bit_kernelILb1ELi7EEEvPK6__halfPKjS6_S4_PS2_iiiibPKi.num_agpr, 0
	.set _ZN4vllm4gptq33gemm_half_q_half_gptq_3bit_kernelILb1ELi7EEEvPK6__halfPKjS6_S4_PS2_iiiibPKi.numbered_sgpr, 30
	.set _ZN4vllm4gptq33gemm_half_q_half_gptq_3bit_kernelILb1ELi7EEEvPK6__halfPKjS6_S4_PS2_iiiibPKi.num_named_barrier, 0
	.set _ZN4vllm4gptq33gemm_half_q_half_gptq_3bit_kernelILb1ELi7EEEvPK6__halfPKjS6_S4_PS2_iiiibPKi.private_seg_size, 28
	.set _ZN4vllm4gptq33gemm_half_q_half_gptq_3bit_kernelILb1ELi7EEEvPK6__halfPKjS6_S4_PS2_iiiibPKi.uses_vcc, 1
	.set _ZN4vllm4gptq33gemm_half_q_half_gptq_3bit_kernelILb1ELi7EEEvPK6__halfPKjS6_S4_PS2_iiiibPKi.uses_flat_scratch, 0
	.set _ZN4vllm4gptq33gemm_half_q_half_gptq_3bit_kernelILb1ELi7EEEvPK6__halfPKjS6_S4_PS2_iiiibPKi.has_dyn_sized_stack, 0
	.set _ZN4vllm4gptq33gemm_half_q_half_gptq_3bit_kernelILb1ELi7EEEvPK6__halfPKjS6_S4_PS2_iiiibPKi.has_recursion, 0
	.set _ZN4vllm4gptq33gemm_half_q_half_gptq_3bit_kernelILb1ELi7EEEvPK6__halfPKjS6_S4_PS2_iiiibPKi.has_indirect_call, 0
	.section	.AMDGPU.csdata,"",@progbits
; Kernel info:
; codeLenInByte = 11252
; TotalNumSgprs: 32
; NumVgprs: 128
; ScratchSize: 28
; MemoryBound: 0
; FloatMode: 240
; IeeeMode: 1
; LDSByteSize: 1792 bytes/workgroup (compile time only)
; SGPRBlocks: 0
; VGPRBlocks: 7
; NumSGPRsForWavesPerEU: 32
; NumVGPRsForWavesPerEU: 128
; NamedBarCnt: 0
; Occupancy: 8
; WaveLimiterHint : 0
; COMPUTE_PGM_RSRC2:SCRATCH_EN: 1
; COMPUTE_PGM_RSRC2:USER_SGPR: 2
; COMPUTE_PGM_RSRC2:TRAP_HANDLER: 0
; COMPUTE_PGM_RSRC2:TGID_X_EN: 1
; COMPUTE_PGM_RSRC2:TGID_Y_EN: 1
; COMPUTE_PGM_RSRC2:TGID_Z_EN: 1
; COMPUTE_PGM_RSRC2:TIDIG_COMP_CNT: 0
	.section	.text._ZN4vllm4gptq33gemm_half_q_half_gptq_4bit_kernelILb1ELi7EEEvPK6__halfPKjS6_S4_PS2_iiiibPKi,"axG",@progbits,_ZN4vllm4gptq33gemm_half_q_half_gptq_4bit_kernelILb1ELi7EEEvPK6__halfPKjS6_S4_PS2_iiiibPKi,comdat
	.protected	_ZN4vllm4gptq33gemm_half_q_half_gptq_4bit_kernelILb1ELi7EEEvPK6__halfPKjS6_S4_PS2_iiiibPKi ; -- Begin function _ZN4vllm4gptq33gemm_half_q_half_gptq_4bit_kernelILb1ELi7EEEvPK6__halfPKjS6_S4_PS2_iiiibPKi
	.globl	_ZN4vllm4gptq33gemm_half_q_half_gptq_4bit_kernelILb1ELi7EEEvPK6__halfPKjS6_S4_PS2_iiiibPKi
	.p2align	8
	.type	_ZN4vllm4gptq33gemm_half_q_half_gptq_4bit_kernelILb1ELi7EEEvPK6__halfPKjS6_S4_PS2_iiiibPKi,@function
_ZN4vllm4gptq33gemm_half_q_half_gptq_4bit_kernelILb1ELi7EEEvPK6__halfPKjS6_S4_PS2_iiiibPKi: ; @_ZN4vllm4gptq33gemm_half_q_half_gptq_4bit_kernelILb1ELi7EEEvPK6__halfPKjS6_S4_PS2_iiiibPKi
; %bb.0:
	s_load_b128 s[4:7], s[0:1], 0x2c
	s_bfe_u32 s2, ttmp6, 0x40014
	s_lshr_b32 s3, ttmp7, 16
	s_add_co_i32 s2, s2, 1
	s_bfe_u32 s9, ttmp6, 0x40010
	s_mul_i32 s2, s3, s2
	s_bfe_u32 s8, ttmp6, 0x40008
	s_and_b32 s10, ttmp7, 0xffff
	s_add_co_i32 s9, s9, 1
	s_add_co_i32 s8, s8, s2
	s_mul_i32 s2, s10, s9
	s_bfe_u32 s9, ttmp6, 0x40004
	s_getreg_b32 s17, hwreg(HW_REG_IB_STS2, 6, 4)
	s_add_co_i32 s9, s9, s2
	s_cmp_eq_u32 s17, 0
	s_mov_b32 s12, exec_lo
	s_cselect_b32 s2, s3, s8
	s_cselect_b32 s14, s10, s9
	s_lshl_b32 s15, s2, 7
	s_mul_i32 s14, s14, 7
	s_add_co_i32 s2, s15, 0x80
	s_delay_alu instid0(SALU_CYCLE_1) | instskip(SKIP_3) | instid1(VALU_DEP_1)
	v_cvt_f64_u32_e32 v[2:3], s2
	s_load_b64 s[2:3], s[0:1], 0x10
	s_wait_kmcnt 0x0
	v_cvt_f64_i32_e32 v[4:5], s5
	v_min_num_f64_e32 v[2:3], v[2:3], v[4:5]
	s_delay_alu instid0(VALU_DEP_1) | instskip(SKIP_1) | instid1(VALU_DEP_2)
	v_cvt_i32_f64_e32 v1, v[2:3]
	v_add_nc_u32_e32 v2, s15, v0
	v_readfirstlane_b32 s16, v1
	s_delay_alu instid0(VALU_DEP_2)
	v_cmpx_lt_u32_e64 v2, v1
	s_cbranch_execz .LBB41_16
; %bb.1:
	s_clause 0x1
	s_load_b64 s[10:11], s[0:1], 0x40
	s_load_b64 s[8:9], s[0:1], 0x0
	v_mov_b32_e32 v3, 0
	s_delay_alu instid0(VALU_DEP_1)
	v_mov_b64_e32 v[6:7], v[2:3]
	s_wait_kmcnt 0x0
	v_lshl_add_u64 v[4:5], v[2:3], 2, s[10:11]
	s_cmp_lg_u64 s[10:11], 0
	s_cselect_b32 s13, -1, 0
	s_cmp_eq_u64 s[10:11], 0
	s_cbranch_scc1 .LBB41_3
; %bb.2:
	global_load_b32 v6, v[4:5], off
	s_wait_loadcnt 0x0
	v_ashrrev_i32_e32 v7, 31, v6
.LBB41_3:
	s_mul_i32 s10, s14, s5
	v_cndmask_b32_e64 v8, 0, 1, s13
	s_ashr_i32 s11, s10, 31
	v_lshlrev_b32_e32 v1, 1, v0
	s_lshl_b64 s[18:19], s[10:11], 1
	s_and_not1_b32 vcc_lo, exec_lo, s13
	s_add_nc_u64 s[18:19], s[8:9], s[18:19]
	s_delay_alu instid0(SALU_CYCLE_1)
	v_lshl_add_u64 v[6:7], v[6:7], 1, s[18:19]
	global_load_u16 v9, v[6:7], off
	s_wait_xcnt 0x0
	v_mov_b64_e32 v[6:7], v[2:3]
	s_wait_loadcnt 0x0
	ds_store_b16 v1, v9
	s_cbranch_vccnz .LBB41_5
; %bb.4:
	global_load_b32 v6, v[4:5], off
	s_wait_loadcnt 0x0
	v_ashrrev_i32_e32 v7, 31, v6
.LBB41_5:
	s_add_co_i32 s10, s10, s5
	v_cmp_ne_u32_e32 vcc_lo, 1, v8
	s_ashr_i32 s11, s10, 31
	s_delay_alu instid0(SALU_CYCLE_1) | instskip(SKIP_2) | instid1(SALU_CYCLE_1)
	s_lshl_b64 s[18:19], s[10:11], 1
	s_and_b32 vcc_lo, exec_lo, vcc_lo
	s_add_nc_u64 s[18:19], s[8:9], s[18:19]
	v_lshl_add_u64 v[6:7], v[6:7], 1, s[18:19]
	global_load_u16 v9, v[6:7], off
	s_wait_xcnt 0x0
	v_mov_b64_e32 v[6:7], v[2:3]
	s_wait_loadcnt 0x0
	ds_store_b16 v1, v9 offset:256
	s_cbranch_vccnz .LBB41_7
; %bb.6:
	global_load_b32 v6, v[4:5], off
	s_wait_loadcnt 0x0
	v_ashrrev_i32_e32 v7, 31, v6
.LBB41_7:
	s_add_co_i32 s10, s10, s5
	v_cmp_ne_u32_e32 vcc_lo, 1, v8
	s_ashr_i32 s11, s10, 31
	s_delay_alu instid0(SALU_CYCLE_1) | instskip(SKIP_2) | instid1(SALU_CYCLE_1)
	s_lshl_b64 s[18:19], s[10:11], 1
	s_and_b32 vcc_lo, exec_lo, vcc_lo
	s_add_nc_u64 s[18:19], s[8:9], s[18:19]
	v_lshl_add_u64 v[6:7], v[6:7], 1, s[18:19]
	global_load_u16 v9, v[6:7], off
	s_wait_xcnt 0x0
	v_mov_b64_e32 v[6:7], v[2:3]
	s_wait_loadcnt 0x0
	ds_store_b16 v1, v9 offset:512
	s_cbranch_vccnz .LBB41_9
; %bb.8:
	global_load_b32 v6, v[4:5], off
	s_wait_loadcnt 0x0
	v_ashrrev_i32_e32 v7, 31, v6
.LBB41_9:
	s_add_co_i32 s10, s10, s5
	v_cmp_ne_u32_e32 vcc_lo, 1, v8
	s_ashr_i32 s11, s10, 31
	s_delay_alu instid0(SALU_CYCLE_1) | instskip(SKIP_2) | instid1(SALU_CYCLE_1)
	s_lshl_b64 s[18:19], s[10:11], 1
	s_and_b32 vcc_lo, exec_lo, vcc_lo
	s_add_nc_u64 s[18:19], s[8:9], s[18:19]
	v_lshl_add_u64 v[6:7], v[6:7], 1, s[18:19]
	global_load_u16 v9, v[6:7], off
	s_wait_xcnt 0x0
	v_mov_b64_e32 v[6:7], v[2:3]
	s_wait_loadcnt 0x0
	ds_store_b16 v1, v9 offset:768
	s_cbranch_vccnz .LBB41_11
; %bb.10:
	global_load_b32 v6, v[4:5], off
	s_wait_loadcnt 0x0
	v_ashrrev_i32_e32 v7, 31, v6
.LBB41_11:
	s_add_co_i32 s10, s10, s5
	v_cmp_ne_u32_e32 vcc_lo, 1, v8
	s_ashr_i32 s11, s10, 31
	s_delay_alu instid0(SALU_CYCLE_1) | instskip(SKIP_2) | instid1(SALU_CYCLE_1)
	s_lshl_b64 s[18:19], s[10:11], 1
	s_and_b32 vcc_lo, exec_lo, vcc_lo
	s_add_nc_u64 s[18:19], s[8:9], s[18:19]
	v_lshl_add_u64 v[6:7], v[6:7], 1, s[18:19]
	global_load_u16 v9, v[6:7], off
	s_wait_xcnt 0x0
	v_mov_b64_e32 v[6:7], v[2:3]
	s_wait_loadcnt 0x0
	ds_store_b16 v1, v9 offset:1024
	s_cbranch_vccnz .LBB41_13
; %bb.12:
	global_load_b32 v6, v[4:5], off
	s_wait_loadcnt 0x0
	v_ashrrev_i32_e32 v7, 31, v6
.LBB41_13:
	s_add_co_i32 s10, s10, s5
	v_cmp_ne_u32_e32 vcc_lo, 1, v8
	s_ashr_i32 s11, s10, 31
	s_delay_alu instid0(SALU_CYCLE_1) | instskip(SKIP_2) | instid1(SALU_CYCLE_1)
	s_lshl_b64 s[18:19], s[10:11], 1
	s_and_b32 vcc_lo, exec_lo, vcc_lo
	s_add_nc_u64 s[18:19], s[8:9], s[18:19]
	v_lshl_add_u64 v[6:7], v[6:7], 1, s[18:19]
	global_load_u16 v6, v[6:7], off
	s_wait_loadcnt 0x0
	ds_store_b16 v1, v6 offset:1280
	s_cbranch_vccnz .LBB41_15
; %bb.14:
	global_load_b32 v2, v[4:5], off
	s_wait_loadcnt 0x0
	v_ashrrev_i32_e32 v3, 31, v2
.LBB41_15:
	s_add_co_i32 s10, s10, s5
	s_delay_alu instid0(SALU_CYCLE_1) | instskip(NEXT) | instid1(SALU_CYCLE_1)
	s_ashr_i32 s11, s10, 31
	s_lshl_b64 s[10:11], s[10:11], 1
	s_delay_alu instid0(SALU_CYCLE_1) | instskip(NEXT) | instid1(SALU_CYCLE_1)
	s_add_nc_u64 s[8:9], s[8:9], s[10:11]
	v_lshl_add_u64 v[2:3], v[2:3], 1, s[8:9]
	global_load_u16 v2, v[2:3], off
	s_wait_loadcnt 0x0
	ds_store_b16 v1, v2 offset:1536
.LBB41_16:
	s_or_b32 exec_lo, exec_lo, s12
	s_clause 0x1
	s_load_b64 s[12:13], s[0:1], 0x8
	s_load_b128 s[8:11], s[0:1], 0x18
	s_wait_xcnt 0x0
	s_bfe_u32 s0, ttmp6, 0x4000c
	s_and_b32 s1, ttmp6, 15
	s_add_co_i32 s0, s0, 1
	v_lshlrev_b32_e32 v1, 2, v0
	s_mul_i32 s0, ttmp9, s0
	s_delay_alu instid0(SALU_CYCLE_1)
	s_add_co_i32 s1, s1, s0
	s_cmp_eq_u32 s17, 0
	s_cselect_b32 s0, ttmp9, s1
	s_mov_b32 s1, 0
	v_lshl_add_u32 v2, s0, 9, v1
	s_mov_b32 s0, exec_lo
	s_delay_alu instid0(VALU_DEP_1)
	v_cmpx_gt_i32_e64 s4, v2
	s_cbranch_execz .LBB41_50
; %bb.17:
	s_abs_i32 s17, s6
	v_mov_b32_e32 v9, 0
	s_cvt_f32_u32 s0, s17
	s_cmp_ge_i32 s15, s16
	s_wait_dscnt 0x0
	s_barrier_signal -1
	v_rcp_iflag_f32_e32 v1, s0
	v_dual_mov_b32 v8, v9 :: v_dual_mov_b32 v36, v9
	v_dual_mov_b32 v13, v9 :: v_dual_mov_b32 v35, v9
	;; [unrolled: 1-line block ×4, first 2 shown]
	s_delay_alu instid0(TRANS32_DEP_1)
	v_readfirstlane_b32 s0, v1
	v_dual_mov_b32 v40, v9 :: v_dual_mov_b32 v42, v9
	v_dual_mov_b32 v41, v9 :: v_dual_mov_b32 v44, v9
	;; [unrolled: 1-line block ×9, first 2 shown]
	v_mov_b32_e32 v58, v9
	s_barrier_wait -1
	s_cbranch_scc1 .LBB41_22
; %bb.18:
	s_mul_f32 s0, s0, 0x4f7ffffe
	v_dual_ashrrev_i32 v3, 31, v2 :: v_dual_lshlrev_b32 v0, 4, v0
	v_mov_b32_e32 v8, 0
	s_delay_alu instid0(SALU_CYCLE_1) | instskip(SKIP_1) | instid1(VALU_DEP_2)
	s_cvt_u32_f32 s18, s0
	s_sub_co_i32 s0, 0, s17
	v_and_b32_e32 v60, 16, v0
	s_delay_alu instid0(SALU_CYCLE_1)
	s_mul_i32 s19, s0, s18
	s_abs_i32 s0, s5
	s_mul_hi_u32 s20, s18, s19
	s_mov_b32 s19, s1
	s_add_co_i32 s18, s18, s20
	s_ashr_i32 s5, s5, 31
	s_mul_u64 s[18:19], s[0:1], s[18:19]
	s_ashr_i32 s1, s6, 31
	s_mul_i32 s6, s19, s17
	s_xor_b32 s1, s5, s1
	s_sub_co_i32 s0, s0, s6
	s_add_co_i32 s5, s19, 1
	s_sub_co_i32 s6, s0, s17
	s_cmp_ge_u32 s0, s17
	s_mov_b32 s20, 0x10001
	s_cselect_b32 s5, s5, s19
	s_cselect_b32 s0, s6, s0
	s_add_co_i32 s6, s5, 1
	s_cmp_ge_u32 s0, s17
	v_dual_mov_b32 v9, v8 :: v_dual_mov_b32 v58, v8
	s_cselect_b32 s0, s6, s5
	v_dual_mov_b32 v59, v8 :: v_dual_mov_b32 v56, v8
	s_xor_b32 s0, s0, s1
	v_dual_mov_b32 v57, v8 :: v_dual_mov_b32 v53, v8
	s_sub_co_i32 s17, s0, s1
	s_bitcmp1_b32 s7, 0
	s_cvt_f32_u32 s0, s17
	s_cselect_b32 s1, -1, 0
	s_sub_co_i32 s5, 0, s17
	s_xor_b32 s1, s1, -1
	v_rcp_iflag_f32_e32 v1, s0
	v_cndmask_b32_e64 v61, 0, 1, s1
	v_dual_mov_b32 v54, v8 :: v_dual_mov_b32 v51, v8
	v_dual_mov_b32 v52, v8 :: v_dual_mov_b32 v49, v8
	;; [unrolled: 1-line block ×3, first 2 shown]
	s_delay_alu instid0(TRANS32_DEP_1)
	v_readfirstlane_b32 s0, v1
	v_dual_mov_b32 v48, v8 :: v_dual_mov_b32 v45, v8
	v_dual_mov_b32 v46, v8 :: v_dual_mov_b32 v43, v8
	s_mul_f32 s0, s0, 0x4f7ffffe
	v_dual_mov_b32 v44, v8 :: v_dual_mov_b32 v41, v8
	v_dual_mov_b32 v42, v8 :: v_dual_mov_b32 v40, v8
	s_delay_alu instid0(SALU_CYCLE_1) | instskip(SKIP_2) | instid1(SALU_CYCLE_1)
	s_cvt_u32_f32 s0, s0
	v_dual_mov_b32 v39, v8 :: v_dual_mov_b32 v37, v8
	v_dual_mov_b32 v38, v8 :: v_dual_mov_b32 v34, v8
	s_mul_i32 s5, s5, s0
	v_dual_mov_b32 v35, v8 :: v_dual_mov_b32 v13, v8
	s_mul_hi_u32 s5, s0, s5
	s_mov_b32 s19, 0
	s_add_co_i32 s0, s0, s5
	v_mov_b32_e32 v36, v8
	s_mul_hi_u32 s0, s15, s0
	s_delay_alu instid0(SALU_CYCLE_1) | instskip(SKIP_2) | instid1(SALU_CYCLE_1)
	s_mul_i32 s5, s0, s17
	s_add_co_i32 s6, s0, 1
	s_sub_co_i32 s5, s15, s5
	s_sub_co_i32 s7, s5, s17
	s_cmp_ge_u32 s5, s17
	s_cselect_b32 s0, s6, s0
	s_cselect_b32 s5, s7, s5
	s_add_co_i32 s6, s0, 1
	s_cmp_ge_u32 s5, s17
	s_cselect_b32 s18, s6, s0
	s_add_co_i32 s21, s17, s15
	s_mul_i32 s0, s18, s4
	s_delay_alu instid0(SALU_CYCLE_1) | instskip(SKIP_1) | instid1(SALU_CYCLE_1)
	v_dual_lshrrev_b32 v1, 29, v3 :: v_dual_add_nc_u32 v4, s0, v2
	s_ashr_i32 s5, s0, 31
	s_lshr_b32 s5, s5, 29
	s_delay_alu instid0(VALU_DEP_1)
	v_add_nc_u32_e32 v1, v2, v1
	s_add_co_i32 s5, s0, s5
	v_ashrrev_i32_e32 v5, 31, v4
	s_ashr_i32 s5, s5, 3
	s_lshr_b32 s0, s15, 3
	v_ashrrev_i32_e32 v55, 3, v1
	s_mul_i32 s6, s4, s0
	s_wait_kmcnt 0x0
	v_lshl_add_u64 v[4:5], v[4:5], 1, s[8:9]
	s_ashr_i32 s7, s6, 31
	v_add_nc_u32_e32 v1, s5, v55
	s_lshl_b64 s[6:7], s[6:7], 2
	global_load_b64 v[4:5], v[4:5], off
	s_add_nc_u64 s[6:7], s[12:13], s[6:7]
	s_ashr_i32 s5, s4, 31
	global_load_b32 v1, v1, s[2:3] scale_offset
	s_lshl_b64 s[0:1], s[4:5], 4
	s_mov_b32 s12, 0xf000f0
	s_wait_loadcnt 0x1
	v_lshrrev_b32_e32 v17, 16, v4
	v_cvt_f32_f16_e32 v4, v4
	s_wait_loadcnt 0x0
	v_lshrrev_b32_e32 v0, v0, v1
	s_delay_alu instid0(VALU_DEP_1) | instskip(NEXT) | instid1(VALU_DEP_1)
	v_lshrrev_b32_e32 v1, 12, v0
	v_dual_lshrrev_b32 v6, 8, v0 :: v_dual_bitop2_b32 v10, 15, v1 bitop3:0x40
	v_dual_lshrrev_b32 v7, 4, v0 :: v_dual_bitop2_b32 v11, 15, v0 bitop3:0x40
	v_lshl_add_u64 v[0:1], v[2:3], 2, s[6:7]
	s_delay_alu instid0(VALU_DEP_3) | instskip(NEXT) | instid1(VALU_DEP_3)
	v_dual_add_nc_u32 v10, v10, v61 :: v_dual_bitop2_b32 v6, 15, v6 bitop3:0x40
	v_dual_add_nc_u32 v11, v11, v61 :: v_dual_bitop2_b32 v7, 15, v7 bitop3:0x40
	s_lshl_b64 s[6:7], s[4:5], 2
	s_delay_alu instid0(VALU_DEP_2) | instskip(NEXT) | instid1(VALU_DEP_2)
	v_cvt_f32_ubyte0_e32 v3, v10
	v_dual_add_nc_u32 v12, v6, v61 :: v_dual_add_nc_u32 v14, v7, v61
	s_delay_alu instid0(VALU_DEP_3) | instskip(SKIP_2) | instid1(VALU_DEP_4)
	v_cvt_f32_ubyte0_e32 v15, v11
	v_cvt_f32_f16_e32 v6, v5
	v_lshrrev_b32_e32 v5, 16, v5
	v_cvt_f32_ubyte0_e32 v7, v12
	v_cvt_f32_ubyte0_e32 v16, v14
	v_mad_u32_u24 v62, v11, s20, 0xe400e400
	v_mad_u32_u24 v65, v10, s20, 0xe400e400
	;; [unrolled: 1-line block ×3, first 2 shown]
	v_cvt_pk_f16_f32 v18, v7, v3
	v_cvt_pk_f16_f32 v15, v15, v16
	v_cvt_f32_f16_e32 v7, v5
	v_cvt_f32_f16_e32 v3, v17
	s_mov_b32 s5, 0xf000f
	v_pk_add_f16 v5, 0xd400, v18 op_sel_hi:[0,1] neg_lo:[0,1] neg_hi:[0,1]
	v_pk_add_f16 v11, 0xd400, v15 op_sel_hi:[0,1] neg_lo:[0,1] neg_hi:[0,1]
	s_delay_alu instid0(VALU_DEP_2) | instskip(SKIP_1) | instid1(VALU_DEP_3)
	v_and_b32_e32 v10, 0xffff, v5
	v_lshrrev_b32_e32 v5, 16, v5
	v_and_b32_e32 v15, 0xffff, v11
	v_lshrrev_b32_e32 v16, 16, v11
	v_mad_u32_u24 v64, v14, s20, 0xe400e400
	v_mul_u32_u24_e32 v12, 0x10001, v10
	v_mul_u32_u24_e32 v11, 0x10001, v5
	;; [unrolled: 1-line block ×4, first 2 shown]
	s_branch .LBB41_20
.LBB41_19:                              ;   in Loop: Header=BB41_20 Depth=1
	global_load_b128 v[24:27], v[0:1], off
	s_add_co_i32 s13, s19, 0x400
	s_add_co_i32 s15, s15, 32
	s_wait_loadcnt 0x0
	v_dual_lshrrev_b32 v16, 8, v24 :: v_dual_lshrrev_b32 v18, 8, v25
	v_and_or_b32 v14, v24, s5, 0x64006400
	v_and_or_b32 v15, v24, s12, 0x64006400
	v_lshrrev_b32_e32 v22, 8, v26
	s_delay_alu instid0(VALU_DEP_4)
	v_and_or_b32 v17, v16, s5, 0x64006400
	v_and_or_b32 v16, v16, s12, 0x64006400
	v_pk_add_f16 v30, v62, v14
	v_pk_fma_f16 v24, 0x2c00, v15, v10 op_sel_hi:[0,1,1]
	v_and_or_b32 v19, v18, s5, 0x64006400
	v_pk_add_f16 v14, v62, v17
	v_pk_fma_f16 v15, 0x2c00, v16, v10 op_sel_hi:[0,1,1]
	v_and_or_b32 v16, v25, s5, 0x64006400
	v_and_or_b32 v17, v25, s12, 0x64006400
	;; [unrolled: 1-line block ×5, first 2 shown]
	v_pk_add_f16 v18, v64, v19
	v_and_or_b32 v21, v26, s12, 0x64006400
	v_pk_fma_f16 v19, 0x2c00, v20, v5 op_sel_hi:[0,1,1]
	v_and_or_b32 v20, v26, s5, 0x64006400
	v_pk_add_f16 v22, v63, v23
	v_pk_fma_f16 v23, 0x2c00, v25, v12 op_sel_hi:[0,1,1]
	v_and_or_b32 v25, v27, s5, 0x64006400
	v_and_or_b32 v26, v27, s12, 0x64006400
	v_lshrrev_b32_e32 v27, 8, v27
	v_pk_add_f16 v16, v64, v16
	v_pk_fma_f16 v17, 0x2c00, v17, v5 op_sel_hi:[0,1,1]
	v_pk_add_f16 v20, v63, v20
	v_pk_fma_f16 v21, 0x2c00, v21, v12 op_sel_hi:[0,1,1]
	v_and_or_b32 v28, v27, s5, 0x64006400
	v_and_or_b32 v29, v27, s12, 0x64006400
	v_pk_add_f16 v25, v65, v25
	v_pk_fma_f16 v26, 0x2c00, v26, v11 op_sel_hi:[0,1,1]
	s_delay_alu instid0(VALU_DEP_4)
	v_pk_add_f16 v27, v65, v28
	v_mov_b32_e32 v28, s19
	v_pk_fma_f16 v29, 0x2c00, v29, v11 op_sel_hi:[0,1,1]
	ds_load_2addr_b32 v[32:33], v28 offset1:1
	ds_load_2addr_b32 v[66:67], v28 offset0:2 offset1:3
	s_wait_dscnt 0x1
	v_pk_fma_f16 v31, v30, v32, 0
	s_delay_alu instid0(VALU_DEP_1) | instskip(SKIP_1) | instid1(VALU_DEP_1)
	v_pk_fma_f16 v31, v24, v33, v31
	s_wait_dscnt 0x0
	v_pk_fma_f16 v31, v14, v66, v31
	s_delay_alu instid0(VALU_DEP_1) | instskip(NEXT) | instid1(VALU_DEP_1)
	v_pk_fma_f16 v31, v15, v67, v31
	v_cvt_f32_f16_e32 v68, v31
	v_lshrrev_b32_e32 v31, 16, v31
	ds_load_2addr_b32 v[76:77], v28 offset0:10 offset1:11
	v_cvt_f32_f16_e32 v31, v31
	s_delay_alu instid0(VALU_DEP_1) | instskip(NEXT) | instid1(VALU_DEP_1)
	v_add_f32_e32 v31, v31, v68
	v_fmac_f32_e32 v58, v31, v4
	v_pk_fma_f16 v31, v16, v32, 0
	s_delay_alu instid0(VALU_DEP_1) | instskip(NEXT) | instid1(VALU_DEP_1)
	v_pk_fma_f16 v31, v17, v33, v31
	v_pk_fma_f16 v31, v18, v66, v31
	s_delay_alu instid0(VALU_DEP_1) | instskip(NEXT) | instid1(VALU_DEP_1)
	v_pk_fma_f16 v31, v19, v67, v31
	v_cvt_f32_f16_e32 v68, v31
	v_lshrrev_b32_e32 v31, 16, v31
	s_delay_alu instid0(VALU_DEP_1) | instskip(NEXT) | instid1(VALU_DEP_1)
	v_cvt_f32_f16_e32 v31, v31
	v_add_f32_e32 v31, v31, v68
	s_delay_alu instid0(VALU_DEP_1) | instskip(SKIP_1) | instid1(VALU_DEP_1)
	v_fmac_f32_e32 v59, v31, v3
	v_pk_fma_f16 v31, v20, v32, 0
	v_pk_fma_f16 v31, v21, v33, v31
	s_delay_alu instid0(VALU_DEP_1) | instskip(NEXT) | instid1(VALU_DEP_1)
	v_pk_fma_f16 v31, v22, v66, v31
	v_pk_fma_f16 v31, v23, v67, v31
	s_delay_alu instid0(VALU_DEP_1) | instskip(SKIP_1) | instid1(VALU_DEP_1)
	v_cvt_f32_f16_e32 v68, v31
	v_lshrrev_b32_e32 v31, 16, v31
	v_cvt_f32_f16_e32 v31, v31
	s_delay_alu instid0(VALU_DEP_1) | instskip(NEXT) | instid1(VALU_DEP_1)
	v_add_f32_e32 v31, v31, v68
	v_fmac_f32_e32 v56, v31, v6
	v_pk_fma_f16 v31, v25, v32, 0
	s_delay_alu instid0(VALU_DEP_1) | instskip(NEXT) | instid1(VALU_DEP_1)
	v_pk_fma_f16 v31, v26, v33, v31
	v_pk_fma_f16 v31, v27, v66, v31
	s_delay_alu instid0(VALU_DEP_1) | instskip(SKIP_3) | instid1(VALU_DEP_1)
	v_pk_fma_f16 v31, v29, v67, v31
	ds_load_2addr_b32 v[66:67], v28 offset0:66 offset1:67
	v_cvt_f32_f16_e32 v32, v31
	v_lshrrev_b32_e32 v31, 16, v31
	v_cvt_f32_f16_e32 v31, v31
	s_delay_alu instid0(VALU_DEP_1) | instskip(SKIP_4) | instid1(VALU_DEP_1)
	v_add_f32_e32 v31, v31, v32
	ds_load_2addr_b32 v[32:33], v28 offset0:64 offset1:65
	v_fmac_f32_e32 v57, v31, v7
	s_wait_dscnt 0x0
	v_pk_fma_f16 v31, v30, v32, 0
	v_pk_fma_f16 v31, v24, v33, v31
	s_delay_alu instid0(VALU_DEP_1) | instskip(NEXT) | instid1(VALU_DEP_1)
	v_pk_fma_f16 v31, v14, v66, v31
	v_pk_fma_f16 v31, v15, v67, v31
	s_delay_alu instid0(VALU_DEP_1) | instskip(SKIP_1) | instid1(VALU_DEP_1)
	v_cvt_f32_f16_e32 v68, v31
	v_lshrrev_b32_e32 v31, 16, v31
	v_cvt_f32_f16_e32 v31, v31
	s_delay_alu instid0(VALU_DEP_1) | instskip(NEXT) | instid1(VALU_DEP_1)
	v_add_f32_e32 v31, v31, v68
	v_fmac_f32_e32 v53, v31, v4
	v_pk_fma_f16 v31, v16, v32, 0
	s_delay_alu instid0(VALU_DEP_1) | instskip(NEXT) | instid1(VALU_DEP_1)
	v_pk_fma_f16 v31, v17, v33, v31
	v_pk_fma_f16 v31, v18, v66, v31
	s_delay_alu instid0(VALU_DEP_1) | instskip(NEXT) | instid1(VALU_DEP_1)
	v_pk_fma_f16 v31, v19, v67, v31
	v_cvt_f32_f16_e32 v68, v31
	v_lshrrev_b32_e32 v31, 16, v31
	s_delay_alu instid0(VALU_DEP_1) | instskip(NEXT) | instid1(VALU_DEP_1)
	v_cvt_f32_f16_e32 v31, v31
	v_add_f32_e32 v31, v31, v68
	s_delay_alu instid0(VALU_DEP_1) | instskip(SKIP_1) | instid1(VALU_DEP_1)
	v_fmac_f32_e32 v54, v31, v3
	v_pk_fma_f16 v31, v20, v32, 0
	v_pk_fma_f16 v31, v21, v33, v31
	s_delay_alu instid0(VALU_DEP_1) | instskip(NEXT) | instid1(VALU_DEP_1)
	v_pk_fma_f16 v31, v22, v66, v31
	v_pk_fma_f16 v31, v23, v67, v31
	s_delay_alu instid0(VALU_DEP_1) | instskip(SKIP_1) | instid1(VALU_DEP_1)
	v_cvt_f32_f16_e32 v68, v31
	v_lshrrev_b32_e32 v31, 16, v31
	v_cvt_f32_f16_e32 v31, v31
	s_delay_alu instid0(VALU_DEP_1) | instskip(NEXT) | instid1(VALU_DEP_1)
	v_add_f32_e32 v31, v31, v68
	v_fmac_f32_e32 v51, v31, v6
	v_pk_fma_f16 v31, v25, v32, 0
	s_delay_alu instid0(VALU_DEP_1) | instskip(NEXT) | instid1(VALU_DEP_1)
	v_pk_fma_f16 v31, v26, v33, v31
	v_pk_fma_f16 v31, v27, v66, v31
	s_delay_alu instid0(VALU_DEP_1) | instskip(SKIP_3) | instid1(VALU_DEP_1)
	v_pk_fma_f16 v31, v29, v67, v31
	ds_load_2addr_b32 v[66:67], v28 offset0:130 offset1:131
	v_cvt_f32_f16_e32 v32, v31
	v_lshrrev_b32_e32 v31, 16, v31
	v_cvt_f32_f16_e32 v31, v31
	s_delay_alu instid0(VALU_DEP_1) | instskip(SKIP_4) | instid1(VALU_DEP_1)
	v_add_f32_e32 v31, v31, v32
	ds_load_2addr_b32 v[32:33], v28 offset0:128 offset1:129
	v_fmac_f32_e32 v52, v31, v7
	s_wait_dscnt 0x0
	v_pk_fma_f16 v31, v30, v32, 0
	v_pk_fma_f16 v31, v24, v33, v31
	s_delay_alu instid0(VALU_DEP_1) | instskip(NEXT) | instid1(VALU_DEP_1)
	v_pk_fma_f16 v31, v14, v66, v31
	v_pk_fma_f16 v31, v15, v67, v31
	s_delay_alu instid0(VALU_DEP_1) | instskip(SKIP_1) | instid1(VALU_DEP_1)
	v_cvt_f32_f16_e32 v68, v31
	v_lshrrev_b32_e32 v31, 16, v31
	;; [unrolled: 52-line block ×3, first 2 shown]
	v_cvt_f32_f16_e32 v31, v31
	s_delay_alu instid0(VALU_DEP_1) | instskip(NEXT) | instid1(VALU_DEP_1)
	v_add_f32_e32 v31, v31, v68
	v_fmac_f32_e32 v45, v31, v4
	v_pk_fma_f16 v31, v16, v32, 0
	s_delay_alu instid0(VALU_DEP_1) | instskip(NEXT) | instid1(VALU_DEP_1)
	v_pk_fma_f16 v31, v17, v33, v31
	v_pk_fma_f16 v31, v18, v66, v31
	s_delay_alu instid0(VALU_DEP_1) | instskip(NEXT) | instid1(VALU_DEP_1)
	v_pk_fma_f16 v31, v19, v67, v31
	v_cvt_f32_f16_e32 v68, v31
	v_lshrrev_b32_e32 v31, 16, v31
	s_delay_alu instid0(VALU_DEP_1) | instskip(NEXT) | instid1(VALU_DEP_1)
	v_cvt_f32_f16_e32 v31, v31
	v_add_f32_e32 v31, v31, v68
	s_delay_alu instid0(VALU_DEP_1) | instskip(SKIP_1) | instid1(VALU_DEP_1)
	v_fmac_f32_e32 v46, v31, v3
	v_pk_fma_f16 v31, v20, v32, 0
	v_pk_fma_f16 v31, v21, v33, v31
	s_delay_alu instid0(VALU_DEP_1) | instskip(NEXT) | instid1(VALU_DEP_1)
	v_pk_fma_f16 v31, v22, v66, v31
	v_pk_fma_f16 v31, v23, v67, v31
	s_delay_alu instid0(VALU_DEP_1) | instskip(SKIP_1) | instid1(VALU_DEP_1)
	v_cvt_f32_f16_e32 v68, v31
	v_lshrrev_b32_e32 v31, 16, v31
	v_cvt_f32_f16_e32 v31, v31
	s_delay_alu instid0(VALU_DEP_1) | instskip(NEXT) | instid1(VALU_DEP_1)
	v_add_f32_e32 v31, v31, v68
	v_fmac_f32_e32 v43, v31, v6
	v_pk_fma_f16 v31, v25, v32, 0
	s_delay_alu instid0(VALU_DEP_1) | instskip(NEXT) | instid1(VALU_DEP_1)
	v_pk_fma_f16 v31, v26, v33, v31
	v_pk_fma_f16 v31, v27, v66, v31
	s_delay_alu instid0(VALU_DEP_1) | instskip(NEXT) | instid1(VALU_DEP_1)
	v_pk_fma_f16 v31, v29, v67, v31
	v_cvt_f32_f16_e32 v32, v31
	v_lshrrev_b32_e32 v31, 16, v31
	s_delay_alu instid0(VALU_DEP_1) | instskip(NEXT) | instid1(VALU_DEP_1)
	v_cvt_f32_f16_e32 v31, v31
	v_add_f32_e32 v31, v31, v32
	s_delay_alu instid0(VALU_DEP_1) | instskip(SKIP_1) | instid1(SALU_CYCLE_1)
	v_dual_fmac_f32 v44, v31, v7 :: v_dual_mov_b32 v31, s13
	s_add_co_i32 s13, s19, 0x408
	v_mov_b32_e32 v66, s13
	s_add_co_i32 s13, s19, 0x500
	ds_load_2addr_b32 v[32:33], v31 offset1:1
	ds_load_2addr_b32 v[66:67], v66 offset1:1
	s_wait_dscnt 0x1
	v_pk_fma_f16 v31, v30, v32, 0
	s_delay_alu instid0(VALU_DEP_1) | instskip(SKIP_1) | instid1(VALU_DEP_1)
	v_pk_fma_f16 v31, v24, v33, v31
	s_wait_dscnt 0x0
	v_pk_fma_f16 v31, v14, v66, v31
	s_delay_alu instid0(VALU_DEP_1) | instskip(NEXT) | instid1(VALU_DEP_1)
	v_pk_fma_f16 v31, v15, v67, v31
	v_cvt_f32_f16_e32 v68, v31
	v_lshrrev_b32_e32 v31, 16, v31
	s_delay_alu instid0(VALU_DEP_1) | instskip(NEXT) | instid1(VALU_DEP_1)
	v_cvt_f32_f16_e32 v31, v31
	v_add_f32_e32 v31, v31, v68
	s_delay_alu instid0(VALU_DEP_1) | instskip(SKIP_1) | instid1(VALU_DEP_1)
	v_fmac_f32_e32 v41, v31, v4
	v_pk_fma_f16 v31, v16, v32, 0
	v_pk_fma_f16 v31, v17, v33, v31
	s_delay_alu instid0(VALU_DEP_1) | instskip(NEXT) | instid1(VALU_DEP_1)
	v_pk_fma_f16 v31, v18, v66, v31
	v_pk_fma_f16 v31, v19, v67, v31
	s_delay_alu instid0(VALU_DEP_1) | instskip(SKIP_1) | instid1(VALU_DEP_1)
	v_cvt_f32_f16_e32 v68, v31
	v_lshrrev_b32_e32 v31, 16, v31
	v_cvt_f32_f16_e32 v31, v31
	s_delay_alu instid0(VALU_DEP_1) | instskip(NEXT) | instid1(VALU_DEP_1)
	v_add_f32_e32 v31, v31, v68
	v_fmac_f32_e32 v42, v31, v3
	v_pk_fma_f16 v31, v20, v32, 0
	s_delay_alu instid0(VALU_DEP_1) | instskip(NEXT) | instid1(VALU_DEP_1)
	v_pk_fma_f16 v31, v21, v33, v31
	v_pk_fma_f16 v31, v22, v66, v31
	s_delay_alu instid0(VALU_DEP_1) | instskip(NEXT) | instid1(VALU_DEP_1)
	v_pk_fma_f16 v31, v23, v67, v31
	v_cvt_f32_f16_e32 v68, v31
	v_lshrrev_b32_e32 v31, 16, v31
	s_delay_alu instid0(VALU_DEP_1) | instskip(NEXT) | instid1(VALU_DEP_1)
	v_cvt_f32_f16_e32 v31, v31
	v_add_f32_e32 v31, v31, v68
	s_delay_alu instid0(VALU_DEP_1) | instskip(SKIP_1) | instid1(VALU_DEP_1)
	v_fmac_f32_e32 v40, v31, v6
	v_pk_fma_f16 v31, v25, v32, 0
	v_pk_fma_f16 v31, v26, v33, v31
	s_delay_alu instid0(VALU_DEP_1) | instskip(NEXT) | instid1(VALU_DEP_1)
	v_pk_fma_f16 v31, v27, v66, v31
	v_pk_fma_f16 v31, v29, v67, v31
	s_delay_alu instid0(VALU_DEP_1) | instskip(SKIP_1) | instid1(VALU_DEP_1)
	v_cvt_f32_f16_e32 v32, v31
	v_lshrrev_b32_e32 v31, 16, v31
	v_cvt_f32_f16_e32 v31, v31
	s_delay_alu instid0(VALU_DEP_1) | instskip(NEXT) | instid1(VALU_DEP_1)
	v_add_f32_e32 v31, v31, v32
	v_dual_fmac_f32 v39, v31, v7 :: v_dual_mov_b32 v31, s13
	s_add_co_i32 s13, s19, 0x508
	s_delay_alu instid0(SALU_CYCLE_1)
	v_mov_b32_e32 v66, s13
	s_add_co_i32 s13, s19, 0x600
	ds_load_2addr_b32 v[32:33], v31 offset1:1
	ds_load_2addr_b32 v[66:67], v66 offset1:1
	s_wait_dscnt 0x1
	v_pk_fma_f16 v31, v30, v32, 0
	s_delay_alu instid0(VALU_DEP_1) | instskip(SKIP_1) | instid1(VALU_DEP_1)
	v_pk_fma_f16 v31, v24, v33, v31
	s_wait_dscnt 0x0
	v_pk_fma_f16 v31, v14, v66, v31
	s_delay_alu instid0(VALU_DEP_1) | instskip(NEXT) | instid1(VALU_DEP_1)
	v_pk_fma_f16 v31, v15, v67, v31
	v_cvt_f32_f16_e32 v68, v31
	v_lshrrev_b32_e32 v31, 16, v31
	s_delay_alu instid0(VALU_DEP_1) | instskip(NEXT) | instid1(VALU_DEP_1)
	v_cvt_f32_f16_e32 v31, v31
	v_add_f32_e32 v31, v31, v68
	s_delay_alu instid0(VALU_DEP_1) | instskip(SKIP_1) | instid1(VALU_DEP_1)
	v_fmac_f32_e32 v37, v31, v4
	v_pk_fma_f16 v31, v16, v32, 0
	v_pk_fma_f16 v31, v17, v33, v31
	s_delay_alu instid0(VALU_DEP_1) | instskip(NEXT) | instid1(VALU_DEP_1)
	v_pk_fma_f16 v31, v18, v66, v31
	v_pk_fma_f16 v31, v19, v67, v31
	s_delay_alu instid0(VALU_DEP_1) | instskip(SKIP_1) | instid1(VALU_DEP_1)
	v_cvt_f32_f16_e32 v68, v31
	v_lshrrev_b32_e32 v31, 16, v31
	v_cvt_f32_f16_e32 v31, v31
	s_delay_alu instid0(VALU_DEP_1) | instskip(NEXT) | instid1(VALU_DEP_1)
	v_add_f32_e32 v31, v31, v68
	v_fmac_f32_e32 v38, v31, v3
	v_pk_fma_f16 v31, v20, v32, 0
	s_delay_alu instid0(VALU_DEP_1) | instskip(NEXT) | instid1(VALU_DEP_1)
	v_pk_fma_f16 v31, v21, v33, v31
	v_pk_fma_f16 v31, v22, v66, v31
	s_delay_alu instid0(VALU_DEP_1) | instskip(NEXT) | instid1(VALU_DEP_1)
	v_pk_fma_f16 v31, v23, v67, v31
	v_cvt_f32_f16_e32 v68, v31
	v_lshrrev_b32_e32 v31, 16, v31
	s_delay_alu instid0(VALU_DEP_1) | instskip(NEXT) | instid1(VALU_DEP_1)
	v_cvt_f32_f16_e32 v31, v31
	v_add_f32_e32 v31, v31, v68
	s_delay_alu instid0(VALU_DEP_1) | instskip(SKIP_1) | instid1(VALU_DEP_1)
	v_fmac_f32_e32 v34, v31, v6
	v_pk_fma_f16 v31, v25, v32, 0
	v_pk_fma_f16 v31, v26, v33, v31
	s_delay_alu instid0(VALU_DEP_1) | instskip(NEXT) | instid1(VALU_DEP_1)
	v_pk_fma_f16 v31, v27, v66, v31
	v_pk_fma_f16 v31, v29, v67, v31
	s_delay_alu instid0(VALU_DEP_1) | instskip(SKIP_1) | instid1(VALU_DEP_1)
	v_cvt_f32_f16_e32 v32, v31
	v_lshrrev_b32_e32 v31, 16, v31
	v_cvt_f32_f16_e32 v31, v31
	s_delay_alu instid0(VALU_DEP_1) | instskip(NEXT) | instid1(VALU_DEP_1)
	v_add_f32_e32 v31, v31, v32
	v_dual_fmac_f32 v35, v31, v7 :: v_dual_mov_b32 v31, s13
	s_add_co_i32 s13, s19, 0x608
	ds_load_2addr_b32 v[32:33], v31 offset1:1
	s_wait_dscnt 0x0
	v_pk_fma_f16 v30, v30, v32, 0
	s_delay_alu instid0(VALU_DEP_1)
	v_pk_fma_f16 v24, v24, v33, v30
	v_mov_b32_e32 v30, s13
	s_add_co_i32 s13, s19, 0x410
	ds_load_2addr_b32 v[30:31], v30 offset1:1
	s_wait_dscnt 0x0
	v_pk_fma_f16 v14, v14, v30, v24
	s_delay_alu instid0(VALU_DEP_1) | instskip(NEXT) | instid1(VALU_DEP_1)
	v_pk_fma_f16 v14, v15, v31, v14
	v_cvt_f32_f16_e32 v15, v14
	v_lshrrev_b32_e32 v14, 16, v14
	s_delay_alu instid0(VALU_DEP_1) | instskip(NEXT) | instid1(VALU_DEP_1)
	v_cvt_f32_f16_e32 v14, v14
	v_add_f32_e32 v14, v14, v15
	s_delay_alu instid0(VALU_DEP_1) | instskip(SKIP_1) | instid1(VALU_DEP_1)
	v_fmac_f32_e32 v13, v14, v4
	v_pk_fma_f16 v14, v16, v32, 0
	v_pk_fma_f16 v14, v17, v33, v14
	s_delay_alu instid0(VALU_DEP_1) | instskip(NEXT) | instid1(VALU_DEP_1)
	v_pk_fma_f16 v14, v18, v30, v14
	v_pk_fma_f16 v14, v19, v31, v14
	s_delay_alu instid0(VALU_DEP_1) | instskip(SKIP_1) | instid1(VALU_DEP_1)
	v_cvt_f32_f16_e32 v15, v14
	v_lshrrev_b32_e32 v14, 16, v14
	v_cvt_f32_f16_e32 v14, v14
	s_delay_alu instid0(VALU_DEP_1) | instskip(NEXT) | instid1(VALU_DEP_1)
	v_add_f32_e32 v14, v14, v15
	v_fmac_f32_e32 v36, v14, v3
	v_pk_fma_f16 v14, v20, v32, 0
	s_delay_alu instid0(VALU_DEP_1) | instskip(NEXT) | instid1(VALU_DEP_1)
	v_pk_fma_f16 v14, v21, v33, v14
	v_pk_fma_f16 v14, v22, v30, v14
	s_delay_alu instid0(VALU_DEP_1) | instskip(SKIP_2) | instid1(VALU_DEP_3)
	v_pk_fma_f16 v15, v23, v31, v14
	v_add_nc_u64_e32 v[22:23], s[6:7], v[0:1]
	v_add_nc_u64_e32 v[0:1], s[0:1], v[0:1]
	v_cvt_f32_f16_e32 v14, v15
	v_lshrrev_b32_e32 v15, 16, v15
	global_load_b128 v[18:21], v[22:23], off
	v_cvt_f32_f16_e32 v16, v15
	v_pk_fma_f16 v15, v25, v32, 0
	s_delay_alu instid0(VALU_DEP_1) | instskip(NEXT) | instid1(VALU_DEP_1)
	v_pk_fma_f16 v15, v26, v33, v15
	v_pk_fma_f16 v15, v27, v30, v15
	s_delay_alu instid0(VALU_DEP_1) | instskip(NEXT) | instid1(VALU_DEP_1)
	v_pk_fma_f16 v15, v29, v31, v15
	v_lshrrev_b32_e32 v17, 16, v15
	v_cvt_f32_f16_e32 v15, v15
	s_delay_alu instid0(VALU_DEP_2) | instskip(NEXT) | instid1(VALU_DEP_1)
	v_cvt_f32_f16_e32 v17, v17
	v_pk_add_f32 v[14:15], v[14:15], v[16:17]
	s_delay_alu instid0(VALU_DEP_1) | instskip(SKIP_4) | instid1(VALU_DEP_3)
	v_pk_fma_f32 v[8:9], v[14:15], v[6:7], v[8:9]
	s_wait_loadcnt 0x0
	v_and_or_b32 v24, v18, s5, 0x64006400
	v_and_or_b32 v26, v18, s12, 0x64006400
	v_lshrrev_b32_e32 v18, 8, v18
	v_pk_add_f16 v25, v62, v24
	s_delay_alu instid0(VALU_DEP_3) | instskip(NEXT) | instid1(VALU_DEP_3)
	v_pk_fma_f16 v24, 0x2c00, v26, v10 op_sel_hi:[0,1,1]
	v_and_or_b32 v27, v18, s5, 0x64006400
	v_and_or_b32 v18, v18, s12, 0x64006400
	;; [unrolled: 1-line block ×3, first 2 shown]
	s_delay_alu instid0(VALU_DEP_3) | instskip(NEXT) | instid1(VALU_DEP_3)
	v_pk_add_f16 v71, v62, v27
	v_pk_fma_f16 v72, 0x2c00, v18, v10 op_sel_hi:[0,1,1]
	v_and_or_b32 v18, v19, s5, 0x64006400
	v_lshrrev_b32_e32 v19, 8, v19
	v_pk_fma_f16 v68, 0x2c00, v26, v5 op_sel_hi:[0,1,1]
	s_delay_alu instid0(VALU_DEP_3) | instskip(NEXT) | instid1(VALU_DEP_3)
	v_pk_add_f16 v67, v64, v18
	v_and_or_b32 v27, v19, s5, 0x64006400
	v_and_or_b32 v19, v19, s12, 0x64006400
	v_and_or_b32 v18, v20, s5, 0x64006400
	s_delay_alu instid0(VALU_DEP_3) | instskip(NEXT) | instid1(VALU_DEP_3)
	v_pk_add_f16 v69, v64, v27
	v_pk_fma_f16 v70, 0x2c00, v19, v5 op_sel_hi:[0,1,1]
	v_and_or_b32 v19, v20, s12, 0x64006400
	s_delay_alu instid0(VALU_DEP_4) | instskip(SKIP_2) | instid1(VALU_DEP_4)
	v_pk_add_f16 v31, v63, v18
	v_and_or_b32 v18, v21, s5, 0x64006400
	v_lshrrev_b32_e32 v20, 8, v20
	v_pk_fma_f16 v32, 0x2c00, v19, v12 op_sel_hi:[0,1,1]
	v_and_or_b32 v19, v21, s12, 0x64006400
	s_delay_alu instid0(VALU_DEP_4) | instskip(NEXT) | instid1(VALU_DEP_4)
	v_pk_add_f16 v29, v65, v18
	v_and_or_b32 v26, v20, s5, 0x64006400
	v_and_or_b32 v20, v20, s12, 0x64006400
	s_delay_alu instid0(VALU_DEP_4) | instskip(SKIP_4) | instid1(VALU_DEP_1)
	v_pk_fma_f16 v30, 0x2c00, v19, v11 op_sel_hi:[0,1,1]
	ds_load_2addr_b32 v[18:19], v28 offset0:4 offset1:5
	v_pk_add_f16 v33, v63, v26
	v_pk_fma_f16 v66, 0x2c00, v20, v12 op_sel_hi:[0,1,1]
	v_lshrrev_b32_e32 v20, 8, v21
	v_and_or_b32 v21, v20, s5, 0x64006400
	v_and_or_b32 v20, v20, s12, 0x64006400
	s_delay_alu instid0(VALU_DEP_2) | instskip(NEXT) | instid1(VALU_DEP_2)
	v_pk_add_f16 v27, v65, v21
	v_pk_fma_f16 v26, 0x2c00, v20, v11 op_sel_hi:[0,1,1]
	s_wait_dscnt 0x0
	v_pk_fma_f16 v20, v25, v18, 0
	s_delay_alu instid0(VALU_DEP_1) | instskip(SKIP_3) | instid1(VALU_DEP_1)
	v_pk_fma_f16 v73, v24, v19, v20
	ds_load_2addr_b32 v[20:21], v28 offset0:6 offset1:7
	s_wait_dscnt 0x0
	v_pk_fma_f16 v73, v71, v20, v73
	v_pk_fma_f16 v73, v72, v21, v73
	s_delay_alu instid0(VALU_DEP_1) | instskip(SKIP_1) | instid1(VALU_DEP_1)
	v_cvt_f32_f16_e32 v74, v73
	v_lshrrev_b32_e32 v73, 16, v73
	v_cvt_f32_f16_e32 v73, v73
	s_delay_alu instid0(VALU_DEP_1) | instskip(NEXT) | instid1(VALU_DEP_1)
	v_add_f32_e32 v73, v73, v74
	v_fmac_f32_e32 v58, v73, v4
	v_pk_fma_f16 v73, v67, v18, 0
	s_delay_alu instid0(VALU_DEP_1) | instskip(NEXT) | instid1(VALU_DEP_1)
	v_pk_fma_f16 v73, v68, v19, v73
	v_pk_fma_f16 v73, v69, v20, v73
	s_delay_alu instid0(VALU_DEP_1) | instskip(NEXT) | instid1(VALU_DEP_1)
	v_pk_fma_f16 v73, v70, v21, v73
	v_cvt_f32_f16_e32 v74, v73
	v_lshrrev_b32_e32 v73, 16, v73
	s_delay_alu instid0(VALU_DEP_1) | instskip(NEXT) | instid1(VALU_DEP_1)
	v_cvt_f32_f16_e32 v73, v73
	v_add_f32_e32 v73, v73, v74
	s_delay_alu instid0(VALU_DEP_1) | instskip(SKIP_2) | instid1(VALU_DEP_2)
	v_fmac_f32_e32 v59, v73, v3
	v_pk_fma_f16 v73, v31, v18, 0
	v_pk_fma_f16 v18, v29, v18, 0
	;; [unrolled: 1-line block ×3, first 2 shown]
	s_delay_alu instid0(VALU_DEP_2) | instskip(NEXT) | instid1(VALU_DEP_2)
	v_pk_fma_f16 v18, v30, v19, v18
	v_pk_fma_f16 v73, v33, v20, v73
	s_delay_alu instid0(VALU_DEP_2) | instskip(NEXT) | instid1(VALU_DEP_2)
	v_pk_fma_f16 v18, v27, v20, v18
	v_pk_fma_f16 v73, v66, v21, v73
	s_delay_alu instid0(VALU_DEP_2) | instskip(NEXT) | instid1(VALU_DEP_2)
	v_pk_fma_f16 v18, v26, v21, v18
	v_cvt_f32_f16_e32 v74, v73
	s_delay_alu instid0(VALU_DEP_2) | instskip(SKIP_1) | instid1(VALU_DEP_1)
	v_cvt_f32_f16_e32 v19, v18
	v_dual_lshrrev_b32 v18, 16, v18 :: v_dual_lshrrev_b32 v73, 16, v73
	v_cvt_f32_f16_e32 v18, v18
	s_delay_alu instid0(VALU_DEP_2) | instskip(NEXT) | instid1(VALU_DEP_1)
	v_cvt_f32_f16_e32 v73, v73
	v_dual_add_f32 v18, v18, v19 :: v_dual_add_f32 v73, v73, v74
	s_delay_alu instid0(VALU_DEP_1) | instskip(SKIP_4) | instid1(VALU_DEP_1)
	v_fmac_f32_e32 v57, v18, v7
	ds_load_2addr_b32 v[18:19], v28 offset0:68 offset1:69
	v_fmac_f32_e32 v56, v73, v6
	s_wait_dscnt 0x0
	v_pk_fma_f16 v20, v25, v18, 0
	v_pk_fma_f16 v73, v24, v19, v20
	ds_load_2addr_b32 v[20:21], v28 offset0:70 offset1:71
	s_wait_dscnt 0x0
	v_pk_fma_f16 v73, v71, v20, v73
	s_delay_alu instid0(VALU_DEP_1) | instskip(NEXT) | instid1(VALU_DEP_1)
	v_pk_fma_f16 v73, v72, v21, v73
	v_cvt_f32_f16_e32 v74, v73
	v_lshrrev_b32_e32 v73, 16, v73
	s_delay_alu instid0(VALU_DEP_1) | instskip(NEXT) | instid1(VALU_DEP_1)
	v_cvt_f32_f16_e32 v73, v73
	v_add_f32_e32 v73, v73, v74
	s_delay_alu instid0(VALU_DEP_1) | instskip(SKIP_1) | instid1(VALU_DEP_1)
	v_fmac_f32_e32 v53, v73, v4
	v_pk_fma_f16 v73, v67, v18, 0
	v_pk_fma_f16 v73, v68, v19, v73
	s_delay_alu instid0(VALU_DEP_1) | instskip(NEXT) | instid1(VALU_DEP_1)
	v_pk_fma_f16 v73, v69, v20, v73
	v_pk_fma_f16 v73, v70, v21, v73
	s_delay_alu instid0(VALU_DEP_1) | instskip(SKIP_1) | instid1(VALU_DEP_1)
	v_cvt_f32_f16_e32 v74, v73
	v_lshrrev_b32_e32 v73, 16, v73
	v_cvt_f32_f16_e32 v73, v73
	s_delay_alu instid0(VALU_DEP_1) | instskip(NEXT) | instid1(VALU_DEP_1)
	v_add_f32_e32 v73, v73, v74
	v_fmac_f32_e32 v54, v73, v3
	v_pk_fma_f16 v73, v31, v18, 0
	v_pk_fma_f16 v18, v29, v18, 0
	s_delay_alu instid0(VALU_DEP_2) | instskip(NEXT) | instid1(VALU_DEP_2)
	v_pk_fma_f16 v73, v32, v19, v73
	v_pk_fma_f16 v18, v30, v19, v18
	s_delay_alu instid0(VALU_DEP_2) | instskip(NEXT) | instid1(VALU_DEP_2)
	;; [unrolled: 3-line block ×4, first 2 shown]
	v_cvt_f32_f16_e32 v74, v73
	v_cvt_f32_f16_e32 v19, v18
	v_dual_lshrrev_b32 v18, 16, v18 :: v_dual_lshrrev_b32 v73, 16, v73
	s_delay_alu instid0(VALU_DEP_1) | instskip(NEXT) | instid1(VALU_DEP_2)
	v_cvt_f32_f16_e32 v18, v18
	v_cvt_f32_f16_e32 v73, v73
	s_delay_alu instid0(VALU_DEP_1) | instskip(NEXT) | instid1(VALU_DEP_1)
	v_dual_add_f32 v18, v18, v19 :: v_dual_add_f32 v73, v73, v74
	v_fmac_f32_e32 v52, v18, v7
	ds_load_2addr_b32 v[18:19], v28 offset0:132 offset1:133
	v_fmac_f32_e32 v51, v73, v6
	s_wait_dscnt 0x0
	v_pk_fma_f16 v20, v25, v18, 0
	s_delay_alu instid0(VALU_DEP_1) | instskip(SKIP_3) | instid1(VALU_DEP_1)
	v_pk_fma_f16 v73, v24, v19, v20
	ds_load_2addr_b32 v[20:21], v28 offset0:134 offset1:135
	s_wait_dscnt 0x0
	v_pk_fma_f16 v73, v71, v20, v73
	v_pk_fma_f16 v73, v72, v21, v73
	s_delay_alu instid0(VALU_DEP_1) | instskip(SKIP_1) | instid1(VALU_DEP_1)
	v_cvt_f32_f16_e32 v74, v73
	v_lshrrev_b32_e32 v73, 16, v73
	v_cvt_f32_f16_e32 v73, v73
	s_delay_alu instid0(VALU_DEP_1) | instskip(NEXT) | instid1(VALU_DEP_1)
	v_add_f32_e32 v73, v73, v74
	v_fmac_f32_e32 v49, v73, v4
	v_pk_fma_f16 v73, v67, v18, 0
	s_delay_alu instid0(VALU_DEP_1) | instskip(NEXT) | instid1(VALU_DEP_1)
	v_pk_fma_f16 v73, v68, v19, v73
	v_pk_fma_f16 v73, v69, v20, v73
	s_delay_alu instid0(VALU_DEP_1) | instskip(NEXT) | instid1(VALU_DEP_1)
	v_pk_fma_f16 v73, v70, v21, v73
	v_cvt_f32_f16_e32 v74, v73
	v_lshrrev_b32_e32 v73, 16, v73
	s_delay_alu instid0(VALU_DEP_1) | instskip(NEXT) | instid1(VALU_DEP_1)
	v_cvt_f32_f16_e32 v73, v73
	v_add_f32_e32 v73, v73, v74
	s_delay_alu instid0(VALU_DEP_1) | instskip(SKIP_2) | instid1(VALU_DEP_2)
	v_fmac_f32_e32 v50, v73, v3
	v_pk_fma_f16 v73, v31, v18, 0
	v_pk_fma_f16 v18, v29, v18, 0
	;; [unrolled: 1-line block ×3, first 2 shown]
	s_delay_alu instid0(VALU_DEP_2) | instskip(NEXT) | instid1(VALU_DEP_2)
	v_pk_fma_f16 v18, v30, v19, v18
	v_pk_fma_f16 v73, v33, v20, v73
	s_delay_alu instid0(VALU_DEP_2) | instskip(NEXT) | instid1(VALU_DEP_2)
	v_pk_fma_f16 v18, v27, v20, v18
	v_pk_fma_f16 v73, v66, v21, v73
	s_delay_alu instid0(VALU_DEP_2) | instskip(NEXT) | instid1(VALU_DEP_2)
	v_pk_fma_f16 v18, v26, v21, v18
	v_cvt_f32_f16_e32 v74, v73
	s_delay_alu instid0(VALU_DEP_2) | instskip(SKIP_1) | instid1(VALU_DEP_1)
	v_cvt_f32_f16_e32 v19, v18
	v_dual_lshrrev_b32 v18, 16, v18 :: v_dual_lshrrev_b32 v73, 16, v73
	v_cvt_f32_f16_e32 v18, v18
	s_delay_alu instid0(VALU_DEP_2) | instskip(NEXT) | instid1(VALU_DEP_1)
	v_cvt_f32_f16_e32 v73, v73
	v_dual_add_f32 v18, v18, v19 :: v_dual_add_f32 v73, v73, v74
	s_delay_alu instid0(VALU_DEP_1) | instskip(SKIP_4) | instid1(VALU_DEP_1)
	v_fmac_f32_e32 v48, v18, v7
	ds_load_2addr_b32 v[18:19], v28 offset0:196 offset1:197
	v_fmac_f32_e32 v47, v73, v6
	s_wait_dscnt 0x0
	v_pk_fma_f16 v20, v25, v18, 0
	v_pk_fma_f16 v73, v24, v19, v20
	ds_load_2addr_b32 v[20:21], v28 offset0:198 offset1:199
	s_wait_dscnt 0x0
	v_pk_fma_f16 v73, v71, v20, v73
	s_delay_alu instid0(VALU_DEP_1) | instskip(NEXT) | instid1(VALU_DEP_1)
	v_pk_fma_f16 v73, v72, v21, v73
	v_cvt_f32_f16_e32 v74, v73
	v_lshrrev_b32_e32 v73, 16, v73
	s_delay_alu instid0(VALU_DEP_1) | instskip(NEXT) | instid1(VALU_DEP_1)
	v_cvt_f32_f16_e32 v73, v73
	v_add_f32_e32 v73, v73, v74
	s_delay_alu instid0(VALU_DEP_1) | instskip(SKIP_1) | instid1(VALU_DEP_1)
	v_fmac_f32_e32 v45, v73, v4
	v_pk_fma_f16 v73, v67, v18, 0
	v_pk_fma_f16 v73, v68, v19, v73
	s_delay_alu instid0(VALU_DEP_1) | instskip(NEXT) | instid1(VALU_DEP_1)
	v_pk_fma_f16 v73, v69, v20, v73
	v_pk_fma_f16 v73, v70, v21, v73
	s_delay_alu instid0(VALU_DEP_1) | instskip(SKIP_1) | instid1(VALU_DEP_1)
	v_cvt_f32_f16_e32 v74, v73
	v_lshrrev_b32_e32 v73, 16, v73
	v_cvt_f32_f16_e32 v73, v73
	s_delay_alu instid0(VALU_DEP_1) | instskip(NEXT) | instid1(VALU_DEP_1)
	v_add_f32_e32 v73, v73, v74
	v_fmac_f32_e32 v46, v73, v3
	v_pk_fma_f16 v73, v31, v18, 0
	v_pk_fma_f16 v18, v29, v18, 0
	s_delay_alu instid0(VALU_DEP_2) | instskip(NEXT) | instid1(VALU_DEP_2)
	v_pk_fma_f16 v73, v32, v19, v73
	v_pk_fma_f16 v18, v30, v19, v18
	s_delay_alu instid0(VALU_DEP_2) | instskip(NEXT) | instid1(VALU_DEP_2)
	;; [unrolled: 3-line block ×4, first 2 shown]
	v_cvt_f32_f16_e32 v74, v73
	v_cvt_f32_f16_e32 v19, v18
	v_dual_lshrrev_b32 v18, 16, v18 :: v_dual_lshrrev_b32 v73, 16, v73
	s_delay_alu instid0(VALU_DEP_1) | instskip(NEXT) | instid1(VALU_DEP_2)
	v_cvt_f32_f16_e32 v18, v18
	v_cvt_f32_f16_e32 v73, v73
	s_delay_alu instid0(VALU_DEP_1) | instskip(NEXT) | instid1(VALU_DEP_1)
	v_dual_add_f32 v18, v18, v19 :: v_dual_add_f32 v73, v73, v74
	v_dual_fmac_f32 v44, v18, v7 :: v_dual_mov_b32 v18, s13
	s_add_co_i32 s13, s19, 0x418
	s_delay_alu instid0(VALU_DEP_2) | instskip(SKIP_3) | instid1(VALU_DEP_1)
	v_fmac_f32_e32 v43, v73, v6
	ds_load_2addr_b32 v[18:19], v18 offset1:1
	s_wait_dscnt 0x0
	v_pk_fma_f16 v20, v25, v18, 0
	v_pk_fma_f16 v73, v24, v19, v20
	v_mov_b32_e32 v20, s13
	s_add_co_i32 s13, s19, 0x510
	ds_load_2addr_b32 v[20:21], v20 offset1:1
	s_wait_dscnt 0x0
	v_pk_fma_f16 v73, v71, v20, v73
	s_delay_alu instid0(VALU_DEP_1) | instskip(NEXT) | instid1(VALU_DEP_1)
	v_pk_fma_f16 v73, v72, v21, v73
	v_cvt_f32_f16_e32 v74, v73
	v_lshrrev_b32_e32 v73, 16, v73
	s_delay_alu instid0(VALU_DEP_1) | instskip(NEXT) | instid1(VALU_DEP_1)
	v_cvt_f32_f16_e32 v73, v73
	v_add_f32_e32 v73, v73, v74
	s_delay_alu instid0(VALU_DEP_1) | instskip(SKIP_1) | instid1(VALU_DEP_1)
	v_fmac_f32_e32 v41, v73, v4
	v_pk_fma_f16 v73, v67, v18, 0
	v_pk_fma_f16 v73, v68, v19, v73
	s_delay_alu instid0(VALU_DEP_1) | instskip(NEXT) | instid1(VALU_DEP_1)
	v_pk_fma_f16 v73, v69, v20, v73
	v_pk_fma_f16 v73, v70, v21, v73
	s_delay_alu instid0(VALU_DEP_1) | instskip(SKIP_1) | instid1(VALU_DEP_1)
	v_cvt_f32_f16_e32 v74, v73
	v_lshrrev_b32_e32 v73, 16, v73
	v_cvt_f32_f16_e32 v73, v73
	s_delay_alu instid0(VALU_DEP_1) | instskip(NEXT) | instid1(VALU_DEP_1)
	v_add_f32_e32 v73, v73, v74
	v_fmac_f32_e32 v42, v73, v3
	v_pk_fma_f16 v73, v31, v18, 0
	v_pk_fma_f16 v18, v29, v18, 0
	s_delay_alu instid0(VALU_DEP_2) | instskip(NEXT) | instid1(VALU_DEP_2)
	v_pk_fma_f16 v73, v32, v19, v73
	v_pk_fma_f16 v18, v30, v19, v18
	s_delay_alu instid0(VALU_DEP_2) | instskip(NEXT) | instid1(VALU_DEP_2)
	;; [unrolled: 3-line block ×4, first 2 shown]
	v_cvt_f32_f16_e32 v74, v73
	v_cvt_f32_f16_e32 v19, v18
	v_dual_lshrrev_b32 v18, 16, v18 :: v_dual_lshrrev_b32 v73, 16, v73
	s_delay_alu instid0(VALU_DEP_1) | instskip(NEXT) | instid1(VALU_DEP_2)
	v_cvt_f32_f16_e32 v18, v18
	v_cvt_f32_f16_e32 v73, v73
	s_delay_alu instid0(VALU_DEP_2) | instskip(NEXT) | instid1(VALU_DEP_1)
	v_add_f32_e32 v18, v18, v19
	v_dual_fmac_f32 v39, v18, v7 :: v_dual_mov_b32 v18, s13
	s_add_co_i32 s13, s19, 0x518
	s_delay_alu instid0(VALU_DEP_3) | instskip(SKIP_4) | instid1(VALU_DEP_1)
	v_add_f32_e32 v73, v73, v74
	ds_load_2addr_b32 v[18:19], v18 offset1:1
	v_fmac_f32_e32 v40, v73, v6
	s_wait_dscnt 0x0
	v_pk_fma_f16 v20, v25, v18, 0
	v_pk_fma_f16 v73, v24, v19, v20
	v_mov_b32_e32 v20, s13
	s_add_co_i32 s13, s19, 0x610
	ds_load_2addr_b32 v[20:21], v20 offset1:1
	s_wait_dscnt 0x0
	v_pk_fma_f16 v73, v71, v20, v73
	s_delay_alu instid0(VALU_DEP_1) | instskip(NEXT) | instid1(VALU_DEP_1)
	v_pk_fma_f16 v73, v72, v21, v73
	v_cvt_f32_f16_e32 v74, v73
	v_lshrrev_b32_e32 v73, 16, v73
	s_delay_alu instid0(VALU_DEP_1) | instskip(NEXT) | instid1(VALU_DEP_1)
	v_cvt_f32_f16_e32 v73, v73
	v_add_f32_e32 v73, v73, v74
	s_delay_alu instid0(VALU_DEP_1) | instskip(SKIP_1) | instid1(VALU_DEP_1)
	v_fmac_f32_e32 v37, v73, v4
	v_pk_fma_f16 v73, v67, v18, 0
	v_pk_fma_f16 v73, v68, v19, v73
	s_delay_alu instid0(VALU_DEP_1) | instskip(NEXT) | instid1(VALU_DEP_1)
	v_pk_fma_f16 v73, v69, v20, v73
	v_pk_fma_f16 v73, v70, v21, v73
	s_delay_alu instid0(VALU_DEP_1) | instskip(SKIP_1) | instid1(VALU_DEP_1)
	v_cvt_f32_f16_e32 v74, v73
	v_lshrrev_b32_e32 v73, 16, v73
	v_cvt_f32_f16_e32 v73, v73
	s_delay_alu instid0(VALU_DEP_1) | instskip(NEXT) | instid1(VALU_DEP_1)
	v_add_f32_e32 v73, v73, v74
	v_fmac_f32_e32 v38, v73, v3
	v_pk_fma_f16 v73, v31, v18, 0
	v_pk_fma_f16 v18, v29, v18, 0
	s_delay_alu instid0(VALU_DEP_2) | instskip(NEXT) | instid1(VALU_DEP_2)
	v_pk_fma_f16 v73, v32, v19, v73
	v_pk_fma_f16 v18, v30, v19, v18
	s_delay_alu instid0(VALU_DEP_2) | instskip(NEXT) | instid1(VALU_DEP_2)
	;; [unrolled: 3-line block ×4, first 2 shown]
	v_cvt_f32_f16_e32 v74, v73
	v_cvt_f32_f16_e32 v19, v18
	v_dual_lshrrev_b32 v18, 16, v18 :: v_dual_lshrrev_b32 v73, 16, v73
	s_delay_alu instid0(VALU_DEP_1) | instskip(NEXT) | instid1(VALU_DEP_2)
	v_cvt_f32_f16_e32 v18, v18
	v_cvt_f32_f16_e32 v73, v73
	s_delay_alu instid0(VALU_DEP_1) | instskip(NEXT) | instid1(VALU_DEP_1)
	v_dual_add_f32 v18, v18, v19 :: v_dual_add_f32 v73, v73, v74
	v_dual_fmac_f32 v35, v18, v7 :: v_dual_mov_b32 v18, s13
	s_add_co_i32 s13, s19, 0x618
	s_delay_alu instid0(VALU_DEP_2) | instid1(SALU_CYCLE_1)
	v_dual_fmac_f32 v34, v73, v6 :: v_dual_mov_b32 v19, s13
	s_add_co_i32 s13, s19, 0x420
	ds_load_2addr_b32 v[74:75], v18 offset1:1
	s_wait_dscnt 0x0
	v_pk_fma_f16 v18, v25, v74, 0
	s_delay_alu instid0(VALU_DEP_1) | instskip(SKIP_3) | instid1(VALU_DEP_1)
	v_pk_fma_f16 v18, v24, v75, v18
	ds_load_2addr_b32 v[24:25], v19 offset1:1
	s_wait_dscnt 0x0
	v_pk_fma_f16 v18, v71, v24, v18
	v_pk_fma_f16 v18, v72, v25, v18
	s_delay_alu instid0(VALU_DEP_1) | instskip(SKIP_1) | instid1(VALU_DEP_1)
	v_cvt_f32_f16_e32 v19, v18
	v_lshrrev_b32_e32 v18, 16, v18
	v_cvt_f32_f16_e32 v18, v18
	s_delay_alu instid0(VALU_DEP_1) | instskip(NEXT) | instid1(VALU_DEP_1)
	v_add_f32_e32 v18, v18, v19
	v_fmac_f32_e32 v13, v18, v4
	v_pk_fma_f16 v18, v67, v74, 0
	s_delay_alu instid0(VALU_DEP_1) | instskip(NEXT) | instid1(VALU_DEP_1)
	v_pk_fma_f16 v18, v68, v75, v18
	v_pk_fma_f16 v18, v69, v24, v18
	s_delay_alu instid0(VALU_DEP_1) | instskip(NEXT) | instid1(VALU_DEP_1)
	v_pk_fma_f16 v18, v70, v25, v18
	v_cvt_f32_f16_e32 v19, v18
	v_lshrrev_b32_e32 v18, 16, v18
	s_delay_alu instid0(VALU_DEP_1) | instskip(NEXT) | instid1(VALU_DEP_1)
	v_cvt_f32_f16_e32 v18, v18
	v_add_f32_e32 v18, v18, v19
	s_delay_alu instid0(VALU_DEP_1) | instskip(SKIP_1) | instid1(VALU_DEP_1)
	v_fmac_f32_e32 v36, v18, v3
	v_pk_fma_f16 v18, v31, v74, 0
	v_pk_fma_f16 v18, v32, v75, v18
	s_delay_alu instid0(VALU_DEP_1) | instskip(NEXT) | instid1(VALU_DEP_1)
	v_pk_fma_f16 v18, v33, v24, v18
	v_pk_fma_f16 v19, v66, v25, v18
	s_delay_alu instid0(VALU_DEP_1) | instskip(SKIP_1) | instid1(VALU_DEP_1)
	v_cvt_f32_f16_e32 v18, v19
	v_lshrrev_b32_e32 v19, 16, v19
	v_cvt_f32_f16_e32 v20, v19
	v_pk_fma_f16 v19, v29, v74, 0
	s_delay_alu instid0(VALU_DEP_1) | instskip(SKIP_2) | instid1(VALU_DEP_1)
	v_pk_fma_f16 v19, v30, v75, v19
	ds_load_2addr_b32 v[74:75], v28 offset0:8 offset1:9
	v_pk_fma_f16 v19, v27, v24, v19
	v_pk_fma_f16 v19, v26, v25, v19
	v_add_nc_u64_e32 v[26:27], s[6:7], v[22:23]
	s_delay_alu instid0(VALU_DEP_2)
	v_lshrrev_b32_e32 v21, 16, v19
	v_cvt_f32_f16_e32 v19, v19
	global_load_b128 v[66:69], v[26:27], off
	s_wait_xcnt 0x0
	v_add_nc_u64_e32 v[26:27], s[6:7], v[26:27]
	v_cvt_f32_f16_e32 v21, v21
	s_delay_alu instid0(VALU_DEP_1) | instskip(NEXT) | instid1(VALU_DEP_1)
	v_pk_add_f32 v[14:15], v[18:19], v[20:21]
	v_pk_fma_f32 v[8:9], v[14:15], v[6:7], v[8:9]
	s_wait_loadcnt 0x0
	v_lshrrev_b32_e32 v24, 8, v66
	v_and_or_b32 v22, v66, s5, 0x64006400
	v_and_or_b32 v23, v66, s12, 0x64006400
	v_lshrrev_b32_e32 v31, 8, v67
	v_and_or_b32 v66, v68, s12, 0x64006400
	v_and_or_b32 v29, v24, s5, 0x64006400
	;; [unrolled: 1-line block ×3, first 2 shown]
	v_pk_add_f16 v25, v62, v22
	v_pk_fma_f16 v24, 0x2c00, v23, v10 op_sel_hi:[0,1,1]
	v_and_or_b32 v32, v31, s5, 0x64006400
	v_pk_add_f16 v22, v62, v29
	v_pk_fma_f16 v23, 0x2c00, v30, v10 op_sel_hi:[0,1,1]
	v_and_or_b32 v29, v67, s5, 0x64006400
	v_and_or_b32 v30, v67, s12, 0x64006400
	;; [unrolled: 1-line block ×3, first 2 shown]
	v_lshrrev_b32_e32 v67, 8, v68
	v_pk_add_f16 v31, v64, v32
	v_and_or_b32 v71, v69, s12, 0x64006400
	v_pk_add_f16 v29, v64, v29
	v_pk_fma_f16 v32, 0x2c00, v33, v5 op_sel_hi:[0,1,1]
	v_and_or_b32 v33, v68, s5, 0x64006400
	v_and_or_b32 v68, v67, s5, 0x64006400
	v_and_or_b32 v70, v67, s12, 0x64006400
	v_pk_fma_f16 v30, 0x2c00, v30, v5 op_sel_hi:[0,1,1]
	v_pk_fma_f16 v66, 0x2c00, v66, v12 op_sel_hi:[0,1,1]
	v_pk_add_f16 v33, v63, v33
	v_pk_add_f16 v67, v63, v68
	v_pk_fma_f16 v68, 0x2c00, v70, v12 op_sel_hi:[0,1,1]
	v_and_or_b32 v70, v69, s5, 0x64006400
	v_lshrrev_b32_e32 v69, 8, v69
	s_delay_alu instid0(VALU_DEP_1) | instskip(SKIP_1) | instid1(VALU_DEP_4)
	v_and_or_b32 v72, v69, s5, 0x64006400
	v_and_or_b32 v73, v69, s12, 0x64006400
	v_pk_add_f16 v69, v65, v70
	v_pk_fma_f16 v70, 0x2c00, v71, v11 op_sel_hi:[0,1,1]
	s_delay_alu instid0(VALU_DEP_4) | instskip(NEXT) | instid1(VALU_DEP_4)
	v_pk_add_f16 v71, v65, v72
	v_pk_fma_f16 v72, 0x2c00, v73, v11 op_sel_hi:[0,1,1]
	s_wait_dscnt 0x0
	v_pk_fma_f16 v73, v25, v74, 0
	s_delay_alu instid0(VALU_DEP_1) | instskip(NEXT) | instid1(VALU_DEP_1)
	v_pk_fma_f16 v73, v24, v75, v73
	v_pk_fma_f16 v73, v22, v76, v73
	s_delay_alu instid0(VALU_DEP_1) | instskip(NEXT) | instid1(VALU_DEP_1)
	v_pk_fma_f16 v73, v23, v77, v73
	v_cvt_f32_f16_e32 v78, v73
	v_lshrrev_b32_e32 v73, 16, v73
	s_delay_alu instid0(VALU_DEP_1) | instskip(NEXT) | instid1(VALU_DEP_1)
	v_cvt_f32_f16_e32 v73, v73
	v_add_f32_e32 v73, v73, v78
	s_delay_alu instid0(VALU_DEP_1) | instskip(SKIP_1) | instid1(VALU_DEP_1)
	v_fmac_f32_e32 v58, v73, v4
	v_pk_fma_f16 v73, v29, v74, 0
	v_pk_fma_f16 v73, v30, v75, v73
	s_delay_alu instid0(VALU_DEP_1) | instskip(NEXT) | instid1(VALU_DEP_1)
	v_pk_fma_f16 v73, v31, v76, v73
	v_pk_fma_f16 v73, v32, v77, v73
	s_delay_alu instid0(VALU_DEP_1) | instskip(SKIP_1) | instid1(VALU_DEP_1)
	v_cvt_f32_f16_e32 v78, v73
	v_lshrrev_b32_e32 v73, 16, v73
	v_cvt_f32_f16_e32 v73, v73
	s_delay_alu instid0(VALU_DEP_1) | instskip(NEXT) | instid1(VALU_DEP_1)
	v_add_f32_e32 v73, v73, v78
	v_fmac_f32_e32 v59, v73, v3
	v_pk_fma_f16 v73, v33, v74, 0
	s_delay_alu instid0(VALU_DEP_1) | instskip(NEXT) | instid1(VALU_DEP_1)
	v_pk_fma_f16 v73, v66, v75, v73
	v_pk_fma_f16 v73, v67, v76, v73
	s_delay_alu instid0(VALU_DEP_1) | instskip(NEXT) | instid1(VALU_DEP_1)
	v_pk_fma_f16 v73, v68, v77, v73
	v_cvt_f32_f16_e32 v78, v73
	v_lshrrev_b32_e32 v73, 16, v73
	s_delay_alu instid0(VALU_DEP_1) | instskip(NEXT) | instid1(VALU_DEP_1)
	v_cvt_f32_f16_e32 v73, v73
	v_add_f32_e32 v73, v73, v78
	s_delay_alu instid0(VALU_DEP_1) | instskip(SKIP_1) | instid1(VALU_DEP_1)
	v_fmac_f32_e32 v56, v73, v6
	v_pk_fma_f16 v73, v69, v74, 0
	v_pk_fma_f16 v73, v70, v75, v73
	s_delay_alu instid0(VALU_DEP_1) | instskip(NEXT) | instid1(VALU_DEP_1)
	v_pk_fma_f16 v73, v71, v76, v73
	v_pk_fma_f16 v73, v72, v77, v73
	ds_load_2addr_b32 v[76:77], v28 offset0:74 offset1:75
	v_cvt_f32_f16_e32 v74, v73
	v_lshrrev_b32_e32 v73, 16, v73
	s_delay_alu instid0(VALU_DEP_1) | instskip(NEXT) | instid1(VALU_DEP_1)
	v_cvt_f32_f16_e32 v73, v73
	v_add_f32_e32 v73, v73, v74
	ds_load_2addr_b32 v[74:75], v28 offset0:72 offset1:73
	v_fmac_f32_e32 v57, v73, v7
	s_wait_dscnt 0x0
	v_pk_fma_f16 v73, v25, v74, 0
	s_delay_alu instid0(VALU_DEP_1) | instskip(NEXT) | instid1(VALU_DEP_1)
	v_pk_fma_f16 v73, v24, v75, v73
	v_pk_fma_f16 v73, v22, v76, v73
	s_delay_alu instid0(VALU_DEP_1) | instskip(NEXT) | instid1(VALU_DEP_1)
	v_pk_fma_f16 v73, v23, v77, v73
	v_cvt_f32_f16_e32 v78, v73
	v_lshrrev_b32_e32 v73, 16, v73
	s_delay_alu instid0(VALU_DEP_1) | instskip(NEXT) | instid1(VALU_DEP_1)
	v_cvt_f32_f16_e32 v73, v73
	v_add_f32_e32 v73, v73, v78
	s_delay_alu instid0(VALU_DEP_1) | instskip(SKIP_1) | instid1(VALU_DEP_1)
	v_fmac_f32_e32 v53, v73, v4
	v_pk_fma_f16 v73, v29, v74, 0
	v_pk_fma_f16 v73, v30, v75, v73
	s_delay_alu instid0(VALU_DEP_1) | instskip(NEXT) | instid1(VALU_DEP_1)
	v_pk_fma_f16 v73, v31, v76, v73
	v_pk_fma_f16 v73, v32, v77, v73
	s_delay_alu instid0(VALU_DEP_1) | instskip(SKIP_1) | instid1(VALU_DEP_1)
	v_cvt_f32_f16_e32 v78, v73
	v_lshrrev_b32_e32 v73, 16, v73
	v_cvt_f32_f16_e32 v73, v73
	s_delay_alu instid0(VALU_DEP_1) | instskip(NEXT) | instid1(VALU_DEP_1)
	v_add_f32_e32 v73, v73, v78
	v_fmac_f32_e32 v54, v73, v3
	v_pk_fma_f16 v73, v33, v74, 0
	s_delay_alu instid0(VALU_DEP_1) | instskip(NEXT) | instid1(VALU_DEP_1)
	v_pk_fma_f16 v73, v66, v75, v73
	v_pk_fma_f16 v73, v67, v76, v73
	s_delay_alu instid0(VALU_DEP_1) | instskip(NEXT) | instid1(VALU_DEP_1)
	v_pk_fma_f16 v73, v68, v77, v73
	v_cvt_f32_f16_e32 v78, v73
	v_lshrrev_b32_e32 v73, 16, v73
	s_delay_alu instid0(VALU_DEP_1) | instskip(NEXT) | instid1(VALU_DEP_1)
	v_cvt_f32_f16_e32 v73, v73
	v_add_f32_e32 v73, v73, v78
	s_delay_alu instid0(VALU_DEP_1) | instskip(SKIP_1) | instid1(VALU_DEP_1)
	v_fmac_f32_e32 v51, v73, v6
	v_pk_fma_f16 v73, v69, v74, 0
	v_pk_fma_f16 v73, v70, v75, v73
	s_delay_alu instid0(VALU_DEP_1) | instskip(NEXT) | instid1(VALU_DEP_1)
	v_pk_fma_f16 v73, v71, v76, v73
	v_pk_fma_f16 v73, v72, v77, v73
	ds_load_2addr_b32 v[76:77], v28 offset0:138 offset1:139
	v_cvt_f32_f16_e32 v74, v73
	v_lshrrev_b32_e32 v73, 16, v73
	s_delay_alu instid0(VALU_DEP_1) | instskip(NEXT) | instid1(VALU_DEP_1)
	v_cvt_f32_f16_e32 v73, v73
	v_add_f32_e32 v73, v73, v74
	ds_load_2addr_b32 v[74:75], v28 offset0:136 offset1:137
	v_fmac_f32_e32 v52, v73, v7
	;; [unrolled: 52-line block ×3, first 2 shown]
	s_wait_dscnt 0x0
	v_pk_fma_f16 v73, v25, v74, 0
	s_delay_alu instid0(VALU_DEP_1) | instskip(NEXT) | instid1(VALU_DEP_1)
	v_pk_fma_f16 v73, v24, v75, v73
	v_pk_fma_f16 v73, v22, v76, v73
	s_delay_alu instid0(VALU_DEP_1) | instskip(NEXT) | instid1(VALU_DEP_1)
	v_pk_fma_f16 v73, v23, v77, v73
	v_cvt_f32_f16_e32 v78, v73
	v_lshrrev_b32_e32 v73, 16, v73
	s_delay_alu instid0(VALU_DEP_1) | instskip(NEXT) | instid1(VALU_DEP_1)
	v_cvt_f32_f16_e32 v73, v73
	v_add_f32_e32 v73, v73, v78
	s_delay_alu instid0(VALU_DEP_1) | instskip(SKIP_1) | instid1(VALU_DEP_1)
	v_fmac_f32_e32 v45, v73, v4
	v_pk_fma_f16 v73, v29, v74, 0
	v_pk_fma_f16 v73, v30, v75, v73
	s_delay_alu instid0(VALU_DEP_1) | instskip(NEXT) | instid1(VALU_DEP_1)
	v_pk_fma_f16 v73, v31, v76, v73
	v_pk_fma_f16 v73, v32, v77, v73
	s_delay_alu instid0(VALU_DEP_1) | instskip(SKIP_1) | instid1(VALU_DEP_1)
	v_cvt_f32_f16_e32 v78, v73
	v_lshrrev_b32_e32 v73, 16, v73
	v_cvt_f32_f16_e32 v73, v73
	s_delay_alu instid0(VALU_DEP_1) | instskip(NEXT) | instid1(VALU_DEP_1)
	v_add_f32_e32 v73, v73, v78
	v_fmac_f32_e32 v46, v73, v3
	v_pk_fma_f16 v73, v33, v74, 0
	s_delay_alu instid0(VALU_DEP_1) | instskip(NEXT) | instid1(VALU_DEP_1)
	v_pk_fma_f16 v73, v66, v75, v73
	v_pk_fma_f16 v73, v67, v76, v73
	s_delay_alu instid0(VALU_DEP_1) | instskip(NEXT) | instid1(VALU_DEP_1)
	v_pk_fma_f16 v73, v68, v77, v73
	v_cvt_f32_f16_e32 v78, v73
	v_lshrrev_b32_e32 v73, 16, v73
	s_delay_alu instid0(VALU_DEP_1) | instskip(NEXT) | instid1(VALU_DEP_1)
	v_cvt_f32_f16_e32 v73, v73
	v_add_f32_e32 v73, v73, v78
	s_delay_alu instid0(VALU_DEP_1) | instskip(SKIP_1) | instid1(VALU_DEP_1)
	v_fmac_f32_e32 v43, v73, v6
	v_pk_fma_f16 v73, v69, v74, 0
	v_pk_fma_f16 v73, v70, v75, v73
	s_delay_alu instid0(VALU_DEP_1) | instskip(NEXT) | instid1(VALU_DEP_1)
	v_pk_fma_f16 v73, v71, v76, v73
	v_pk_fma_f16 v73, v72, v77, v73
	s_delay_alu instid0(VALU_DEP_1) | instskip(SKIP_1) | instid1(VALU_DEP_1)
	v_cvt_f32_f16_e32 v74, v73
	v_lshrrev_b32_e32 v73, 16, v73
	v_cvt_f32_f16_e32 v73, v73
	s_delay_alu instid0(VALU_DEP_1) | instskip(NEXT) | instid1(VALU_DEP_1)
	v_add_f32_e32 v73, v73, v74
	v_dual_fmac_f32 v44, v73, v7 :: v_dual_mov_b32 v73, s13
	s_add_co_i32 s13, s19, 0x428
	s_delay_alu instid0(SALU_CYCLE_1)
	v_mov_b32_e32 v76, s13
	s_add_co_i32 s13, s19, 0x520
	ds_load_2addr_b32 v[74:75], v73 offset1:1
	ds_load_2addr_b32 v[76:77], v76 offset1:1
	s_wait_dscnt 0x1
	v_pk_fma_f16 v73, v25, v74, 0
	s_delay_alu instid0(VALU_DEP_1) | instskip(SKIP_1) | instid1(VALU_DEP_1)
	v_pk_fma_f16 v73, v24, v75, v73
	s_wait_dscnt 0x0
	v_pk_fma_f16 v73, v22, v76, v73
	s_delay_alu instid0(VALU_DEP_1) | instskip(NEXT) | instid1(VALU_DEP_1)
	v_pk_fma_f16 v73, v23, v77, v73
	v_cvt_f32_f16_e32 v78, v73
	v_lshrrev_b32_e32 v73, 16, v73
	s_delay_alu instid0(VALU_DEP_1) | instskip(NEXT) | instid1(VALU_DEP_1)
	v_cvt_f32_f16_e32 v73, v73
	v_add_f32_e32 v73, v73, v78
	s_delay_alu instid0(VALU_DEP_1) | instskip(SKIP_1) | instid1(VALU_DEP_1)
	v_fmac_f32_e32 v41, v73, v4
	v_pk_fma_f16 v73, v29, v74, 0
	v_pk_fma_f16 v73, v30, v75, v73
	s_delay_alu instid0(VALU_DEP_1) | instskip(NEXT) | instid1(VALU_DEP_1)
	v_pk_fma_f16 v73, v31, v76, v73
	v_pk_fma_f16 v73, v32, v77, v73
	s_delay_alu instid0(VALU_DEP_1) | instskip(SKIP_1) | instid1(VALU_DEP_1)
	v_cvt_f32_f16_e32 v78, v73
	v_lshrrev_b32_e32 v73, 16, v73
	v_cvt_f32_f16_e32 v73, v73
	s_delay_alu instid0(VALU_DEP_1) | instskip(NEXT) | instid1(VALU_DEP_1)
	v_add_f32_e32 v73, v73, v78
	v_fmac_f32_e32 v42, v73, v3
	v_pk_fma_f16 v73, v33, v74, 0
	s_delay_alu instid0(VALU_DEP_1) | instskip(NEXT) | instid1(VALU_DEP_1)
	v_pk_fma_f16 v73, v66, v75, v73
	v_pk_fma_f16 v73, v67, v76, v73
	s_delay_alu instid0(VALU_DEP_1) | instskip(NEXT) | instid1(VALU_DEP_1)
	v_pk_fma_f16 v73, v68, v77, v73
	v_cvt_f32_f16_e32 v78, v73
	v_lshrrev_b32_e32 v73, 16, v73
	s_delay_alu instid0(VALU_DEP_1) | instskip(NEXT) | instid1(VALU_DEP_1)
	v_cvt_f32_f16_e32 v73, v73
	v_add_f32_e32 v73, v73, v78
	s_delay_alu instid0(VALU_DEP_1) | instskip(SKIP_1) | instid1(VALU_DEP_1)
	v_fmac_f32_e32 v40, v73, v6
	v_pk_fma_f16 v73, v69, v74, 0
	v_pk_fma_f16 v73, v70, v75, v73
	s_delay_alu instid0(VALU_DEP_1) | instskip(NEXT) | instid1(VALU_DEP_1)
	v_pk_fma_f16 v73, v71, v76, v73
	v_pk_fma_f16 v73, v72, v77, v73
	s_delay_alu instid0(VALU_DEP_1) | instskip(SKIP_1) | instid1(VALU_DEP_1)
	v_cvt_f32_f16_e32 v74, v73
	v_lshrrev_b32_e32 v73, 16, v73
	v_cvt_f32_f16_e32 v73, v73
	s_delay_alu instid0(VALU_DEP_1) | instskip(NEXT) | instid1(VALU_DEP_1)
	v_add_f32_e32 v73, v73, v74
	v_dual_fmac_f32 v39, v73, v7 :: v_dual_mov_b32 v73, s13
	s_add_co_i32 s13, s19, 0x528
	s_delay_alu instid0(SALU_CYCLE_1)
	v_mov_b32_e32 v76, s13
	s_add_co_i32 s13, s19, 0x620
	ds_load_2addr_b32 v[74:75], v73 offset1:1
	ds_load_2addr_b32 v[76:77], v76 offset1:1
	s_wait_dscnt 0x1
	v_pk_fma_f16 v73, v25, v74, 0
	s_delay_alu instid0(VALU_DEP_1) | instskip(SKIP_1) | instid1(VALU_DEP_1)
	v_pk_fma_f16 v73, v24, v75, v73
	s_wait_dscnt 0x0
	v_pk_fma_f16 v73, v22, v76, v73
	s_delay_alu instid0(VALU_DEP_1) | instskip(NEXT) | instid1(VALU_DEP_1)
	v_pk_fma_f16 v73, v23, v77, v73
	v_cvt_f32_f16_e32 v78, v73
	v_lshrrev_b32_e32 v73, 16, v73
	s_delay_alu instid0(VALU_DEP_1) | instskip(NEXT) | instid1(VALU_DEP_1)
	v_cvt_f32_f16_e32 v73, v73
	v_add_f32_e32 v73, v73, v78
	s_delay_alu instid0(VALU_DEP_1) | instskip(SKIP_1) | instid1(VALU_DEP_1)
	v_fmac_f32_e32 v37, v73, v4
	v_pk_fma_f16 v73, v29, v74, 0
	v_pk_fma_f16 v73, v30, v75, v73
	s_delay_alu instid0(VALU_DEP_1) | instskip(NEXT) | instid1(VALU_DEP_1)
	v_pk_fma_f16 v73, v31, v76, v73
	v_pk_fma_f16 v73, v32, v77, v73
	s_delay_alu instid0(VALU_DEP_1) | instskip(SKIP_1) | instid1(VALU_DEP_1)
	v_cvt_f32_f16_e32 v78, v73
	v_lshrrev_b32_e32 v73, 16, v73
	v_cvt_f32_f16_e32 v73, v73
	s_delay_alu instid0(VALU_DEP_1) | instskip(NEXT) | instid1(VALU_DEP_1)
	v_add_f32_e32 v73, v73, v78
	v_fmac_f32_e32 v38, v73, v3
	v_pk_fma_f16 v73, v33, v74, 0
	s_delay_alu instid0(VALU_DEP_1) | instskip(NEXT) | instid1(VALU_DEP_1)
	v_pk_fma_f16 v73, v66, v75, v73
	v_pk_fma_f16 v73, v67, v76, v73
	s_delay_alu instid0(VALU_DEP_1) | instskip(NEXT) | instid1(VALU_DEP_1)
	v_pk_fma_f16 v73, v68, v77, v73
	v_cvt_f32_f16_e32 v78, v73
	v_lshrrev_b32_e32 v73, 16, v73
	s_delay_alu instid0(VALU_DEP_1) | instskip(NEXT) | instid1(VALU_DEP_1)
	v_cvt_f32_f16_e32 v73, v73
	v_add_f32_e32 v73, v73, v78
	s_delay_alu instid0(VALU_DEP_1) | instskip(SKIP_1) | instid1(VALU_DEP_1)
	v_fmac_f32_e32 v34, v73, v6
	v_pk_fma_f16 v73, v69, v74, 0
	v_pk_fma_f16 v73, v70, v75, v73
	s_delay_alu instid0(VALU_DEP_1) | instskip(NEXT) | instid1(VALU_DEP_1)
	v_pk_fma_f16 v73, v71, v76, v73
	v_pk_fma_f16 v73, v72, v77, v73
	s_delay_alu instid0(VALU_DEP_1) | instskip(SKIP_1) | instid1(VALU_DEP_1)
	v_cvt_f32_f16_e32 v74, v73
	v_lshrrev_b32_e32 v73, 16, v73
	v_cvt_f32_f16_e32 v73, v73
	s_delay_alu instid0(VALU_DEP_1) | instskip(NEXT) | instid1(VALU_DEP_1)
	v_add_f32_e32 v73, v73, v74
	v_dual_fmac_f32 v35, v73, v7 :: v_dual_mov_b32 v73, s13
	s_add_co_i32 s13, s19, 0x628
	ds_load_2addr_b32 v[74:75], v73 offset1:1
	s_wait_dscnt 0x0
	v_pk_fma_f16 v25, v25, v74, 0
	s_delay_alu instid0(VALU_DEP_1)
	v_pk_fma_f16 v24, v24, v75, v25
	v_mov_b32_e32 v25, s13
	s_add_co_i32 s13, s19, 0x430
	ds_load_2addr_b32 v[76:77], v25 offset1:1
	s_wait_dscnt 0x0
	v_pk_fma_f16 v22, v22, v76, v24
	s_delay_alu instid0(VALU_DEP_1) | instskip(NEXT) | instid1(VALU_DEP_1)
	v_pk_fma_f16 v22, v23, v77, v22
	v_cvt_f32_f16_e32 v23, v22
	v_lshrrev_b32_e32 v22, 16, v22
	s_delay_alu instid0(VALU_DEP_1) | instskip(NEXT) | instid1(VALU_DEP_1)
	v_cvt_f32_f16_e32 v22, v22
	v_add_f32_e32 v22, v22, v23
	s_delay_alu instid0(VALU_DEP_1) | instskip(SKIP_1) | instid1(VALU_DEP_1)
	v_fmac_f32_e32 v13, v22, v4
	v_pk_fma_f16 v22, v29, v74, 0
	v_pk_fma_f16 v22, v30, v75, v22
	s_delay_alu instid0(VALU_DEP_1) | instskip(NEXT) | instid1(VALU_DEP_1)
	v_pk_fma_f16 v22, v31, v76, v22
	v_pk_fma_f16 v22, v32, v77, v22
	s_delay_alu instid0(VALU_DEP_1) | instskip(SKIP_1) | instid1(VALU_DEP_1)
	v_cvt_f32_f16_e32 v23, v22
	v_lshrrev_b32_e32 v22, 16, v22
	v_cvt_f32_f16_e32 v22, v22
	s_delay_alu instid0(VALU_DEP_1) | instskip(NEXT) | instid1(VALU_DEP_1)
	v_add_f32_e32 v22, v22, v23
	v_fmac_f32_e32 v36, v22, v3
	v_pk_fma_f16 v22, v33, v74, 0
	s_delay_alu instid0(VALU_DEP_1) | instskip(NEXT) | instid1(VALU_DEP_1)
	v_pk_fma_f16 v22, v66, v75, v22
	v_pk_fma_f16 v22, v67, v76, v22
	s_delay_alu instid0(VALU_DEP_1) | instskip(NEXT) | instid1(VALU_DEP_1)
	v_pk_fma_f16 v23, v68, v77, v22
	v_cvt_f32_f16_e32 v22, v23
	v_lshrrev_b32_e32 v23, 16, v23
	s_delay_alu instid0(VALU_DEP_1) | instskip(SKIP_3) | instid1(VALU_DEP_1)
	v_cvt_f32_f16_e32 v24, v23
	v_pk_fma_f16 v23, v69, v74, 0
	global_load_b128 v[66:69], v[26:27], off
	v_pk_fma_f16 v23, v70, v75, v23
	v_pk_fma_f16 v23, v71, v76, v23
	s_delay_alu instid0(VALU_DEP_1) | instskip(NEXT) | instid1(VALU_DEP_1)
	v_pk_fma_f16 v23, v72, v77, v23
	v_lshrrev_b32_e32 v25, 16, v23
	v_cvt_f32_f16_e32 v23, v23
	s_delay_alu instid0(VALU_DEP_2) | instskip(NEXT) | instid1(VALU_DEP_1)
	v_cvt_f32_f16_e32 v25, v25
	v_pk_add_f32 v[14:15], v[22:23], v[24:25]
	s_delay_alu instid0(VALU_DEP_1) | instskip(SKIP_4) | instid1(VALU_DEP_3)
	v_pk_fma_f32 v[8:9], v[14:15], v[6:7], v[8:9]
	s_wait_loadcnt 0x0
	v_lshrrev_b32_e32 v29, 8, v66
	v_and_or_b32 v26, v66, s5, 0x64006400
	v_and_or_b32 v27, v66, s12, 0x64006400
	;; [unrolled: 1-line block ×4, first 2 shown]
	s_delay_alu instid0(VALU_DEP_4) | instskip(NEXT) | instid1(VALU_DEP_4)
	v_pk_add_f16 v31, v62, v26
	v_pk_fma_f16 v30, 0x2c00, v27, v10 op_sel_hi:[0,1,1]
	v_and_or_b32 v26, v67, s5, 0x64006400
	v_pk_add_f16 v78, v62, v32
	v_pk_fma_f16 v79, 0x2c00, v29, v10 op_sel_hi:[0,1,1]
	v_lshrrev_b32_e32 v29, 8, v67
	v_and_or_b32 v27, v67, s12, 0x64006400
	v_pk_add_f16 v74, v64, v26
	v_and_or_b32 v26, v68, s5, 0x64006400
	s_delay_alu instid0(VALU_DEP_4)
	v_and_or_b32 v32, v29, s5, 0x64006400
	v_and_or_b32 v29, v29, s12, 0x64006400
	v_pk_fma_f16 v75, 0x2c00, v27, v5 op_sel_hi:[0,1,1]
	v_and_or_b32 v27, v68, s12, 0x64006400
	v_pk_add_f16 v70, v63, v26
	v_pk_add_f16 v76, v64, v32
	v_pk_fma_f16 v77, 0x2c00, v29, v5 op_sel_hi:[0,1,1]
	v_lshrrev_b32_e32 v29, 8, v68
	v_pk_fma_f16 v71, 0x2c00, v27, v12 op_sel_hi:[0,1,1]
	v_and_or_b32 v26, v69, s5, 0x64006400
	v_and_or_b32 v27, v69, s12, 0x64006400
	s_delay_alu instid0(VALU_DEP_4) | instskip(SKIP_1) | instid1(VALU_DEP_3)
	v_and_or_b32 v32, v29, s5, 0x64006400
	v_and_or_b32 v29, v29, s12, 0x64006400
	v_pk_fma_f16 v68, 0x2c00, v27, v11 op_sel_hi:[0,1,1]
	s_delay_alu instid0(VALU_DEP_3) | instskip(NEXT) | instid1(VALU_DEP_3)
	v_pk_add_f16 v72, v63, v32
	v_pk_fma_f16 v73, 0x2c00, v29, v12 op_sel_hi:[0,1,1]
	v_lshrrev_b32_e32 v29, 8, v69
	v_pk_add_f16 v69, v65, v26
	ds_load_2addr_b32 v[26:27], v28 offset0:12 offset1:13
	v_and_or_b32 v32, v29, s5, 0x64006400
	v_and_or_b32 v29, v29, s12, 0x64006400
	s_delay_alu instid0(VALU_DEP_2) | instskip(SKIP_4) | instid1(VALU_DEP_1)
	v_pk_add_f16 v67, v65, v32
	ds_load_2addr_b32 v[32:33], v28 offset0:14 offset1:15
	v_pk_fma_f16 v66, 0x2c00, v29, v11 op_sel_hi:[0,1,1]
	s_wait_dscnt 0x1
	v_pk_fma_f16 v29, v31, v26, 0
	v_pk_fma_f16 v29, v30, v27, v29
	s_wait_dscnt 0x0
	s_delay_alu instid0(VALU_DEP_1) | instskip(NEXT) | instid1(VALU_DEP_1)
	v_pk_fma_f16 v29, v78, v32, v29
	v_pk_fma_f16 v29, v79, v33, v29
	s_delay_alu instid0(VALU_DEP_1) | instskip(SKIP_1) | instid1(VALU_DEP_1)
	v_cvt_f32_f16_e32 v80, v29
	v_lshrrev_b32_e32 v29, 16, v29
	v_cvt_f32_f16_e32 v29, v29
	s_delay_alu instid0(VALU_DEP_1) | instskip(NEXT) | instid1(VALU_DEP_1)
	v_add_f32_e32 v29, v29, v80
	v_fmac_f32_e32 v58, v29, v4
	v_pk_fma_f16 v29, v74, v26, 0
	s_delay_alu instid0(VALU_DEP_1) | instskip(NEXT) | instid1(VALU_DEP_1)
	v_pk_fma_f16 v29, v75, v27, v29
	v_pk_fma_f16 v29, v76, v32, v29
	s_delay_alu instid0(VALU_DEP_1) | instskip(NEXT) | instid1(VALU_DEP_1)
	v_pk_fma_f16 v29, v77, v33, v29
	v_cvt_f32_f16_e32 v80, v29
	v_lshrrev_b32_e32 v29, 16, v29
	s_delay_alu instid0(VALU_DEP_1) | instskip(NEXT) | instid1(VALU_DEP_1)
	v_cvt_f32_f16_e32 v29, v29
	v_add_f32_e32 v29, v29, v80
	s_delay_alu instid0(VALU_DEP_1) | instskip(SKIP_2) | instid1(VALU_DEP_2)
	v_fmac_f32_e32 v59, v29, v3
	v_pk_fma_f16 v29, v70, v26, 0
	v_pk_fma_f16 v26, v69, v26, 0
	v_pk_fma_f16 v29, v71, v27, v29
	s_delay_alu instid0(VALU_DEP_2) | instskip(NEXT) | instid1(VALU_DEP_2)
	v_pk_fma_f16 v26, v68, v27, v26
	v_pk_fma_f16 v29, v72, v32, v29
	s_delay_alu instid0(VALU_DEP_2) | instskip(NEXT) | instid1(VALU_DEP_2)
	v_pk_fma_f16 v26, v67, v32, v26
	v_pk_fma_f16 v29, v73, v33, v29
	s_delay_alu instid0(VALU_DEP_2) | instskip(SKIP_4) | instid1(VALU_DEP_1)
	v_pk_fma_f16 v26, v66, v33, v26
	ds_load_2addr_b32 v[32:33], v28 offset0:78 offset1:79
	v_cvt_f32_f16_e32 v80, v29
	v_cvt_f32_f16_e32 v27, v26
	v_dual_lshrrev_b32 v26, 16, v26 :: v_dual_lshrrev_b32 v29, 16, v29
	v_cvt_f32_f16_e32 v26, v26
	s_delay_alu instid0(VALU_DEP_2) | instskip(NEXT) | instid1(VALU_DEP_1)
	v_cvt_f32_f16_e32 v29, v29
	v_dual_add_f32 v26, v26, v27 :: v_dual_add_f32 v29, v29, v80
	s_delay_alu instid0(VALU_DEP_1) | instskip(SKIP_4) | instid1(VALU_DEP_1)
	v_fmac_f32_e32 v57, v26, v7
	ds_load_2addr_b32 v[26:27], v28 offset0:76 offset1:77
	v_fmac_f32_e32 v56, v29, v6
	s_wait_dscnt 0x0
	v_pk_fma_f16 v29, v31, v26, 0
	v_pk_fma_f16 v29, v30, v27, v29
	s_delay_alu instid0(VALU_DEP_1) | instskip(NEXT) | instid1(VALU_DEP_1)
	v_pk_fma_f16 v29, v78, v32, v29
	v_pk_fma_f16 v29, v79, v33, v29
	s_delay_alu instid0(VALU_DEP_1) | instskip(SKIP_1) | instid1(VALU_DEP_1)
	v_cvt_f32_f16_e32 v80, v29
	v_lshrrev_b32_e32 v29, 16, v29
	v_cvt_f32_f16_e32 v29, v29
	s_delay_alu instid0(VALU_DEP_1) | instskip(NEXT) | instid1(VALU_DEP_1)
	v_add_f32_e32 v29, v29, v80
	v_fmac_f32_e32 v53, v29, v4
	v_pk_fma_f16 v29, v74, v26, 0
	s_delay_alu instid0(VALU_DEP_1) | instskip(NEXT) | instid1(VALU_DEP_1)
	v_pk_fma_f16 v29, v75, v27, v29
	v_pk_fma_f16 v29, v76, v32, v29
	s_delay_alu instid0(VALU_DEP_1) | instskip(NEXT) | instid1(VALU_DEP_1)
	v_pk_fma_f16 v29, v77, v33, v29
	v_cvt_f32_f16_e32 v80, v29
	v_lshrrev_b32_e32 v29, 16, v29
	s_delay_alu instid0(VALU_DEP_1) | instskip(NEXT) | instid1(VALU_DEP_1)
	v_cvt_f32_f16_e32 v29, v29
	v_add_f32_e32 v29, v29, v80
	s_delay_alu instid0(VALU_DEP_1) | instskip(SKIP_2) | instid1(VALU_DEP_2)
	v_fmac_f32_e32 v54, v29, v3
	v_pk_fma_f16 v29, v70, v26, 0
	v_pk_fma_f16 v26, v69, v26, 0
	;; [unrolled: 1-line block ×3, first 2 shown]
	s_delay_alu instid0(VALU_DEP_2) | instskip(NEXT) | instid1(VALU_DEP_2)
	v_pk_fma_f16 v26, v68, v27, v26
	v_pk_fma_f16 v29, v72, v32, v29
	s_delay_alu instid0(VALU_DEP_2) | instskip(NEXT) | instid1(VALU_DEP_2)
	v_pk_fma_f16 v26, v67, v32, v26
	v_pk_fma_f16 v29, v73, v33, v29
	s_delay_alu instid0(VALU_DEP_2) | instskip(SKIP_4) | instid1(VALU_DEP_1)
	v_pk_fma_f16 v26, v66, v33, v26
	ds_load_2addr_b32 v[32:33], v28 offset0:142 offset1:143
	v_cvt_f32_f16_e32 v80, v29
	v_cvt_f32_f16_e32 v27, v26
	v_dual_lshrrev_b32 v26, 16, v26 :: v_dual_lshrrev_b32 v29, 16, v29
	v_cvt_f32_f16_e32 v26, v26
	s_delay_alu instid0(VALU_DEP_2) | instskip(NEXT) | instid1(VALU_DEP_1)
	v_cvt_f32_f16_e32 v29, v29
	v_dual_add_f32 v26, v26, v27 :: v_dual_add_f32 v29, v29, v80
	s_delay_alu instid0(VALU_DEP_1) | instskip(SKIP_4) | instid1(VALU_DEP_1)
	v_fmac_f32_e32 v52, v26, v7
	ds_load_2addr_b32 v[26:27], v28 offset0:140 offset1:141
	v_fmac_f32_e32 v51, v29, v6
	s_wait_dscnt 0x0
	v_pk_fma_f16 v29, v31, v26, 0
	v_pk_fma_f16 v29, v30, v27, v29
	s_delay_alu instid0(VALU_DEP_1) | instskip(NEXT) | instid1(VALU_DEP_1)
	v_pk_fma_f16 v29, v78, v32, v29
	v_pk_fma_f16 v29, v79, v33, v29
	s_delay_alu instid0(VALU_DEP_1) | instskip(SKIP_1) | instid1(VALU_DEP_1)
	v_cvt_f32_f16_e32 v80, v29
	v_lshrrev_b32_e32 v29, 16, v29
	v_cvt_f32_f16_e32 v29, v29
	s_delay_alu instid0(VALU_DEP_1) | instskip(NEXT) | instid1(VALU_DEP_1)
	v_add_f32_e32 v29, v29, v80
	v_fmac_f32_e32 v49, v29, v4
	v_pk_fma_f16 v29, v74, v26, 0
	s_delay_alu instid0(VALU_DEP_1) | instskip(NEXT) | instid1(VALU_DEP_1)
	v_pk_fma_f16 v29, v75, v27, v29
	v_pk_fma_f16 v29, v76, v32, v29
	s_delay_alu instid0(VALU_DEP_1) | instskip(NEXT) | instid1(VALU_DEP_1)
	v_pk_fma_f16 v29, v77, v33, v29
	v_cvt_f32_f16_e32 v80, v29
	v_lshrrev_b32_e32 v29, 16, v29
	s_delay_alu instid0(VALU_DEP_1) | instskip(NEXT) | instid1(VALU_DEP_1)
	v_cvt_f32_f16_e32 v29, v29
	v_add_f32_e32 v29, v29, v80
	s_delay_alu instid0(VALU_DEP_1) | instskip(SKIP_2) | instid1(VALU_DEP_2)
	v_fmac_f32_e32 v50, v29, v3
	v_pk_fma_f16 v29, v70, v26, 0
	v_pk_fma_f16 v26, v69, v26, 0
	;; [unrolled: 1-line block ×3, first 2 shown]
	s_delay_alu instid0(VALU_DEP_2) | instskip(NEXT) | instid1(VALU_DEP_2)
	v_pk_fma_f16 v26, v68, v27, v26
	v_pk_fma_f16 v29, v72, v32, v29
	s_delay_alu instid0(VALU_DEP_2) | instskip(NEXT) | instid1(VALU_DEP_2)
	v_pk_fma_f16 v26, v67, v32, v26
	v_pk_fma_f16 v29, v73, v33, v29
	s_delay_alu instid0(VALU_DEP_2) | instskip(NEXT) | instid1(VALU_DEP_2)
	v_pk_fma_f16 v26, v66, v33, v26
	v_cvt_f32_f16_e32 v80, v29
	s_delay_alu instid0(VALU_DEP_2) | instskip(SKIP_1) | instid1(VALU_DEP_1)
	v_cvt_f32_f16_e32 v27, v26
	v_dual_lshrrev_b32 v26, 16, v26 :: v_dual_lshrrev_b32 v29, 16, v29
	v_cvt_f32_f16_e32 v26, v26
	s_delay_alu instid0(VALU_DEP_2) | instskip(NEXT) | instid1(VALU_DEP_1)
	v_cvt_f32_f16_e32 v29, v29
	v_dual_add_f32 v26, v26, v27 :: v_dual_add_f32 v29, v29, v80
	s_delay_alu instid0(VALU_DEP_1) | instskip(SKIP_4) | instid1(VALU_DEP_1)
	v_fmac_f32_e32 v48, v26, v7
	ds_load_2addr_b32 v[26:27], v28 offset0:204 offset1:205
	v_fmac_f32_e32 v47, v29, v6
	s_wait_dscnt 0x0
	v_pk_fma_f16 v29, v31, v26, 0
	v_pk_fma_f16 v32, v30, v27, v29
	ds_load_2addr_b32 v[28:29], v28 offset0:206 offset1:207
	s_wait_dscnt 0x0
	v_pk_fma_f16 v32, v78, v28, v32
	s_delay_alu instid0(VALU_DEP_1) | instskip(NEXT) | instid1(VALU_DEP_1)
	v_pk_fma_f16 v32, v79, v29, v32
	v_cvt_f32_f16_e32 v33, v32
	v_lshrrev_b32_e32 v32, 16, v32
	s_delay_alu instid0(VALU_DEP_1) | instskip(NEXT) | instid1(VALU_DEP_1)
	v_cvt_f32_f16_e32 v32, v32
	v_add_f32_e32 v32, v32, v33
	s_delay_alu instid0(VALU_DEP_1) | instskip(SKIP_1) | instid1(VALU_DEP_1)
	v_fmac_f32_e32 v45, v32, v4
	v_pk_fma_f16 v32, v74, v26, 0
	v_pk_fma_f16 v32, v75, v27, v32
	s_delay_alu instid0(VALU_DEP_1) | instskip(NEXT) | instid1(VALU_DEP_1)
	v_pk_fma_f16 v32, v76, v28, v32
	v_pk_fma_f16 v32, v77, v29, v32
	s_delay_alu instid0(VALU_DEP_1) | instskip(SKIP_1) | instid1(VALU_DEP_1)
	v_cvt_f32_f16_e32 v33, v32
	v_lshrrev_b32_e32 v32, 16, v32
	v_cvt_f32_f16_e32 v32, v32
	s_delay_alu instid0(VALU_DEP_1) | instskip(NEXT) | instid1(VALU_DEP_1)
	v_add_f32_e32 v32, v32, v33
	v_fmac_f32_e32 v46, v32, v3
	v_pk_fma_f16 v32, v70, v26, 0
	v_pk_fma_f16 v26, v69, v26, 0
	s_delay_alu instid0(VALU_DEP_2) | instskip(NEXT) | instid1(VALU_DEP_2)
	v_pk_fma_f16 v32, v71, v27, v32
	v_pk_fma_f16 v26, v68, v27, v26
	s_delay_alu instid0(VALU_DEP_2) | instskip(NEXT) | instid1(VALU_DEP_2)
	;; [unrolled: 3-line block ×4, first 2 shown]
	v_cvt_f32_f16_e32 v33, v32
	v_cvt_f32_f16_e32 v27, v26
	v_lshrrev_b32_e32 v26, 16, v26
	s_delay_alu instid0(VALU_DEP_1) | instskip(NEXT) | instid1(VALU_DEP_1)
	v_cvt_f32_f16_e32 v26, v26
	v_dual_lshrrev_b32 v32, 16, v32 :: v_dual_add_f32 v26, v26, v27
	s_delay_alu instid0(VALU_DEP_1) | instskip(NEXT) | instid1(VALU_DEP_1)
	v_cvt_f32_f16_e32 v32, v32
	v_dual_fmac_f32 v44, v26, v7 :: v_dual_add_f32 v32, v32, v33
	v_mov_b32_e32 v26, s13
	s_add_co_i32 s13, s19, 0x438
	s_delay_alu instid0(VALU_DEP_2) | instskip(SKIP_3) | instid1(VALU_DEP_1)
	v_fmac_f32_e32 v43, v32, v6
	ds_load_2addr_b32 v[26:27], v26 offset1:1
	s_wait_dscnt 0x0
	v_pk_fma_f16 v28, v31, v26, 0
	v_pk_fma_f16 v32, v30, v27, v28
	v_mov_b32_e32 v28, s13
	s_add_co_i32 s13, s19, 0x530
	ds_load_2addr_b32 v[28:29], v28 offset1:1
	s_wait_dscnt 0x0
	v_pk_fma_f16 v32, v78, v28, v32
	s_delay_alu instid0(VALU_DEP_1) | instskip(NEXT) | instid1(VALU_DEP_1)
	v_pk_fma_f16 v32, v79, v29, v32
	v_cvt_f32_f16_e32 v33, v32
	v_lshrrev_b32_e32 v32, 16, v32
	s_delay_alu instid0(VALU_DEP_1) | instskip(NEXT) | instid1(VALU_DEP_1)
	v_cvt_f32_f16_e32 v32, v32
	v_add_f32_e32 v32, v32, v33
	s_delay_alu instid0(VALU_DEP_1) | instskip(SKIP_1) | instid1(VALU_DEP_1)
	v_fmac_f32_e32 v41, v32, v4
	v_pk_fma_f16 v32, v74, v26, 0
	v_pk_fma_f16 v32, v75, v27, v32
	s_delay_alu instid0(VALU_DEP_1) | instskip(NEXT) | instid1(VALU_DEP_1)
	v_pk_fma_f16 v32, v76, v28, v32
	v_pk_fma_f16 v32, v77, v29, v32
	s_delay_alu instid0(VALU_DEP_1) | instskip(SKIP_1) | instid1(VALU_DEP_1)
	v_cvt_f32_f16_e32 v33, v32
	v_lshrrev_b32_e32 v32, 16, v32
	v_cvt_f32_f16_e32 v32, v32
	s_delay_alu instid0(VALU_DEP_1) | instskip(NEXT) | instid1(VALU_DEP_1)
	v_add_f32_e32 v32, v32, v33
	v_fmac_f32_e32 v42, v32, v3
	v_pk_fma_f16 v32, v70, v26, 0
	v_pk_fma_f16 v26, v69, v26, 0
	s_delay_alu instid0(VALU_DEP_2) | instskip(NEXT) | instid1(VALU_DEP_2)
	v_pk_fma_f16 v32, v71, v27, v32
	v_pk_fma_f16 v26, v68, v27, v26
	s_delay_alu instid0(VALU_DEP_2) | instskip(NEXT) | instid1(VALU_DEP_2)
	;; [unrolled: 3-line block ×3, first 2 shown]
	v_pk_fma_f16 v32, v73, v29, v32
	v_pk_fma_f16 v26, v66, v29, v26
	s_delay_alu instid0(VALU_DEP_2) | instskip(SKIP_1) | instid1(VALU_DEP_3)
	v_cvt_f32_f16_e32 v33, v32
	v_lshrrev_b32_e32 v32, 16, v32
	v_cvt_f32_f16_e32 v27, v26
	v_lshrrev_b32_e32 v26, 16, v26
	s_delay_alu instid0(VALU_DEP_3) | instskip(NEXT) | instid1(VALU_DEP_2)
	v_cvt_f32_f16_e32 v32, v32
	v_cvt_f32_f16_e32 v26, v26
	s_delay_alu instid0(VALU_DEP_1) | instskip(NEXT) | instid1(VALU_DEP_1)
	v_dual_add_f32 v26, v26, v27 :: v_dual_add_f32 v32, v32, v33
	v_dual_fmac_f32 v39, v26, v7 :: v_dual_fmac_f32 v40, v32, v6
	v_mov_b32_e32 v26, s13
	s_add_co_i32 s13, s19, 0x538
	ds_load_2addr_b32 v[26:27], v26 offset1:1
	s_wait_dscnt 0x0
	v_pk_fma_f16 v28, v31, v26, 0
	s_delay_alu instid0(VALU_DEP_1)
	v_pk_fma_f16 v32, v30, v27, v28
	v_mov_b32_e32 v28, s13
	s_add_co_i32 s13, s19, 0x630
	ds_load_2addr_b32 v[28:29], v28 offset1:1
	s_wait_dscnt 0x0
	v_pk_fma_f16 v32, v78, v28, v32
	s_delay_alu instid0(VALU_DEP_1) | instskip(NEXT) | instid1(VALU_DEP_1)
	v_pk_fma_f16 v32, v79, v29, v32
	v_cvt_f32_f16_e32 v33, v32
	v_lshrrev_b32_e32 v32, 16, v32
	s_delay_alu instid0(VALU_DEP_1) | instskip(NEXT) | instid1(VALU_DEP_1)
	v_cvt_f32_f16_e32 v32, v32
	v_add_f32_e32 v32, v32, v33
	s_delay_alu instid0(VALU_DEP_1) | instskip(SKIP_1) | instid1(VALU_DEP_1)
	v_fmac_f32_e32 v37, v32, v4
	v_pk_fma_f16 v32, v74, v26, 0
	v_pk_fma_f16 v32, v75, v27, v32
	s_delay_alu instid0(VALU_DEP_1) | instskip(NEXT) | instid1(VALU_DEP_1)
	v_pk_fma_f16 v32, v76, v28, v32
	v_pk_fma_f16 v32, v77, v29, v32
	s_delay_alu instid0(VALU_DEP_1) | instskip(SKIP_1) | instid1(VALU_DEP_1)
	v_cvt_f32_f16_e32 v33, v32
	v_lshrrev_b32_e32 v32, 16, v32
	v_cvt_f32_f16_e32 v32, v32
	s_delay_alu instid0(VALU_DEP_1) | instskip(NEXT) | instid1(VALU_DEP_1)
	v_add_f32_e32 v32, v32, v33
	v_fmac_f32_e32 v38, v32, v3
	v_pk_fma_f16 v32, v70, v26, 0
	v_pk_fma_f16 v26, v69, v26, 0
	s_delay_alu instid0(VALU_DEP_2) | instskip(NEXT) | instid1(VALU_DEP_2)
	v_pk_fma_f16 v32, v71, v27, v32
	v_pk_fma_f16 v26, v68, v27, v26
	s_delay_alu instid0(VALU_DEP_2) | instskip(NEXT) | instid1(VALU_DEP_2)
	;; [unrolled: 3-line block ×3, first 2 shown]
	v_pk_fma_f16 v32, v73, v29, v32
	v_pk_fma_f16 v26, v66, v29, v26
	s_delay_alu instid0(VALU_DEP_2) | instskip(SKIP_1) | instid1(VALU_DEP_3)
	v_cvt_f32_f16_e32 v33, v32
	v_lshrrev_b32_e32 v32, 16, v32
	v_cvt_f32_f16_e32 v27, v26
	v_lshrrev_b32_e32 v26, 16, v26
	s_delay_alu instid0(VALU_DEP_3) | instskip(NEXT) | instid1(VALU_DEP_2)
	v_cvt_f32_f16_e32 v32, v32
	v_cvt_f32_f16_e32 v26, v26
	s_delay_alu instid0(VALU_DEP_1) | instskip(NEXT) | instid1(VALU_DEP_1)
	v_dual_add_f32 v26, v26, v27 :: v_dual_add_f32 v32, v32, v33
	v_dual_fmac_f32 v35, v26, v7 :: v_dual_fmac_f32 v34, v32, v6
	v_mov_b32_e32 v26, s13
	s_add_co_i32 s13, s19, 0x638
	s_add_co_i32 s19, s19, 64
	v_mov_b32_e32 v27, s13
	s_cmp_ge_i32 s15, s16
	ds_load_2addr_b32 v[32:33], v26 offset1:1
	s_wait_dscnt 0x0
	v_pk_fma_f16 v26, v31, v32, 0
	s_delay_alu instid0(VALU_DEP_1) | instskip(SKIP_3) | instid1(VALU_DEP_1)
	v_pk_fma_f16 v26, v30, v33, v26
	ds_load_2addr_b32 v[30:31], v27 offset1:1
	s_wait_dscnt 0x0
	v_pk_fma_f16 v26, v78, v30, v26
	v_pk_fma_f16 v26, v79, v31, v26
	s_delay_alu instid0(VALU_DEP_1) | instskip(SKIP_1) | instid1(VALU_DEP_1)
	v_cvt_f32_f16_e32 v27, v26
	v_lshrrev_b32_e32 v26, 16, v26
	v_cvt_f32_f16_e32 v26, v26
	s_delay_alu instid0(VALU_DEP_1) | instskip(NEXT) | instid1(VALU_DEP_1)
	v_add_f32_e32 v26, v26, v27
	v_fmac_f32_e32 v13, v26, v4
	v_pk_fma_f16 v26, v74, v32, 0
	s_delay_alu instid0(VALU_DEP_1) | instskip(NEXT) | instid1(VALU_DEP_1)
	v_pk_fma_f16 v26, v75, v33, v26
	v_pk_fma_f16 v26, v76, v30, v26
	s_delay_alu instid0(VALU_DEP_1) | instskip(NEXT) | instid1(VALU_DEP_1)
	v_pk_fma_f16 v26, v77, v31, v26
	v_cvt_f32_f16_e32 v27, v26
	v_lshrrev_b32_e32 v26, 16, v26
	s_delay_alu instid0(VALU_DEP_1) | instskip(NEXT) | instid1(VALU_DEP_1)
	v_cvt_f32_f16_e32 v26, v26
	v_add_f32_e32 v26, v26, v27
	s_delay_alu instid0(VALU_DEP_1) | instskip(SKIP_1) | instid1(VALU_DEP_1)
	v_fmac_f32_e32 v36, v26, v3
	v_pk_fma_f16 v26, v70, v32, 0
	v_pk_fma_f16 v26, v71, v33, v26
	s_delay_alu instid0(VALU_DEP_1) | instskip(NEXT) | instid1(VALU_DEP_1)
	v_pk_fma_f16 v26, v72, v30, v26
	v_pk_fma_f16 v27, v73, v31, v26
	s_delay_alu instid0(VALU_DEP_1) | instskip(SKIP_1) | instid1(VALU_DEP_1)
	v_cvt_f32_f16_e32 v26, v27
	v_lshrrev_b32_e32 v27, 16, v27
	v_cvt_f32_f16_e32 v28, v27
	v_pk_fma_f16 v27, v69, v32, 0
	s_delay_alu instid0(VALU_DEP_1) | instskip(NEXT) | instid1(VALU_DEP_1)
	v_pk_fma_f16 v27, v68, v33, v27
	v_pk_fma_f16 v27, v67, v30, v27
	s_delay_alu instid0(VALU_DEP_1) | instskip(NEXT) | instid1(VALU_DEP_1)
	v_pk_fma_f16 v27, v66, v31, v27
	v_lshrrev_b32_e32 v29, 16, v27
	v_cvt_f32_f16_e32 v27, v27
	s_delay_alu instid0(VALU_DEP_2) | instskip(NEXT) | instid1(VALU_DEP_1)
	v_cvt_f32_f16_e32 v29, v29
	v_pk_add_f32 v[14:15], v[26:27], v[28:29]
	s_delay_alu instid0(VALU_DEP_1)
	v_pk_fma_f32 v[8:9], v[14:15], v[6:7], v[8:9]
	s_cbranch_scc1 .LBB41_22
.LBB41_20:                              ; =>This Inner Loop Header: Depth=1
	s_cmp_lg_u32 s15, s21
	s_cbranch_scc1 .LBB41_19
; %bb.21:                               ;   in Loop: Header=BB41_20 Depth=1
	s_add_co_i32 s18, s18, 1
	s_add_co_i32 s21, s21, s17
	s_mul_i32 s13, s18, s4
	s_delay_alu instid0(SALU_CYCLE_1) | instskip(SKIP_2) | instid1(SALU_CYCLE_1)
	s_ashr_i32 s22, s13, 31
	v_add_nc_u32_e32 v4, s13, v2
	s_lshr_b32 s22, s22, 29
	s_add_co_i32 s22, s13, s22
	s_delay_alu instid0(SALU_CYCLE_1) | instskip(NEXT) | instid1(SALU_CYCLE_1)
	s_ashr_i32 s22, s22, 3
	v_add_nc_u32_e32 v3, s22, v55
	global_load_b32 v3, v3, s[2:3] scale_offset
	s_wait_loadcnt 0x0
	v_dual_ashrrev_i32 v5, 31, v4 :: v_dual_lshrrev_b32 v3, v60, v3
	s_delay_alu instid0(VALU_DEP_1) | instskip(NEXT) | instid1(VALU_DEP_2)
	v_lshl_add_u64 v[4:5], v[4:5], 1, s[8:9]
	v_lshrrev_b32_e32 v10, 8, v3
	global_load_b64 v[6:7], v[4:5], off
	s_wait_xcnt 0x0
	v_dual_lshrrev_b32 v4, 4, v3 :: v_dual_lshrrev_b32 v5, 12, v3
	v_and_b32_e32 v3, 15, v3
	s_delay_alu instid0(VALU_DEP_2) | instskip(NEXT) | instid1(VALU_DEP_3)
	v_and_b32_e32 v4, 15, v4
	v_and_b32_e32 v5, 15, v5
	s_delay_alu instid0(VALU_DEP_3) | instskip(NEXT) | instid1(VALU_DEP_3)
	v_dual_add_nc_u32 v11, v3, v61 :: v_dual_bitop2_b32 v10, 15, v10 bitop3:0x40
	v_add_nc_u32_e32 v12, v4, v61
	s_delay_alu instid0(VALU_DEP_2) | instskip(SKIP_1) | instid1(VALU_DEP_4)
	v_cvt_f32_ubyte0_e32 v3, v11
	v_mad_u32_u24 v62, v11, s20, 0xe400e400
	v_add_nc_u32_e32 v10, v10, v61
	s_delay_alu instid0(VALU_DEP_4) | instskip(SKIP_1) | instid1(VALU_DEP_3)
	v_cvt_f32_ubyte0_e32 v14, v12
	v_mad_u32_u24 v64, v12, s20, 0xe400e400
	v_cvt_f32_ubyte0_e32 v16, v10
	s_delay_alu instid0(VALU_DEP_3) | instskip(SKIP_1) | instid1(VALU_DEP_2)
	v_cvt_pk_f16_f32 v14, v3, v14
	v_mad_u32_u24 v63, v10, s20, 0xe400e400
	v_pk_add_f16 v14, 0xd400, v14 op_sel_hi:[0,1] neg_lo:[0,1] neg_hi:[0,1]
	s_delay_alu instid0(VALU_DEP_1) | instskip(SKIP_1) | instid1(VALU_DEP_2)
	v_and_b32_e32 v10, 0xffff, v14
	v_lshrrev_b32_e32 v12, 16, v14
	v_mul_u32_u24_e32 v10, 0x10001, v10
	s_wait_loadcnt 0x0
	v_dual_lshrrev_b32 v17, 16, v6 :: v_dual_add_nc_u32 v5, v5, v61
	v_lshrrev_b32_e32 v18, 16, v7
	v_cvt_f32_f16_e32 v4, v6
	v_cvt_f32_f16_e32 v6, v7
	s_delay_alu instid0(VALU_DEP_4) | instskip(SKIP_4) | instid1(VALU_DEP_4)
	v_cvt_f32_f16_e32 v3, v17
	v_cvt_f32_ubyte0_e32 v15, v5
	v_cvt_f32_f16_e32 v7, v18
	v_mad_u32_u24 v65, v5, s20, 0xe400e400
	v_mul_u32_u24_e32 v5, 0x10001, v12
	v_cvt_pk_f16_f32 v15, v16, v15
	s_delay_alu instid0(VALU_DEP_1) | instskip(NEXT) | instid1(VALU_DEP_1)
	v_pk_add_f16 v11, 0xd400, v15 op_sel_hi:[0,1] neg_lo:[0,1] neg_hi:[0,1]
	v_and_b32_e32 v14, 0xffff, v11
	v_lshrrev_b32_e32 v11, 16, v11
	s_delay_alu instid0(VALU_DEP_2) | instskip(NEXT) | instid1(VALU_DEP_2)
	v_mul_u32_u24_e32 v12, 0x10001, v14
	v_mul_u32_u24_e32 v11, 0x10001, v11
	s_branch .LBB41_19
.LBB41_22:
	v_mad_u32 v0, s14, s4, v2
	s_mov_b32 s0, 0
	s_delay_alu instid0(VALU_DEP_1) | instskip(SKIP_1) | instid1(VALU_DEP_1)
	v_ashrrev_i32_e32 v1, 31, v0
	s_wait_kmcnt 0x0
	v_lshl_add_u64 v[2:3], v[0:1], 1, s[10:11]
	v_cvt_pk_f16_f32 v1, v58, v59
	global_load_b32 v5, v[2:3], off
.LBB41_23:                              ; =>This Inner Loop Header: Depth=1
	s_wait_loadcnt 0x0
	v_pk_add_f16 v4, v1, v5
	global_atomic_cmpswap_b32 v4, v[2:3], v[4:5], off th:TH_ATOMIC_RETURN scope:SCOPE_DEV
	s_wait_loadcnt 0x0
	v_cmp_eq_u32_e32 vcc_lo, v5, v4
	v_mov_b32_e32 v5, v4
	s_or_b32 s0, vcc_lo, s0
	s_delay_alu instid0(SALU_CYCLE_1)
	s_and_not1_b32 exec_lo, exec_lo, s0
	s_cbranch_execnz .LBB41_23
; %bb.24:
	s_or_b32 exec_lo, exec_lo, s0
	global_load_b32 v5, v[2:3], off offset:4
	v_cvt_pk_f16_f32 v1, v56, v57
	s_mov_b32 s0, 0
.LBB41_25:                              ; =>This Inner Loop Header: Depth=1
	s_wait_loadcnt 0x0
	s_delay_alu instid0(VALU_DEP_1)
	v_pk_add_f16 v4, v1, v5
	global_atomic_cmpswap_b32 v4, v[2:3], v[4:5], off offset:4 th:TH_ATOMIC_RETURN scope:SCOPE_DEV
	s_wait_loadcnt 0x0
	v_cmp_eq_u32_e32 vcc_lo, v5, v4
	v_mov_b32_e32 v5, v4
	s_or_b32 s0, vcc_lo, s0
	s_delay_alu instid0(SALU_CYCLE_1)
	s_and_not1_b32 exec_lo, exec_lo, s0
	s_cbranch_execnz .LBB41_25
; %bb.26:
	s_or_b32 exec_lo, exec_lo, s0
	v_add_nc_u32_e32 v0, s4, v0
	s_mov_b32 s0, 0
	s_delay_alu instid0(VALU_DEP_1) | instskip(NEXT) | instid1(VALU_DEP_1)
	v_ashrrev_i32_e32 v1, 31, v0
	v_lshl_add_u64 v[2:3], v[0:1], 1, s[10:11]
	v_cvt_pk_f16_f32 v1, v53, v54
	global_load_b32 v5, v[2:3], off
.LBB41_27:                              ; =>This Inner Loop Header: Depth=1
	s_wait_loadcnt 0x0
	v_pk_add_f16 v4, v1, v5
	global_atomic_cmpswap_b32 v4, v[2:3], v[4:5], off th:TH_ATOMIC_RETURN scope:SCOPE_DEV
	s_wait_loadcnt 0x0
	v_cmp_eq_u32_e32 vcc_lo, v5, v4
	v_mov_b32_e32 v5, v4
	s_or_b32 s0, vcc_lo, s0
	s_delay_alu instid0(SALU_CYCLE_1)
	s_and_not1_b32 exec_lo, exec_lo, s0
	s_cbranch_execnz .LBB41_27
; %bb.28:
	s_or_b32 exec_lo, exec_lo, s0
	global_load_b32 v5, v[2:3], off offset:4
	v_cvt_pk_f16_f32 v1, v51, v52
	s_mov_b32 s0, 0
.LBB41_29:                              ; =>This Inner Loop Header: Depth=1
	s_wait_loadcnt 0x0
	s_delay_alu instid0(VALU_DEP_1)
	v_pk_add_f16 v4, v1, v5
	global_atomic_cmpswap_b32 v4, v[2:3], v[4:5], off offset:4 th:TH_ATOMIC_RETURN scope:SCOPE_DEV
	s_wait_loadcnt 0x0
	v_cmp_eq_u32_e32 vcc_lo, v5, v4
	v_mov_b32_e32 v5, v4
	s_or_b32 s0, vcc_lo, s0
	s_delay_alu instid0(SALU_CYCLE_1)
	s_and_not1_b32 exec_lo, exec_lo, s0
	s_cbranch_execnz .LBB41_29
; %bb.30:
	s_or_b32 exec_lo, exec_lo, s0
	v_add_nc_u32_e32 v0, s4, v0
	s_mov_b32 s0, 0
	s_delay_alu instid0(VALU_DEP_1) | instskip(NEXT) | instid1(VALU_DEP_1)
	v_ashrrev_i32_e32 v1, 31, v0
	;; [unrolled: 37-line block ×5, first 2 shown]
	v_lshl_add_u64 v[2:3], v[0:1], 1, s[10:11]
	v_cvt_pk_f16_f32 v1, v37, v38
	global_load_b32 v5, v[2:3], off
.LBB41_43:                              ; =>This Inner Loop Header: Depth=1
	s_wait_loadcnt 0x0
	v_pk_add_f16 v4, v1, v5
	global_atomic_cmpswap_b32 v4, v[2:3], v[4:5], off th:TH_ATOMIC_RETURN scope:SCOPE_DEV
	s_wait_loadcnt 0x0
	v_cmp_eq_u32_e32 vcc_lo, v5, v4
	v_mov_b32_e32 v5, v4
	s_or_b32 s0, vcc_lo, s0
	s_delay_alu instid0(SALU_CYCLE_1)
	s_and_not1_b32 exec_lo, exec_lo, s0
	s_cbranch_execnz .LBB41_43
; %bb.44:
	s_or_b32 exec_lo, exec_lo, s0
	global_load_b32 v5, v[2:3], off offset:4
	v_cvt_pk_f16_f32 v1, v34, v35
	s_mov_b32 s0, 0
.LBB41_45:                              ; =>This Inner Loop Header: Depth=1
	s_wait_loadcnt 0x0
	s_delay_alu instid0(VALU_DEP_1)
	v_pk_add_f16 v4, v1, v5
	global_atomic_cmpswap_b32 v4, v[2:3], v[4:5], off offset:4 th:TH_ATOMIC_RETURN scope:SCOPE_DEV
	s_wait_loadcnt 0x0
	v_cmp_eq_u32_e32 vcc_lo, v5, v4
	v_mov_b32_e32 v5, v4
	s_or_b32 s0, vcc_lo, s0
	s_delay_alu instid0(SALU_CYCLE_1)
	s_and_not1_b32 exec_lo, exec_lo, s0
	s_cbranch_execnz .LBB41_45
; %bb.46:
	s_or_b32 exec_lo, exec_lo, s0
	v_add_nc_u32_e32 v0, s4, v0
	v_cvt_pk_f16_f32 v4, v13, v36
	s_mov_b32 s0, 0
	s_delay_alu instid0(VALU_DEP_2) | instskip(NEXT) | instid1(VALU_DEP_1)
	v_ashrrev_i32_e32 v1, 31, v0
	v_lshl_add_u64 v[0:1], v[0:1], 1, s[10:11]
	global_load_b32 v3, v[0:1], off
.LBB41_47:                              ; =>This Inner Loop Header: Depth=1
	s_wait_loadcnt 0x0
	v_pk_add_f16 v2, v4, v3
	global_atomic_cmpswap_b32 v2, v[0:1], v[2:3], off th:TH_ATOMIC_RETURN scope:SCOPE_DEV
	s_wait_loadcnt 0x0
	v_cmp_eq_u32_e32 vcc_lo, v3, v2
	v_mov_b32_e32 v3, v2
	s_or_b32 s0, vcc_lo, s0
	s_delay_alu instid0(SALU_CYCLE_1)
	s_and_not1_b32 exec_lo, exec_lo, s0
	s_cbranch_execnz .LBB41_47
; %bb.48:
	s_or_b32 exec_lo, exec_lo, s0
	global_load_b32 v3, v[0:1], off offset:4
	v_cvt_pk_f16_f32 v4, v8, v9
	s_mov_b32 s0, 0
.LBB41_49:                              ; =>This Inner Loop Header: Depth=1
	s_wait_loadcnt 0x0
	s_delay_alu instid0(VALU_DEP_1)
	v_pk_add_f16 v2, v4, v3
	global_atomic_cmpswap_b32 v2, v[0:1], v[2:3], off offset:4 th:TH_ATOMIC_RETURN scope:SCOPE_DEV
	s_wait_loadcnt 0x0
	v_cmp_eq_u32_e32 vcc_lo, v3, v2
	v_mov_b32_e32 v3, v2
	s_or_b32 s0, vcc_lo, s0
	s_delay_alu instid0(SALU_CYCLE_1)
	s_and_not1_b32 exec_lo, exec_lo, s0
	s_cbranch_execnz .LBB41_49
.LBB41_50:
	s_endpgm
	.section	.rodata,"a",@progbits
	.p2align	6, 0x0
	.amdhsa_kernel _ZN4vllm4gptq33gemm_half_q_half_gptq_4bit_kernelILb1ELi7EEEvPK6__halfPKjS6_S4_PS2_iiiibPKi
		.amdhsa_group_segment_fixed_size 1792
		.amdhsa_private_segment_fixed_size 0
		.amdhsa_kernarg_size 72
		.amdhsa_user_sgpr_count 2
		.amdhsa_user_sgpr_dispatch_ptr 0
		.amdhsa_user_sgpr_queue_ptr 0
		.amdhsa_user_sgpr_kernarg_segment_ptr 1
		.amdhsa_user_sgpr_dispatch_id 0
		.amdhsa_user_sgpr_kernarg_preload_length 0
		.amdhsa_user_sgpr_kernarg_preload_offset 0
		.amdhsa_user_sgpr_private_segment_size 0
		.amdhsa_wavefront_size32 1
		.amdhsa_uses_dynamic_stack 0
		.amdhsa_enable_private_segment 0
		.amdhsa_system_sgpr_workgroup_id_x 1
		.amdhsa_system_sgpr_workgroup_id_y 1
		.amdhsa_system_sgpr_workgroup_id_z 1
		.amdhsa_system_sgpr_workgroup_info 0
		.amdhsa_system_vgpr_workitem_id 0
		.amdhsa_next_free_vgpr 81
		.amdhsa_next_free_sgpr 23
		.amdhsa_named_barrier_count 0
		.amdhsa_reserve_vcc 1
		.amdhsa_float_round_mode_32 0
		.amdhsa_float_round_mode_16_64 0
		.amdhsa_float_denorm_mode_32 3
		.amdhsa_float_denorm_mode_16_64 3
		.amdhsa_fp16_overflow 0
		.amdhsa_memory_ordered 1
		.amdhsa_forward_progress 1
		.amdhsa_inst_pref_size 107
		.amdhsa_round_robin_scheduling 0
		.amdhsa_exception_fp_ieee_invalid_op 0
		.amdhsa_exception_fp_denorm_src 0
		.amdhsa_exception_fp_ieee_div_zero 0
		.amdhsa_exception_fp_ieee_overflow 0
		.amdhsa_exception_fp_ieee_underflow 0
		.amdhsa_exception_fp_ieee_inexact 0
		.amdhsa_exception_int_div_zero 0
	.end_amdhsa_kernel
	.section	.text._ZN4vllm4gptq33gemm_half_q_half_gptq_4bit_kernelILb1ELi7EEEvPK6__halfPKjS6_S4_PS2_iiiibPKi,"axG",@progbits,_ZN4vllm4gptq33gemm_half_q_half_gptq_4bit_kernelILb1ELi7EEEvPK6__halfPKjS6_S4_PS2_iiiibPKi,comdat
.Lfunc_end41:
	.size	_ZN4vllm4gptq33gemm_half_q_half_gptq_4bit_kernelILb1ELi7EEEvPK6__halfPKjS6_S4_PS2_iiiibPKi, .Lfunc_end41-_ZN4vllm4gptq33gemm_half_q_half_gptq_4bit_kernelILb1ELi7EEEvPK6__halfPKjS6_S4_PS2_iiiibPKi
                                        ; -- End function
	.set _ZN4vllm4gptq33gemm_half_q_half_gptq_4bit_kernelILb1ELi7EEEvPK6__halfPKjS6_S4_PS2_iiiibPKi.num_vgpr, 81
	.set _ZN4vllm4gptq33gemm_half_q_half_gptq_4bit_kernelILb1ELi7EEEvPK6__halfPKjS6_S4_PS2_iiiibPKi.num_agpr, 0
	.set _ZN4vllm4gptq33gemm_half_q_half_gptq_4bit_kernelILb1ELi7EEEvPK6__halfPKjS6_S4_PS2_iiiibPKi.numbered_sgpr, 23
	.set _ZN4vllm4gptq33gemm_half_q_half_gptq_4bit_kernelILb1ELi7EEEvPK6__halfPKjS6_S4_PS2_iiiibPKi.num_named_barrier, 0
	.set _ZN4vllm4gptq33gemm_half_q_half_gptq_4bit_kernelILb1ELi7EEEvPK6__halfPKjS6_S4_PS2_iiiibPKi.private_seg_size, 0
	.set _ZN4vllm4gptq33gemm_half_q_half_gptq_4bit_kernelILb1ELi7EEEvPK6__halfPKjS6_S4_PS2_iiiibPKi.uses_vcc, 1
	.set _ZN4vllm4gptq33gemm_half_q_half_gptq_4bit_kernelILb1ELi7EEEvPK6__halfPKjS6_S4_PS2_iiiibPKi.uses_flat_scratch, 0
	.set _ZN4vllm4gptq33gemm_half_q_half_gptq_4bit_kernelILb1ELi7EEEvPK6__halfPKjS6_S4_PS2_iiiibPKi.has_dyn_sized_stack, 0
	.set _ZN4vllm4gptq33gemm_half_q_half_gptq_4bit_kernelILb1ELi7EEEvPK6__halfPKjS6_S4_PS2_iiiibPKi.has_recursion, 0
	.set _ZN4vllm4gptq33gemm_half_q_half_gptq_4bit_kernelILb1ELi7EEEvPK6__halfPKjS6_S4_PS2_iiiibPKi.has_indirect_call, 0
	.section	.AMDGPU.csdata,"",@progbits
; Kernel info:
; codeLenInByte = 13584
; TotalNumSgprs: 25
; NumVgprs: 81
; ScratchSize: 0
; MemoryBound: 0
; FloatMode: 240
; IeeeMode: 1
; LDSByteSize: 1792 bytes/workgroup (compile time only)
; SGPRBlocks: 0
; VGPRBlocks: 5
; NumSGPRsForWavesPerEU: 25
; NumVGPRsForWavesPerEU: 81
; NamedBarCnt: 0
; Occupancy: 10
; WaveLimiterHint : 0
; COMPUTE_PGM_RSRC2:SCRATCH_EN: 0
; COMPUTE_PGM_RSRC2:USER_SGPR: 2
; COMPUTE_PGM_RSRC2:TRAP_HANDLER: 0
; COMPUTE_PGM_RSRC2:TGID_X_EN: 1
; COMPUTE_PGM_RSRC2:TGID_Y_EN: 1
; COMPUTE_PGM_RSRC2:TGID_Z_EN: 1
; COMPUTE_PGM_RSRC2:TIDIG_COMP_CNT: 0
	.section	.text._ZN4vllm4gptq33gemm_half_q_half_gptq_8bit_kernelILb1ELi7EEEvPK6__halfPKjS6_S4_PS2_iiiibPKi,"axG",@progbits,_ZN4vllm4gptq33gemm_half_q_half_gptq_8bit_kernelILb1ELi7EEEvPK6__halfPKjS6_S4_PS2_iiiibPKi,comdat
	.protected	_ZN4vllm4gptq33gemm_half_q_half_gptq_8bit_kernelILb1ELi7EEEvPK6__halfPKjS6_S4_PS2_iiiibPKi ; -- Begin function _ZN4vllm4gptq33gemm_half_q_half_gptq_8bit_kernelILb1ELi7EEEvPK6__halfPKjS6_S4_PS2_iiiibPKi
	.globl	_ZN4vllm4gptq33gemm_half_q_half_gptq_8bit_kernelILb1ELi7EEEvPK6__halfPKjS6_S4_PS2_iiiibPKi
	.p2align	8
	.type	_ZN4vllm4gptq33gemm_half_q_half_gptq_8bit_kernelILb1ELi7EEEvPK6__halfPKjS6_S4_PS2_iiiibPKi,@function
_ZN4vllm4gptq33gemm_half_q_half_gptq_8bit_kernelILb1ELi7EEEvPK6__halfPKjS6_S4_PS2_iiiibPKi: ; @_ZN4vllm4gptq33gemm_half_q_half_gptq_8bit_kernelILb1ELi7EEEvPK6__halfPKjS6_S4_PS2_iiiibPKi
; %bb.0:
	s_load_b128 s[4:7], s[0:1], 0x2c
	s_bfe_u32 s2, ttmp6, 0x40014
	s_lshr_b32 s3, ttmp7, 16
	s_add_co_i32 s2, s2, 1
	s_bfe_u32 s9, ttmp6, 0x40010
	s_mul_i32 s2, s3, s2
	s_bfe_u32 s8, ttmp6, 0x40008
	s_and_b32 s10, ttmp7, 0xffff
	s_add_co_i32 s9, s9, 1
	s_add_co_i32 s8, s8, s2
	s_mul_i32 s2, s10, s9
	s_bfe_u32 s9, ttmp6, 0x40004
	s_getreg_b32 s17, hwreg(HW_REG_IB_STS2, 6, 4)
	s_add_co_i32 s9, s9, s2
	s_cmp_eq_u32 s17, 0
	s_mov_b32 s12, exec_lo
	s_cselect_b32 s2, s3, s8
	s_cselect_b32 s14, s10, s9
	s_lshl_b32 s15, s2, 7
	s_mul_i32 s14, s14, 7
	s_add_co_i32 s2, s15, 0x80
	s_delay_alu instid0(SALU_CYCLE_1) | instskip(SKIP_3) | instid1(VALU_DEP_1)
	v_cvt_f64_u32_e32 v[2:3], s2
	s_load_b64 s[2:3], s[0:1], 0x10
	s_wait_kmcnt 0x0
	v_cvt_f64_i32_e32 v[4:5], s5
	v_min_num_f64_e32 v[2:3], v[2:3], v[4:5]
	s_delay_alu instid0(VALU_DEP_1) | instskip(SKIP_1) | instid1(VALU_DEP_2)
	v_cvt_i32_f64_e32 v1, v[2:3]
	v_add_nc_u32_e32 v2, s15, v0
	v_readfirstlane_b32 s16, v1
	s_delay_alu instid0(VALU_DEP_2)
	v_cmpx_lt_u32_e64 v2, v1
	s_cbranch_execz .LBB42_16
; %bb.1:
	s_clause 0x1
	s_load_b64 s[10:11], s[0:1], 0x40
	s_load_b64 s[8:9], s[0:1], 0x0
	v_mov_b32_e32 v3, 0
	s_delay_alu instid0(VALU_DEP_1)
	v_mov_b64_e32 v[6:7], v[2:3]
	s_wait_kmcnt 0x0
	v_lshl_add_u64 v[4:5], v[2:3], 2, s[10:11]
	s_cmp_lg_u64 s[10:11], 0
	s_cselect_b32 s13, -1, 0
	s_cmp_eq_u64 s[10:11], 0
	s_cbranch_scc1 .LBB42_3
; %bb.2:
	global_load_b32 v6, v[4:5], off
	s_wait_loadcnt 0x0
	v_ashrrev_i32_e32 v7, 31, v6
.LBB42_3:
	s_mul_i32 s10, s14, s5
	v_cndmask_b32_e64 v8, 0, 1, s13
	s_ashr_i32 s11, s10, 31
	v_lshlrev_b32_e32 v1, 1, v0
	s_lshl_b64 s[18:19], s[10:11], 1
	s_and_not1_b32 vcc_lo, exec_lo, s13
	s_add_nc_u64 s[18:19], s[8:9], s[18:19]
	s_delay_alu instid0(SALU_CYCLE_1)
	v_lshl_add_u64 v[6:7], v[6:7], 1, s[18:19]
	global_load_u16 v9, v[6:7], off
	s_wait_xcnt 0x0
	v_mov_b64_e32 v[6:7], v[2:3]
	s_wait_loadcnt 0x0
	ds_store_b16 v1, v9
	s_cbranch_vccnz .LBB42_5
; %bb.4:
	global_load_b32 v6, v[4:5], off
	s_wait_loadcnt 0x0
	v_ashrrev_i32_e32 v7, 31, v6
.LBB42_5:
	s_add_co_i32 s10, s10, s5
	v_cmp_ne_u32_e32 vcc_lo, 1, v8
	s_ashr_i32 s11, s10, 31
	s_delay_alu instid0(SALU_CYCLE_1) | instskip(SKIP_2) | instid1(SALU_CYCLE_1)
	s_lshl_b64 s[18:19], s[10:11], 1
	s_and_b32 vcc_lo, exec_lo, vcc_lo
	s_add_nc_u64 s[18:19], s[8:9], s[18:19]
	v_lshl_add_u64 v[6:7], v[6:7], 1, s[18:19]
	global_load_u16 v9, v[6:7], off
	s_wait_xcnt 0x0
	v_mov_b64_e32 v[6:7], v[2:3]
	s_wait_loadcnt 0x0
	ds_store_b16 v1, v9 offset:256
	s_cbranch_vccnz .LBB42_7
; %bb.6:
	global_load_b32 v6, v[4:5], off
	s_wait_loadcnt 0x0
	v_ashrrev_i32_e32 v7, 31, v6
.LBB42_7:
	s_add_co_i32 s10, s10, s5
	v_cmp_ne_u32_e32 vcc_lo, 1, v8
	s_ashr_i32 s11, s10, 31
	s_delay_alu instid0(SALU_CYCLE_1) | instskip(SKIP_2) | instid1(SALU_CYCLE_1)
	s_lshl_b64 s[18:19], s[10:11], 1
	s_and_b32 vcc_lo, exec_lo, vcc_lo
	s_add_nc_u64 s[18:19], s[8:9], s[18:19]
	v_lshl_add_u64 v[6:7], v[6:7], 1, s[18:19]
	global_load_u16 v9, v[6:7], off
	s_wait_xcnt 0x0
	v_mov_b64_e32 v[6:7], v[2:3]
	s_wait_loadcnt 0x0
	ds_store_b16 v1, v9 offset:512
	s_cbranch_vccnz .LBB42_9
; %bb.8:
	global_load_b32 v6, v[4:5], off
	s_wait_loadcnt 0x0
	v_ashrrev_i32_e32 v7, 31, v6
.LBB42_9:
	s_add_co_i32 s10, s10, s5
	v_cmp_ne_u32_e32 vcc_lo, 1, v8
	s_ashr_i32 s11, s10, 31
	s_delay_alu instid0(SALU_CYCLE_1) | instskip(SKIP_2) | instid1(SALU_CYCLE_1)
	s_lshl_b64 s[18:19], s[10:11], 1
	s_and_b32 vcc_lo, exec_lo, vcc_lo
	s_add_nc_u64 s[18:19], s[8:9], s[18:19]
	v_lshl_add_u64 v[6:7], v[6:7], 1, s[18:19]
	global_load_u16 v9, v[6:7], off
	s_wait_xcnt 0x0
	v_mov_b64_e32 v[6:7], v[2:3]
	s_wait_loadcnt 0x0
	ds_store_b16 v1, v9 offset:768
	s_cbranch_vccnz .LBB42_11
; %bb.10:
	global_load_b32 v6, v[4:5], off
	s_wait_loadcnt 0x0
	v_ashrrev_i32_e32 v7, 31, v6
.LBB42_11:
	s_add_co_i32 s10, s10, s5
	v_cmp_ne_u32_e32 vcc_lo, 1, v8
	s_ashr_i32 s11, s10, 31
	s_delay_alu instid0(SALU_CYCLE_1) | instskip(SKIP_2) | instid1(SALU_CYCLE_1)
	s_lshl_b64 s[18:19], s[10:11], 1
	s_and_b32 vcc_lo, exec_lo, vcc_lo
	s_add_nc_u64 s[18:19], s[8:9], s[18:19]
	v_lshl_add_u64 v[6:7], v[6:7], 1, s[18:19]
	global_load_u16 v9, v[6:7], off
	s_wait_xcnt 0x0
	v_mov_b64_e32 v[6:7], v[2:3]
	s_wait_loadcnt 0x0
	ds_store_b16 v1, v9 offset:1024
	s_cbranch_vccnz .LBB42_13
; %bb.12:
	global_load_b32 v6, v[4:5], off
	s_wait_loadcnt 0x0
	v_ashrrev_i32_e32 v7, 31, v6
.LBB42_13:
	s_add_co_i32 s10, s10, s5
	v_cmp_ne_u32_e32 vcc_lo, 1, v8
	s_ashr_i32 s11, s10, 31
	s_delay_alu instid0(SALU_CYCLE_1) | instskip(SKIP_2) | instid1(SALU_CYCLE_1)
	s_lshl_b64 s[18:19], s[10:11], 1
	s_and_b32 vcc_lo, exec_lo, vcc_lo
	s_add_nc_u64 s[18:19], s[8:9], s[18:19]
	v_lshl_add_u64 v[6:7], v[6:7], 1, s[18:19]
	global_load_u16 v6, v[6:7], off
	s_wait_loadcnt 0x0
	ds_store_b16 v1, v6 offset:1280
	s_cbranch_vccnz .LBB42_15
; %bb.14:
	global_load_b32 v2, v[4:5], off
	s_wait_loadcnt 0x0
	v_ashrrev_i32_e32 v3, 31, v2
.LBB42_15:
	s_add_co_i32 s10, s10, s5
	s_delay_alu instid0(SALU_CYCLE_1) | instskip(NEXT) | instid1(SALU_CYCLE_1)
	s_ashr_i32 s11, s10, 31
	s_lshl_b64 s[10:11], s[10:11], 1
	s_delay_alu instid0(SALU_CYCLE_1) | instskip(NEXT) | instid1(SALU_CYCLE_1)
	s_add_nc_u64 s[8:9], s[8:9], s[10:11]
	v_lshl_add_u64 v[2:3], v[2:3], 1, s[8:9]
	global_load_u16 v2, v[2:3], off
	s_wait_loadcnt 0x0
	ds_store_b16 v1, v2 offset:1536
.LBB42_16:
	s_or_b32 exec_lo, exec_lo, s12
	s_clause 0x1
	s_load_b64 s[12:13], s[0:1], 0x8
	s_load_b128 s[8:11], s[0:1], 0x18
	s_wait_xcnt 0x0
	s_bfe_u32 s0, ttmp6, 0x4000c
	s_and_b32 s1, ttmp6, 15
	s_add_co_i32 s0, s0, 1
	v_lshlrev_b32_e32 v0, 2, v0
	s_mul_i32 s0, ttmp9, s0
	s_delay_alu instid0(SALU_CYCLE_1)
	s_add_co_i32 s1, s1, s0
	s_cmp_eq_u32 s17, 0
	s_cselect_b32 s0, ttmp9, s1
	s_mov_b32 s1, 0
	v_lshl_add_u32 v16, s0, 9, v0
	s_mov_b32 s0, exec_lo
	s_delay_alu instid0(VALU_DEP_1)
	v_cmpx_gt_i32_e64 s4, v16
	s_cbranch_execz .LBB42_50
; %bb.17:
	s_abs_i32 s17, s6
	v_dual_mov_b32 v15, 0 :: v_dual_mov_b32 v14, 0
	s_cvt_f32_u32 s0, s17
	v_dual_mov_b32 v56, 0 :: v_dual_mov_b32 v55, 0
	v_dual_mov_b32 v58, 0 :: v_dual_mov_b32 v57, 0
	s_delay_alu instid0(SALU_CYCLE_1) | instskip(SKIP_3) | instid1(TRANS32_DEP_1)
	v_rcp_iflag_f32_e32 v0, s0
	v_dual_mov_b32 v60, 0 :: v_dual_mov_b32 v59, 0
	v_dual_mov_b32 v62, 0 :: v_dual_mov_b32 v61, 0
	;; [unrolled: 1-line block ×3, first 2 shown]
	v_readfirstlane_b32 s0, v0
	v_dual_mov_b32 v32, 0 :: v_dual_mov_b32 v33, 0
	s_cmp_ge_i32 s15, s16
	s_wait_dscnt 0x0
	s_barrier_signal -1
	s_barrier_wait -1
	s_cbranch_scc1 .LBB42_22
; %bb.18:
	s_mul_f32 s0, s0, 0x4f7ffffe
	s_ashr_i32 s6, s6, 31
	v_dual_ashrrev_i32 v17, 31, v16 :: v_dual_mov_b32 v33, 0
	s_delay_alu instid0(SALU_CYCLE_1) | instskip(SKIP_2) | instid1(SALU_CYCLE_1)
	s_cvt_u32_f32 s18, s0
	s_sub_co_i32 s0, 0, s17
	v_dual_mov_b32 v32, 0 :: v_dual_mov_b32 v63, 0
	s_mul_i32 s19, s0, s18
	s_abs_i32 s0, s5
	s_mul_hi_u32 s20, s18, s19
	s_mov_b32 s19, s1
	s_add_co_i32 s18, s18, s20
	s_ashr_i32 s5, s5, 31
	s_mul_u64 s[18:19], s[0:1], s[18:19]
	s_xor_b32 s5, s5, s6
	s_mul_i32 s18, s19, s17
	s_add_co_i32 s6, s19, 1
	s_sub_co_i32 s0, s0, s18
	v_dual_mov_b32 v64, 0 :: v_dual_mov_b32 v61, 0
	s_sub_co_i32 s18, s0, s17
	s_cmp_ge_u32 s0, s17
	v_dual_mov_b32 v62, 0 :: v_dual_mov_b32 v59, 0
	s_cselect_b32 s6, s6, s19
	s_cselect_b32 s0, s18, s0
	s_add_co_i32 s18, s6, 1
	s_cmp_ge_u32 s0, s17
	v_dual_mov_b32 v60, 0 :: v_dual_mov_b32 v57, 0
	s_cselect_b32 s0, s18, s6
	v_dual_mov_b32 v58, 0 :: v_dual_mov_b32 v55, 0
	s_xor_b32 s0, s0, s5
	v_dual_mov_b32 v56, 0 :: v_dual_mov_b32 v14, 0
	s_sub_co_i32 s0, s0, s5
	s_bitcmp1_b32 s7, 0
	s_cvt_f32_u32 s5, s0
	s_cselect_b32 s6, -1, 0
	s_sub_co_i32 s7, 0, s0
	s_xor_b32 s18, s6, -1
	v_rcp_iflag_f32_e32 v0, s5
	v_cndmask_b32_e64 v23, 0, 1, s18
	v_mov_b32_e32 v15, 0
	s_delay_alu instid0(TRANS32_DEP_1) | instskip(SKIP_1) | instid1(SALU_CYCLE_3)
	v_readfirstlane_b32 s5, v0
	s_mul_f32 s5, s5, 0x4f7ffffe
	s_cvt_u32_f32 s5, s5
	s_delay_alu instid0(SALU_CYCLE_3) | instskip(NEXT) | instid1(SALU_CYCLE_1)
	s_mul_i32 s7, s7, s5
	s_mul_hi_u32 s7, s5, s7
	s_delay_alu instid0(SALU_CYCLE_1) | instskip(NEXT) | instid1(SALU_CYCLE_1)
	s_add_co_i32 s5, s5, s7
	s_mul_hi_u32 s5, s15, s5
	s_delay_alu instid0(SALU_CYCLE_1) | instskip(NEXT) | instid1(SALU_CYCLE_1)
	s_mul_i32 s7, s5, s0
	s_sub_co_i32 s6, s15, s7
	s_add_co_i32 s7, s5, 1
	s_sub_co_i32 s17, s6, s0
	s_cmp_ge_u32 s6, s0
	s_cselect_b32 s5, s7, s5
	s_cselect_b32 s6, s17, s6
	s_add_co_i32 s7, s5, 1
	s_cmp_ge_u32 s6, s0
	s_cselect_b32 s17, s7, s5
	s_delay_alu instid0(SALU_CYCLE_1) | instskip(NEXT) | instid1(SALU_CYCLE_1)
	s_mul_i32 s5, s17, s4
	v_dual_ashrrev_i32 v22, 2, v16 :: v_dual_add_nc_u32 v0, s5, v16
	s_ashr_i32 s6, s5, 31
	s_delay_alu instid0(SALU_CYCLE_1) | instskip(NEXT) | instid1(SALU_CYCLE_1)
	s_lshr_b32 s6, s6, 30
	s_add_co_i32 s6, s5, s6
	s_delay_alu instid0(VALU_DEP_1)
	v_ashrrev_i32_e32 v1, 31, v0
	s_ashr_i32 s6, s6, 2
	s_lshr_b32 s5, s15, 2
	v_add_nc_u32_e32 v2, s6, v22
	s_mul_i32 s6, s4, s5
	s_wait_kmcnt 0x0
	v_lshl_add_u64 v[0:1], v[0:1], 1, s[8:9]
	s_ashr_i32 s7, s6, 31
	s_ashr_i32 s5, s4, 31
	global_load_b32 v2, v2, s[2:3] scale_offset
	s_lshl_b64 s[6:7], s[6:7], 2
	global_load_b64 v[18:19], v[0:1], off
	s_add_nc_u64 s[6:7], s[12:13], s[6:7]
	s_add_co_i32 s12, s0, s15
	s_wait_xcnt 0x0
	v_lshl_add_u64 v[0:1], v[16:17], 2, s[6:7]
	s_lshl_b64 s[6:7], s[4:5], 2
	s_wait_loadcnt 0x1
	v_and_b32_e32 v17, 0xff, v2
	v_bfe_u32 v24, v2, 8, 8
	v_bfe_u32 v25, v2, 16, 8
	v_lshrrev_b32_e32 v26, 24, v2
	s_branch .LBB42_20
.LBB42_19:                              ;   in Loop: Header=BB42_20 Depth=1
	global_load_b128 v[2:5], v[0:1], off
	v_add_nc_u64_e32 v[12:13], s[6:7], v[0:1]
	v_dual_add_nc_u32 v31, v17, v23 :: v_dual_add_nc_u32 v30, v24, v23
	v_dual_add_nc_u32 v29, v25, v23 :: v_dual_add_nc_u32 v28, v26, v23
	s_add_co_i32 s15, s15, 32
	v_mov_b32_e32 v27, s1
	global_load_b128 v[6:9], v[12:13], off
	s_wait_xcnt 0x0
	v_add_nc_u64_e32 v[12:13], s[6:7], v[12:13]
	s_add_co_i32 s1, s1, 64
	s_cmp_ge_i32 s15, s16
	s_wait_loadcnt 0x1
	v_and_b32_e32 v0, 0xff, v2
	s_delay_alu instid0(VALU_DEP_1) | instskip(NEXT) | instid1(VALU_DEP_1)
	v_sub_nc_u32_e32 v0, v0, v31
	v_cvt_f32_i32_e32 v0, v0
	s_delay_alu instid0(VALU_DEP_1) | instskip(SKIP_1) | instid1(VALU_DEP_1)
	v_cvt_f16_f32_e32 v20, v0
	v_bfe_u32 v0, v2, 8, 8
	v_sub_nc_u32_e32 v0, v0, v31
	s_delay_alu instid0(VALU_DEP_1) | instskip(NEXT) | instid1(VALU_DEP_1)
	v_cvt_f32_i32_e32 v0, v0
	v_cvt_f16_f32_e32 v21, v0
	v_bfe_u32 v0, v2, 16, 8
	s_delay_alu instid0(VALU_DEP_1) | instskip(NEXT) | instid1(VALU_DEP_1)
	v_sub_nc_u32_e32 v0, v0, v31
	v_cvt_f32_i32_e32 v0, v0
	s_delay_alu instid0(VALU_DEP_1) | instskip(SKIP_1) | instid1(VALU_DEP_1)
	v_cvt_f16_f32_e32 v34, v0
	v_lshrrev_b32_e32 v0, 24, v2
	v_sub_nc_u32_e32 v0, v0, v31
	s_delay_alu instid0(VALU_DEP_1) | instskip(NEXT) | instid1(VALU_DEP_1)
	v_cvt_f32_i32_e32 v0, v0
	v_cvt_f16_f32_e32 v35, v0
	s_wait_loadcnt 0x0
	v_and_b32_e32 v0, 0xff, v6
	s_delay_alu instid0(VALU_DEP_1) | instskip(NEXT) | instid1(VALU_DEP_1)
	v_sub_nc_u32_e32 v0, v0, v31
	v_cvt_f32_i32_e32 v0, v0
	s_delay_alu instid0(VALU_DEP_1) | instskip(SKIP_1) | instid1(VALU_DEP_1)
	v_cvt_f16_f32_e32 v36, v0
	v_bfe_u32 v0, v6, 8, 8
	v_sub_nc_u32_e32 v0, v0, v31
	s_delay_alu instid0(VALU_DEP_1) | instskip(NEXT) | instid1(VALU_DEP_1)
	v_cvt_f32_i32_e32 v0, v0
	v_cvt_f16_f32_e32 v37, v0
	v_bfe_u32 v0, v6, 16, 8
	s_delay_alu instid0(VALU_DEP_1) | instskip(NEXT) | instid1(VALU_DEP_1)
	v_sub_nc_u32_e32 v0, v0, v31
	v_cvt_f32_i32_e32 v0, v0
	s_delay_alu instid0(VALU_DEP_1) | instskip(SKIP_1) | instid1(VALU_DEP_1)
	v_cvt_f16_f32_e32 v38, v0
	v_lshrrev_b32_e32 v0, 24, v6
	v_sub_nc_u32_e32 v0, v0, v31
	s_delay_alu instid0(VALU_DEP_1) | instskip(NEXT) | instid1(VALU_DEP_1)
	v_cvt_f32_i32_e32 v0, v0
	v_cvt_f16_f32_e32 v39, v0
	v_and_b32_e32 v0, 0xff, v3
	s_delay_alu instid0(VALU_DEP_1) | instskip(NEXT) | instid1(VALU_DEP_1)
	v_sub_nc_u32_e32 v0, v0, v30
	v_cvt_f32_i32_e32 v0, v0
	s_delay_alu instid0(VALU_DEP_1) | instskip(SKIP_1) | instid1(VALU_DEP_1)
	v_cvt_f16_f32_e32 v40, v0
	v_bfe_u32 v0, v3, 8, 8
	v_sub_nc_u32_e32 v0, v0, v30
	s_delay_alu instid0(VALU_DEP_1) | instskip(NEXT) | instid1(VALU_DEP_1)
	v_cvt_f32_i32_e32 v0, v0
	v_cvt_f16_f32_e32 v41, v0
	v_bfe_u32 v0, v3, 16, 8
	s_delay_alu instid0(VALU_DEP_1) | instskip(NEXT) | instid1(VALU_DEP_1)
	v_sub_nc_u32_e32 v0, v0, v30
	v_cvt_f32_i32_e32 v0, v0
	s_delay_alu instid0(VALU_DEP_1) | instskip(SKIP_1) | instid1(VALU_DEP_1)
	v_cvt_f16_f32_e32 v42, v0
	v_lshrrev_b32_e32 v0, 24, v3
	v_sub_nc_u32_e32 v0, v0, v30
	s_delay_alu instid0(VALU_DEP_1) | instskip(NEXT) | instid1(VALU_DEP_1)
	v_cvt_f32_i32_e32 v0, v0
	v_cvt_f16_f32_e32 v43, v0
	v_and_b32_e32 v0, 0xff, v7
	s_delay_alu instid0(VALU_DEP_1) | instskip(NEXT) | instid1(VALU_DEP_1)
	v_sub_nc_u32_e32 v0, v0, v30
	v_cvt_f32_i32_e32 v0, v0
	s_delay_alu instid0(VALU_DEP_1) | instskip(SKIP_1) | instid1(VALU_DEP_1)
	v_cvt_f16_f32_e32 v44, v0
	v_bfe_u32 v0, v7, 8, 8
	v_sub_nc_u32_e32 v0, v0, v30
	s_delay_alu instid0(VALU_DEP_1) | instskip(NEXT) | instid1(VALU_DEP_1)
	v_cvt_f32_i32_e32 v0, v0
	v_cvt_f16_f32_e32 v45, v0
	v_bfe_u32 v0, v7, 16, 8
	s_delay_alu instid0(VALU_DEP_1) | instskip(NEXT) | instid1(VALU_DEP_1)
	v_sub_nc_u32_e32 v0, v0, v30
	v_cvt_f32_i32_e32 v0, v0
	s_delay_alu instid0(VALU_DEP_1) | instskip(SKIP_1) | instid1(VALU_DEP_1)
	v_cvt_f16_f32_e32 v46, v0
	v_lshrrev_b32_e32 v0, 24, v7
	v_sub_nc_u32_e32 v0, v0, v30
	s_delay_alu instid0(VALU_DEP_1) | instskip(NEXT) | instid1(VALU_DEP_1)
	v_cvt_f32_i32_e32 v0, v0
	v_cvt_f16_f32_e32 v47, v0
	v_and_b32_e32 v0, 0xff, v4
	s_delay_alu instid0(VALU_DEP_1) | instskip(NEXT) | instid1(VALU_DEP_1)
	v_sub_nc_u32_e32 v0, v0, v29
	v_cvt_f32_i32_e32 v0, v0
	s_delay_alu instid0(VALU_DEP_1) | instskip(SKIP_1) | instid1(VALU_DEP_1)
	v_cvt_f16_f32_e32 v48, v0
	v_bfe_u32 v0, v4, 8, 8
	v_sub_nc_u32_e32 v0, v0, v29
	s_delay_alu instid0(VALU_DEP_1) | instskip(NEXT) | instid1(VALU_DEP_1)
	v_cvt_f32_i32_e32 v0, v0
	v_cvt_f16_f32_e32 v49, v0
	v_bfe_u32 v0, v4, 16, 8
	s_delay_alu instid0(VALU_DEP_1) | instskip(NEXT) | instid1(VALU_DEP_1)
	v_sub_nc_u32_e32 v0, v0, v29
	v_cvt_f32_i32_e32 v0, v0
	s_delay_alu instid0(VALU_DEP_1) | instskip(SKIP_1) | instid1(VALU_DEP_1)
	v_cvt_f16_f32_e32 v50, v0
	v_lshrrev_b32_e32 v0, 24, v4
	v_sub_nc_u32_e32 v0, v0, v29
	s_delay_alu instid0(VALU_DEP_1) | instskip(NEXT) | instid1(VALU_DEP_1)
	v_cvt_f32_i32_e32 v0, v0
	v_cvt_f16_f32_e32 v51, v0
	v_and_b32_e32 v0, 0xff, v8
	s_delay_alu instid0(VALU_DEP_1) | instskip(NEXT) | instid1(VALU_DEP_1)
	v_sub_nc_u32_e32 v0, v0, v29
	v_cvt_f32_i32_e32 v0, v0
	s_delay_alu instid0(VALU_DEP_1) | instskip(SKIP_1) | instid1(VALU_DEP_1)
	v_cvt_f16_f32_e32 v52, v0
	v_bfe_u32 v0, v8, 8, 8
	v_sub_nc_u32_e32 v0, v0, v29
	s_delay_alu instid0(VALU_DEP_1) | instskip(NEXT) | instid1(VALU_DEP_1)
	v_cvt_f32_i32_e32 v0, v0
	v_cvt_f16_f32_e32 v53, v0
	v_bfe_u32 v0, v8, 16, 8
	s_delay_alu instid0(VALU_DEP_1) | instskip(NEXT) | instid1(VALU_DEP_1)
	v_sub_nc_u32_e32 v0, v0, v29
	v_cvt_f32_i32_e32 v0, v0
	s_delay_alu instid0(VALU_DEP_1) | instskip(SKIP_1) | instid1(VALU_DEP_1)
	v_cvt_f16_f32_e32 v54, v0
	v_lshrrev_b32_e32 v0, 24, v8
	v_sub_nc_u32_e32 v0, v0, v29
	s_delay_alu instid0(VALU_DEP_1) | instskip(NEXT) | instid1(VALU_DEP_1)
	v_cvt_f32_i32_e32 v0, v0
	v_cvt_f16_f32_e32 v65, v0
	v_and_b32_e32 v0, 0xff, v5
	s_delay_alu instid0(VALU_DEP_1) | instskip(NEXT) | instid1(VALU_DEP_1)
	v_sub_nc_u32_e32 v0, v0, v28
	v_cvt_f32_i32_e32 v0, v0
	s_delay_alu instid0(VALU_DEP_1) | instskip(SKIP_1) | instid1(VALU_DEP_1)
	v_cvt_f16_f32_e32 v66, v0
	v_bfe_u32 v0, v5, 8, 8
	v_sub_nc_u32_e32 v0, v0, v28
	s_delay_alu instid0(VALU_DEP_1) | instskip(NEXT) | instid1(VALU_DEP_1)
	v_cvt_f32_i32_e32 v0, v0
	v_cvt_f16_f32_e32 v67, v0
	v_bfe_u32 v0, v5, 16, 8
	s_delay_alu instid0(VALU_DEP_1) | instskip(NEXT) | instid1(VALU_DEP_1)
	v_sub_nc_u32_e32 v0, v0, v28
	v_cvt_f32_i32_e32 v0, v0
	s_delay_alu instid0(VALU_DEP_1) | instskip(SKIP_1) | instid1(VALU_DEP_1)
	v_cvt_f16_f32_e32 v88, v0
	v_lshrrev_b32_e32 v0, 24, v5
	v_sub_nc_u32_e32 v0, v0, v28
	s_delay_alu instid0(VALU_DEP_1) | instskip(NEXT) | instid1(VALU_DEP_1)
	v_cvt_f32_i32_e32 v0, v0
	v_cvt_f16_f32_e32 v89, v0
	v_and_b32_e32 v0, 0xff, v9
	s_delay_alu instid0(VALU_DEP_1) | instskip(NEXT) | instid1(VALU_DEP_1)
	v_sub_nc_u32_e32 v0, v0, v28
	v_cvt_f32_i32_e32 v0, v0
	s_delay_alu instid0(VALU_DEP_1) | instskip(SKIP_1) | instid1(VALU_DEP_1)
	v_cvt_f16_f32_e32 v90, v0
	v_bfe_u32 v0, v9, 8, 8
	v_sub_nc_u32_e32 v0, v0, v28
	s_delay_alu instid0(VALU_DEP_1) | instskip(NEXT) | instid1(VALU_DEP_1)
	v_cvt_f32_i32_e32 v0, v0
	v_cvt_f16_f32_e32 v91, v0
	v_bfe_u32 v0, v9, 16, 8
	s_delay_alu instid0(VALU_DEP_1) | instskip(NEXT) | instid1(VALU_DEP_1)
	v_sub_nc_u32_e32 v0, v0, v28
	v_cvt_f32_i32_e32 v0, v0
	s_delay_alu instid0(VALU_DEP_1) | instskip(SKIP_1) | instid1(VALU_DEP_1)
	v_cvt_f16_f32_e32 v92, v0
	v_lshrrev_b32_e32 v0, 24, v9
	v_sub_nc_u32_e32 v0, v0, v28
	s_delay_alu instid0(VALU_DEP_1) | instskip(NEXT) | instid1(VALU_DEP_1)
	v_cvt_f32_i32_e32 v0, v0
	v_cvt_f16_f32_e32 v93, v0
	ds_load_b128 v[68:71], v27
	ds_load_b128 v[8:11], v27 offset:16
	ds_load_b128 v[4:7], v27 offset:32
	;; [unrolled: 1-line block ×4, first 2 shown]
	s_wait_dscnt 0x4
	v_fma_mix_f32 v72, v20, v68, 0 op_sel_hi:[1,1,0]
	s_delay_alu instid0(VALU_DEP_1) | instskip(NEXT) | instid1(VALU_DEP_1)
	v_fma_mix_f32 v72, v21, v68, v72 op_sel:[0,1,0] op_sel_hi:[1,1,0]
	v_fma_mix_f32 v72, v34, v69, v72 op_sel_hi:[1,1,0]
	s_delay_alu instid0(VALU_DEP_1) | instskip(NEXT) | instid1(VALU_DEP_1)
	v_fma_mix_f32 v72, v35, v69, v72 op_sel:[0,1,0] op_sel_hi:[1,1,0]
	;; [unrolled: 3-line block ×4, first 2 shown]
	v_fma_mixlo_f16 v72, v72, v18, 0 op_sel_hi:[0,1,0]
	s_delay_alu instid0(VALU_DEP_1) | instskip(SKIP_2) | instid1(VALU_DEP_2)
	v_add_f16_e32 v94, v15, v72
	v_fma_mix_f32 v72, v40, v68, 0 op_sel_hi:[1,1,0]
	v_lshrrev_b32_e32 v15, 16, v15
	v_fma_mix_f32 v72, v41, v68, v72 op_sel:[0,1,0] op_sel_hi:[1,1,0]
	s_delay_alu instid0(VALU_DEP_1) | instskip(NEXT) | instid1(VALU_DEP_1)
	v_fma_mix_f32 v72, v42, v69, v72 op_sel_hi:[1,1,0]
	v_fma_mix_f32 v72, v43, v69, v72 op_sel:[0,1,0] op_sel_hi:[1,1,0]
	s_delay_alu instid0(VALU_DEP_1) | instskip(NEXT) | instid1(VALU_DEP_1)
	v_fma_mix_f32 v72, v44, v70, v72 op_sel_hi:[1,1,0]
	v_fma_mix_f32 v72, v45, v70, v72 op_sel:[0,1,0] op_sel_hi:[1,1,0]
	s_delay_alu instid0(VALU_DEP_1) | instskip(NEXT) | instid1(VALU_DEP_1)
	v_fma_mix_f32 v72, v46, v71, v72 op_sel_hi:[1,1,0]
	v_fma_mix_f32 v72, v47, v71, v72 op_sel:[0,1,0] op_sel_hi:[1,1,0]
	s_delay_alu instid0(VALU_DEP_1) | instskip(NEXT) | instid1(VALU_DEP_1)
	v_fma_mixlo_f16 v72, v72, v18, 0 op_sel:[0,1,0] op_sel_hi:[0,1,0]
	v_add_f16_e32 v95, v15, v72
	v_fma_mix_f32 v15, v48, v68, 0 op_sel_hi:[1,1,0]
	ds_load_b128 v[72:75], v27 offset:256
	v_fma_mix_f32 v15, v49, v68, v15 op_sel:[0,1,0] op_sel_hi:[1,1,0]
	s_delay_alu instid0(VALU_DEP_1) | instskip(NEXT) | instid1(VALU_DEP_1)
	v_fma_mix_f32 v15, v50, v69, v15 op_sel_hi:[1,1,0]
	v_fma_mix_f32 v15, v51, v69, v15 op_sel:[0,1,0] op_sel_hi:[1,1,0]
	s_delay_alu instid0(VALU_DEP_1) | instskip(NEXT) | instid1(VALU_DEP_1)
	v_fma_mix_f32 v15, v52, v70, v15 op_sel_hi:[1,1,0]
	;; [unrolled: 3-line block ×3, first 2 shown]
	v_fma_mix_f32 v15, v65, v71, v15 op_sel:[0,1,0] op_sel_hi:[1,1,0]
	s_delay_alu instid0(VALU_DEP_1) | instskip(NEXT) | instid1(VALU_DEP_1)
	v_fma_mixlo_f16 v15, v15, v19, 0 op_sel_hi:[0,1,0]
	v_add_f16_e32 v96, v14, v15
	v_fma_mix_f32 v15, v66, v68, 0 op_sel_hi:[1,1,0]
	v_lshrrev_b32_e32 v14, 16, v14
	s_delay_alu instid0(VALU_DEP_2) | instskip(NEXT) | instid1(VALU_DEP_1)
	v_fma_mix_f32 v15, v67, v68, v15 op_sel:[0,1,0] op_sel_hi:[1,1,0]
	v_fma_mix_f32 v15, v88, v69, v15 op_sel_hi:[1,1,0]
	s_delay_alu instid0(VALU_DEP_1) | instskip(NEXT) | instid1(VALU_DEP_1)
	v_fma_mix_f32 v15, v89, v69, v15 op_sel:[0,1,0] op_sel_hi:[1,1,0]
	v_fma_mix_f32 v15, v90, v70, v15 op_sel_hi:[1,1,0]
	s_delay_alu instid0(VALU_DEP_1) | instskip(NEXT) | instid1(VALU_DEP_1)
	;; [unrolled: 3-line block ×3, first 2 shown]
	v_fma_mix_f32 v15, v93, v71, v15 op_sel:[0,1,0] op_sel_hi:[1,1,0]
	v_fma_mixlo_f16 v15, v15, v19, 0 op_sel:[0,1,0] op_sel_hi:[0,1,0]
	s_delay_alu instid0(VALU_DEP_1) | instskip(SKIP_3) | instid1(VALU_DEP_2)
	v_add_f16_e32 v97, v14, v15
	s_wait_dscnt 0x0
	v_fma_mix_f32 v14, v20, v72, 0 op_sel_hi:[1,1,0]
	v_fma_mix_f32 v15, v40, v72, 0 op_sel_hi:[1,1,0]
	v_fma_mix_f32 v14, v21, v72, v14 op_sel:[0,1,0] op_sel_hi:[1,1,0]
	s_delay_alu instid0(VALU_DEP_2) | instskip(NEXT) | instid1(VALU_DEP_2)
	v_fma_mix_f32 v15, v41, v72, v15 op_sel:[0,1,0] op_sel_hi:[1,1,0]
	v_fma_mix_f32 v14, v34, v73, v14 op_sel_hi:[1,1,0]
	s_delay_alu instid0(VALU_DEP_2) | instskip(NEXT) | instid1(VALU_DEP_2)
	v_fma_mix_f32 v15, v42, v73, v15 op_sel_hi:[1,1,0]
	v_fma_mix_f32 v14, v35, v73, v14 op_sel:[0,1,0] op_sel_hi:[1,1,0]
	s_delay_alu instid0(VALU_DEP_2) | instskip(NEXT) | instid1(VALU_DEP_2)
	v_fma_mix_f32 v15, v43, v73, v15 op_sel:[0,1,0] op_sel_hi:[1,1,0]
	v_fma_mix_f32 v14, v36, v74, v14 op_sel_hi:[1,1,0]
	s_delay_alu instid0(VALU_DEP_2) | instskip(NEXT) | instid1(VALU_DEP_2)
	v_fma_mix_f32 v15, v44, v74, v15 op_sel_hi:[1,1,0]
	v_fma_mix_f32 v14, v37, v74, v14 op_sel:[0,1,0] op_sel_hi:[1,1,0]
	s_delay_alu instid0(VALU_DEP_2) | instskip(NEXT) | instid1(VALU_DEP_2)
	v_fma_mix_f32 v15, v45, v74, v15 op_sel:[0,1,0] op_sel_hi:[1,1,0]
	v_fma_mix_f32 v14, v38, v75, v14 op_sel_hi:[1,1,0]
	s_delay_alu instid0(VALU_DEP_2) | instskip(NEXT) | instid1(VALU_DEP_2)
	v_fma_mix_f32 v15, v46, v75, v15 op_sel_hi:[1,1,0]
	v_fma_mix_f32 v14, v39, v75, v14 op_sel:[0,1,0] op_sel_hi:[1,1,0]
	s_delay_alu instid0(VALU_DEP_2) | instskip(NEXT) | instid1(VALU_DEP_2)
	v_fma_mix_f32 v15, v47, v75, v15 op_sel:[0,1,0] op_sel_hi:[1,1,0]
	v_fma_mixlo_f16 v14, v14, v18, 0 op_sel_hi:[0,1,0]
	s_delay_alu instid0(VALU_DEP_2) | instskip(NEXT) | instid1(VALU_DEP_2)
	v_fma_mixlo_f16 v15, v15, v18, 0 op_sel:[0,1,0] op_sel_hi:[0,1,0]
	v_add_f16_e32 v68, v56, v14
	v_lshrrev_b32_e32 v14, 16, v56
	s_delay_alu instid0(VALU_DEP_1) | instskip(SKIP_2) | instid1(VALU_DEP_2)
	v_add_f16_e32 v69, v14, v15
	v_fma_mix_f32 v14, v48, v72, 0 op_sel_hi:[1,1,0]
	v_fma_mix_f32 v15, v66, v72, 0 op_sel_hi:[1,1,0]
	v_fma_mix_f32 v14, v49, v72, v14 op_sel:[0,1,0] op_sel_hi:[1,1,0]
	s_delay_alu instid0(VALU_DEP_2) | instskip(NEXT) | instid1(VALU_DEP_2)
	v_fma_mix_f32 v15, v67, v72, v15 op_sel:[0,1,0] op_sel_hi:[1,1,0]
	v_fma_mix_f32 v14, v50, v73, v14 op_sel_hi:[1,1,0]
	s_delay_alu instid0(VALU_DEP_2) | instskip(NEXT) | instid1(VALU_DEP_2)
	v_fma_mix_f32 v15, v88, v73, v15 op_sel_hi:[1,1,0]
	v_fma_mix_f32 v14, v51, v73, v14 op_sel:[0,1,0] op_sel_hi:[1,1,0]
	s_delay_alu instid0(VALU_DEP_2) | instskip(NEXT) | instid1(VALU_DEP_2)
	v_fma_mix_f32 v15, v89, v73, v15 op_sel:[0,1,0] op_sel_hi:[1,1,0]
	v_fma_mix_f32 v14, v52, v74, v14 op_sel_hi:[1,1,0]
	s_delay_alu instid0(VALU_DEP_2) | instskip(NEXT) | instid1(VALU_DEP_2)
	v_fma_mix_f32 v15, v90, v74, v15 op_sel_hi:[1,1,0]
	v_fma_mix_f32 v14, v53, v74, v14 op_sel:[0,1,0] op_sel_hi:[1,1,0]
	s_delay_alu instid0(VALU_DEP_2) | instskip(NEXT) | instid1(VALU_DEP_2)
	v_fma_mix_f32 v15, v91, v74, v15 op_sel:[0,1,0] op_sel_hi:[1,1,0]
	v_fma_mix_f32 v14, v54, v75, v14 op_sel_hi:[1,1,0]
	s_delay_alu instid0(VALU_DEP_2) | instskip(NEXT) | instid1(VALU_DEP_2)
	v_fma_mix_f32 v15, v92, v75, v15 op_sel_hi:[1,1,0]
	v_fma_mix_f32 v14, v65, v75, v14 op_sel:[0,1,0] op_sel_hi:[1,1,0]
	s_delay_alu instid0(VALU_DEP_2) | instskip(NEXT) | instid1(VALU_DEP_2)
	v_fma_mix_f32 v15, v93, v75, v15 op_sel:[0,1,0] op_sel_hi:[1,1,0]
	v_fma_mixlo_f16 v14, v14, v19, 0 op_sel_hi:[0,1,0]
	s_delay_alu instid0(VALU_DEP_2) | instskip(NEXT) | instid1(VALU_DEP_2)
	v_fma_mixlo_f16 v15, v15, v19, 0 op_sel:[0,1,0] op_sel_hi:[0,1,0]
	v_add_f16_e32 v70, v55, v14
	v_lshrrev_b32_e32 v14, 16, v55
	s_delay_alu instid0(VALU_DEP_1) | instskip(SKIP_2) | instid1(VALU_DEP_2)
	v_add_f16_e32 v71, v14, v15
	;; [unrolled: 30-line block ×3, first 2 shown]
	v_fma_mix_f32 v14, v48, v76, 0 op_sel_hi:[1,1,0]
	v_fma_mix_f32 v15, v66, v76, 0 op_sel_hi:[1,1,0]
	v_fma_mix_f32 v14, v49, v76, v14 op_sel:[0,1,0] op_sel_hi:[1,1,0]
	s_delay_alu instid0(VALU_DEP_2) | instskip(NEXT) | instid1(VALU_DEP_2)
	v_fma_mix_f32 v15, v67, v76, v15 op_sel:[0,1,0] op_sel_hi:[1,1,0]
	v_fma_mix_f32 v14, v50, v77, v14 op_sel_hi:[1,1,0]
	s_delay_alu instid0(VALU_DEP_2) | instskip(NEXT) | instid1(VALU_DEP_2)
	v_fma_mix_f32 v15, v88, v77, v15 op_sel_hi:[1,1,0]
	v_fma_mix_f32 v14, v51, v77, v14 op_sel:[0,1,0] op_sel_hi:[1,1,0]
	s_delay_alu instid0(VALU_DEP_2) | instskip(NEXT) | instid1(VALU_DEP_2)
	v_fma_mix_f32 v15, v89, v77, v15 op_sel:[0,1,0] op_sel_hi:[1,1,0]
	v_fma_mix_f32 v14, v52, v78, v14 op_sel_hi:[1,1,0]
	s_delay_alu instid0(VALU_DEP_2) | instskip(NEXT) | instid1(VALU_DEP_2)
	;; [unrolled: 6-line block ×3, first 2 shown]
	v_fma_mix_f32 v15, v92, v79, v15 op_sel_hi:[1,1,0]
	v_fma_mix_f32 v14, v65, v79, v14 op_sel:[0,1,0] op_sel_hi:[1,1,0]
	s_delay_alu instid0(VALU_DEP_2) | instskip(SKIP_3) | instid1(VALU_DEP_2)
	v_fma_mix_f32 v15, v93, v79, v15 op_sel:[0,1,0] op_sel_hi:[1,1,0]
	ds_load_b128 v[76:79], v27 offset:768
	v_fma_mixlo_f16 v14, v14, v19, 0 op_sel_hi:[0,1,0]
	v_fma_mixlo_f16 v15, v15, v19, 0 op_sel:[0,1,0] op_sel_hi:[0,1,0]
	v_add_f16_e32 v74, v57, v14
	v_lshrrev_b32_e32 v14, 16, v57
	s_delay_alu instid0(VALU_DEP_1) | instskip(SKIP_3) | instid1(VALU_DEP_2)
	v_add_f16_e32 v75, v14, v15
	s_wait_dscnt 0x0
	v_fma_mix_f32 v14, v20, v76, 0 op_sel_hi:[1,1,0]
	v_fma_mix_f32 v15, v40, v76, 0 op_sel_hi:[1,1,0]
	v_fma_mix_f32 v14, v21, v76, v14 op_sel:[0,1,0] op_sel_hi:[1,1,0]
	s_delay_alu instid0(VALU_DEP_2) | instskip(NEXT) | instid1(VALU_DEP_2)
	v_fma_mix_f32 v15, v41, v76, v15 op_sel:[0,1,0] op_sel_hi:[1,1,0]
	v_fma_mix_f32 v14, v34, v77, v14 op_sel_hi:[1,1,0]
	s_delay_alu instid0(VALU_DEP_2) | instskip(NEXT) | instid1(VALU_DEP_2)
	v_fma_mix_f32 v15, v42, v77, v15 op_sel_hi:[1,1,0]
	v_fma_mix_f32 v14, v35, v77, v14 op_sel:[0,1,0] op_sel_hi:[1,1,0]
	s_delay_alu instid0(VALU_DEP_2) | instskip(NEXT) | instid1(VALU_DEP_2)
	v_fma_mix_f32 v15, v43, v77, v15 op_sel:[0,1,0] op_sel_hi:[1,1,0]
	v_fma_mix_f32 v14, v36, v78, v14 op_sel_hi:[1,1,0]
	s_delay_alu instid0(VALU_DEP_2) | instskip(NEXT) | instid1(VALU_DEP_2)
	;; [unrolled: 6-line block ×3, first 2 shown]
	v_fma_mix_f32 v15, v46, v79, v15 op_sel_hi:[1,1,0]
	v_fma_mix_f32 v14, v39, v79, v14 op_sel:[0,1,0] op_sel_hi:[1,1,0]
	s_delay_alu instid0(VALU_DEP_2) | instskip(NEXT) | instid1(VALU_DEP_2)
	v_fma_mix_f32 v15, v47, v79, v15 op_sel:[0,1,0] op_sel_hi:[1,1,0]
	v_fma_mixlo_f16 v14, v14, v18, 0 op_sel_hi:[0,1,0]
	s_delay_alu instid0(VALU_DEP_2) | instskip(NEXT) | instid1(VALU_DEP_2)
	v_fma_mixlo_f16 v15, v15, v18, 0 op_sel:[0,1,0] op_sel_hi:[0,1,0]
	v_add_f16_e32 v80, v60, v14
	v_lshrrev_b32_e32 v14, 16, v60
	s_delay_alu instid0(VALU_DEP_1) | instskip(SKIP_2) | instid1(VALU_DEP_2)
	v_add_f16_e32 v81, v14, v15
	v_fma_mix_f32 v14, v48, v76, 0 op_sel_hi:[1,1,0]
	v_fma_mix_f32 v15, v66, v76, 0 op_sel_hi:[1,1,0]
	v_fma_mix_f32 v14, v49, v76, v14 op_sel:[0,1,0] op_sel_hi:[1,1,0]
	s_delay_alu instid0(VALU_DEP_2) | instskip(NEXT) | instid1(VALU_DEP_2)
	v_fma_mix_f32 v15, v67, v76, v15 op_sel:[0,1,0] op_sel_hi:[1,1,0]
	v_fma_mix_f32 v14, v50, v77, v14 op_sel_hi:[1,1,0]
	s_delay_alu instid0(VALU_DEP_2) | instskip(NEXT) | instid1(VALU_DEP_2)
	v_fma_mix_f32 v15, v88, v77, v15 op_sel_hi:[1,1,0]
	v_fma_mix_f32 v14, v51, v77, v14 op_sel:[0,1,0] op_sel_hi:[1,1,0]
	s_delay_alu instid0(VALU_DEP_2) | instskip(NEXT) | instid1(VALU_DEP_2)
	v_fma_mix_f32 v15, v89, v77, v15 op_sel:[0,1,0] op_sel_hi:[1,1,0]
	v_fma_mix_f32 v14, v52, v78, v14 op_sel_hi:[1,1,0]
	s_delay_alu instid0(VALU_DEP_2) | instskip(NEXT) | instid1(VALU_DEP_2)
	v_fma_mix_f32 v15, v90, v78, v15 op_sel_hi:[1,1,0]
	v_fma_mix_f32 v14, v53, v78, v14 op_sel:[0,1,0] op_sel_hi:[1,1,0]
	s_delay_alu instid0(VALU_DEP_2) | instskip(NEXT) | instid1(VALU_DEP_2)
	v_fma_mix_f32 v15, v91, v78, v15 op_sel:[0,1,0] op_sel_hi:[1,1,0]
	v_fma_mix_f32 v14, v54, v79, v14 op_sel_hi:[1,1,0]
	s_delay_alu instid0(VALU_DEP_2) | instskip(NEXT) | instid1(VALU_DEP_2)
	v_fma_mix_f32 v15, v92, v79, v15 op_sel_hi:[1,1,0]
	v_fma_mix_f32 v14, v65, v79, v14 op_sel:[0,1,0] op_sel_hi:[1,1,0]
	s_delay_alu instid0(VALU_DEP_2) | instskip(NEXT) | instid1(VALU_DEP_2)
	v_fma_mix_f32 v15, v93, v79, v15 op_sel:[0,1,0] op_sel_hi:[1,1,0]
	v_fma_mixlo_f16 v14, v14, v19, 0 op_sel_hi:[0,1,0]
	s_delay_alu instid0(VALU_DEP_2) | instskip(NEXT) | instid1(VALU_DEP_2)
	v_fma_mixlo_f16 v15, v15, v19, 0 op_sel:[0,1,0] op_sel_hi:[0,1,0]
	v_add_f16_e32 v82, v59, v14
	v_lshrrev_b32_e32 v14, 16, v59
	ds_load_b128 v[56:59], v27 offset:1024
	v_add_f16_e32 v83, v14, v15
	s_wait_dscnt 0x0
	v_fma_mix_f32 v14, v20, v56, 0 op_sel_hi:[1,1,0]
	v_fma_mix_f32 v15, v40, v56, 0 op_sel_hi:[1,1,0]
	s_delay_alu instid0(VALU_DEP_2) | instskip(NEXT) | instid1(VALU_DEP_2)
	v_fma_mix_f32 v14, v21, v56, v14 op_sel:[0,1,0] op_sel_hi:[1,1,0]
	v_fma_mix_f32 v15, v41, v56, v15 op_sel:[0,1,0] op_sel_hi:[1,1,0]
	s_delay_alu instid0(VALU_DEP_2) | instskip(NEXT) | instid1(VALU_DEP_2)
	v_fma_mix_f32 v14, v34, v57, v14 op_sel_hi:[1,1,0]
	v_fma_mix_f32 v15, v42, v57, v15 op_sel_hi:[1,1,0]
	s_delay_alu instid0(VALU_DEP_2) | instskip(NEXT) | instid1(VALU_DEP_2)
	v_fma_mix_f32 v14, v35, v57, v14 op_sel:[0,1,0] op_sel_hi:[1,1,0]
	v_fma_mix_f32 v15, v43, v57, v15 op_sel:[0,1,0] op_sel_hi:[1,1,0]
	s_delay_alu instid0(VALU_DEP_2) | instskip(NEXT) | instid1(VALU_DEP_2)
	;; [unrolled: 6-line block ×4, first 2 shown]
	v_fma_mixlo_f16 v14, v14, v18, 0 op_sel_hi:[0,1,0]
	v_fma_mixlo_f16 v15, v15, v18, 0 op_sel:[0,1,0] op_sel_hi:[0,1,0]
	s_delay_alu instid0(VALU_DEP_2) | instskip(SKIP_1) | instid1(VALU_DEP_1)
	v_add_f16_e32 v84, v62, v14
	v_lshrrev_b32_e32 v14, 16, v62
	v_add_f16_e32 v85, v14, v15
	v_fma_mix_f32 v14, v48, v56, 0 op_sel_hi:[1,1,0]
	v_fma_mix_f32 v15, v66, v56, 0 op_sel_hi:[1,1,0]
	s_delay_alu instid0(VALU_DEP_2) | instskip(NEXT) | instid1(VALU_DEP_2)
	v_fma_mix_f32 v14, v49, v56, v14 op_sel:[0,1,0] op_sel_hi:[1,1,0]
	v_fma_mix_f32 v15, v67, v56, v15 op_sel:[0,1,0] op_sel_hi:[1,1,0]
	s_delay_alu instid0(VALU_DEP_2) | instskip(NEXT) | instid1(VALU_DEP_2)
	v_fma_mix_f32 v14, v50, v57, v14 op_sel_hi:[1,1,0]
	v_fma_mix_f32 v15, v88, v57, v15 op_sel_hi:[1,1,0]
	s_delay_alu instid0(VALU_DEP_2) | instskip(NEXT) | instid1(VALU_DEP_2)
	v_fma_mix_f32 v14, v51, v57, v14 op_sel:[0,1,0] op_sel_hi:[1,1,0]
	v_fma_mix_f32 v15, v89, v57, v15 op_sel:[0,1,0] op_sel_hi:[1,1,0]
	s_delay_alu instid0(VALU_DEP_2) | instskip(NEXT) | instid1(VALU_DEP_2)
	;; [unrolled: 6-line block ×3, first 2 shown]
	v_fma_mix_f32 v14, v54, v59, v14 op_sel_hi:[1,1,0]
	v_fma_mix_f32 v15, v92, v59, v15 op_sel_hi:[1,1,0]
	s_delay_alu instid0(VALU_DEP_2) | instskip(NEXT) | instid1(VALU_DEP_2)
	v_fma_mix_f32 v14, v65, v59, v14 op_sel:[0,1,0] op_sel_hi:[1,1,0]
	v_fma_mix_f32 v15, v93, v59, v15 op_sel:[0,1,0] op_sel_hi:[1,1,0]
	ds_load_b128 v[56:59], v27 offset:1280
	v_fma_mixlo_f16 v14, v14, v19, 0 op_sel_hi:[0,1,0]
	v_fma_mixlo_f16 v15, v15, v19, 0 op_sel:[0,1,0] op_sel_hi:[0,1,0]
	s_delay_alu instid0(VALU_DEP_2) | instskip(SKIP_1) | instid1(VALU_DEP_1)
	v_add_f16_e32 v86, v61, v14
	v_lshrrev_b32_e32 v14, 16, v61
	v_add_f16_e32 v87, v14, v15
	s_wait_dscnt 0x0
	v_fma_mix_f32 v14, v20, v56, 0 op_sel_hi:[1,1,0]
	v_fma_mix_f32 v15, v40, v56, 0 op_sel_hi:[1,1,0]
	s_delay_alu instid0(VALU_DEP_2) | instskip(NEXT) | instid1(VALU_DEP_2)
	v_fma_mix_f32 v14, v21, v56, v14 op_sel:[0,1,0] op_sel_hi:[1,1,0]
	v_fma_mix_f32 v15, v41, v56, v15 op_sel:[0,1,0] op_sel_hi:[1,1,0]
	s_delay_alu instid0(VALU_DEP_2) | instskip(NEXT) | instid1(VALU_DEP_2)
	v_fma_mix_f32 v14, v34, v57, v14 op_sel_hi:[1,1,0]
	v_fma_mix_f32 v15, v42, v57, v15 op_sel_hi:[1,1,0]
	s_delay_alu instid0(VALU_DEP_2) | instskip(NEXT) | instid1(VALU_DEP_2)
	v_fma_mix_f32 v14, v35, v57, v14 op_sel:[0,1,0] op_sel_hi:[1,1,0]
	v_fma_mix_f32 v15, v43, v57, v15 op_sel:[0,1,0] op_sel_hi:[1,1,0]
	s_delay_alu instid0(VALU_DEP_2) | instskip(NEXT) | instid1(VALU_DEP_2)
	;; [unrolled: 6-line block ×4, first 2 shown]
	v_fma_mixlo_f16 v14, v14, v18, 0 op_sel_hi:[0,1,0]
	v_fma_mixlo_f16 v15, v15, v18, 0 op_sel:[0,1,0] op_sel_hi:[0,1,0]
	s_delay_alu instid0(VALU_DEP_2) | instskip(SKIP_1) | instid1(VALU_DEP_1)
	v_add_f16_e32 v76, v64, v14
	v_lshrrev_b32_e32 v14, 16, v64
	v_add_f16_e32 v77, v14, v15
	v_fma_mix_f32 v14, v48, v56, 0 op_sel_hi:[1,1,0]
	v_fma_mix_f32 v15, v66, v56, 0 op_sel_hi:[1,1,0]
	s_delay_alu instid0(VALU_DEP_2) | instskip(NEXT) | instid1(VALU_DEP_2)
	v_fma_mix_f32 v14, v49, v56, v14 op_sel:[0,1,0] op_sel_hi:[1,1,0]
	v_fma_mix_f32 v15, v67, v56, v15 op_sel:[0,1,0] op_sel_hi:[1,1,0]
	s_delay_alu instid0(VALU_DEP_2) | instskip(NEXT) | instid1(VALU_DEP_2)
	v_fma_mix_f32 v14, v50, v57, v14 op_sel_hi:[1,1,0]
	v_fma_mix_f32 v15, v88, v57, v15 op_sel_hi:[1,1,0]
	s_delay_alu instid0(VALU_DEP_2) | instskip(NEXT) | instid1(VALU_DEP_2)
	v_fma_mix_f32 v14, v51, v57, v14 op_sel:[0,1,0] op_sel_hi:[1,1,0]
	v_fma_mix_f32 v15, v89, v57, v15 op_sel:[0,1,0] op_sel_hi:[1,1,0]
	s_delay_alu instid0(VALU_DEP_2) | instskip(NEXT) | instid1(VALU_DEP_2)
	;; [unrolled: 6-line block ×3, first 2 shown]
	v_fma_mix_f32 v14, v54, v59, v14 op_sel_hi:[1,1,0]
	v_fma_mix_f32 v15, v92, v59, v15 op_sel_hi:[1,1,0]
	s_delay_alu instid0(VALU_DEP_2) | instskip(NEXT) | instid1(VALU_DEP_2)
	v_fma_mix_f32 v14, v65, v59, v14 op_sel:[0,1,0] op_sel_hi:[1,1,0]
	v_fma_mix_f32 v15, v93, v59, v15 op_sel:[0,1,0] op_sel_hi:[1,1,0]
	ds_load_b128 v[56:59], v27 offset:1536
	v_fma_mixlo_f16 v14, v14, v19, 0 op_sel_hi:[0,1,0]
	v_fma_mixlo_f16 v15, v15, v19, 0 op_sel:[0,1,0] op_sel_hi:[0,1,0]
	s_delay_alu instid0(VALU_DEP_2) | instskip(SKIP_1) | instid1(VALU_DEP_1)
	v_add_f16_e32 v78, v63, v14
	v_lshrrev_b32_e32 v14, 16, v63
	v_add_f16_e32 v79, v14, v15
	s_wait_dscnt 0x0
	v_fma_mix_f32 v14, v20, v56, 0 op_sel_hi:[1,1,0]
	v_fma_mix_f32 v15, v40, v56, 0 op_sel_hi:[1,1,0]
	s_delay_alu instid0(VALU_DEP_2) | instskip(NEXT) | instid1(VALU_DEP_2)
	v_fma_mix_f32 v14, v21, v56, v14 op_sel:[0,1,0] op_sel_hi:[1,1,0]
	v_fma_mix_f32 v15, v41, v56, v15 op_sel:[0,1,0] op_sel_hi:[1,1,0]
	s_delay_alu instid0(VALU_DEP_2) | instskip(NEXT) | instid1(VALU_DEP_2)
	v_fma_mix_f32 v14, v34, v57, v14 op_sel_hi:[1,1,0]
	v_fma_mix_f32 v15, v42, v57, v15 op_sel_hi:[1,1,0]
	s_delay_alu instid0(VALU_DEP_2) | instskip(NEXT) | instid1(VALU_DEP_2)
	v_fma_mix_f32 v14, v35, v57, v14 op_sel:[0,1,0] op_sel_hi:[1,1,0]
	v_fma_mix_f32 v15, v43, v57, v15 op_sel:[0,1,0] op_sel_hi:[1,1,0]
	s_delay_alu instid0(VALU_DEP_2) | instskip(NEXT) | instid1(VALU_DEP_2)
	;; [unrolled: 6-line block ×4, first 2 shown]
	v_fma_mixlo_f16 v14, v14, v18, 0 op_sel_hi:[0,1,0]
	v_fma_mixlo_f16 v15, v15, v18, 0 op_sel:[0,1,0] op_sel_hi:[0,1,0]
	s_delay_alu instid0(VALU_DEP_2) | instskip(SKIP_2) | instid1(VALU_DEP_2)
	v_add_f16_e32 v21, v32, v14
	v_lshrrev_b32_e32 v14, 16, v32
	v_fma_mix_f32 v32, v66, v56, 0 op_sel_hi:[1,1,0]
	v_add_f16_e32 v20, v14, v15
	v_fma_mix_f32 v14, v48, v56, 0 op_sel_hi:[1,1,0]
	s_delay_alu instid0(VALU_DEP_3) | instskip(NEXT) | instid1(VALU_DEP_2)
	v_fma_mix_f32 v32, v67, v56, v32 op_sel:[0,1,0] op_sel_hi:[1,1,0]
	v_fma_mix_f32 v14, v49, v56, v14 op_sel:[0,1,0] op_sel_hi:[1,1,0]
	s_delay_alu instid0(VALU_DEP_2) | instskip(NEXT) | instid1(VALU_DEP_2)
	v_fma_mix_f32 v32, v88, v57, v32 op_sel_hi:[1,1,0]
	v_fma_mix_f32 v14, v50, v57, v14 op_sel_hi:[1,1,0]
	s_delay_alu instid0(VALU_DEP_2) | instskip(NEXT) | instid1(VALU_DEP_2)
	v_fma_mix_f32 v32, v89, v57, v32 op_sel:[0,1,0] op_sel_hi:[1,1,0]
	v_fma_mix_f32 v14, v51, v57, v14 op_sel:[0,1,0] op_sel_hi:[1,1,0]
	s_delay_alu instid0(VALU_DEP_2) | instskip(NEXT) | instid1(VALU_DEP_2)
	v_fma_mix_f32 v32, v90, v58, v32 op_sel_hi:[1,1,0]
	v_fma_mix_f32 v14, v52, v58, v14 op_sel_hi:[1,1,0]
	s_delay_alu instid0(VALU_DEP_2) | instskip(NEXT) | instid1(VALU_DEP_2)
	;; [unrolled: 6-line block ×3, first 2 shown]
	v_fma_mix_f32 v32, v93, v59, v32 op_sel:[0,1,0] op_sel_hi:[1,1,0]
	v_fma_mix_f32 v14, v65, v59, v14 op_sel:[0,1,0] op_sel_hi:[1,1,0]
	s_delay_alu instid0(VALU_DEP_2) | instskip(NEXT) | instid1(VALU_DEP_2)
	v_fma_mixlo_f16 v32, v32, v19, 0 op_sel:[0,1,0] op_sel_hi:[0,1,0]
	v_fma_mixlo_f16 v14, v14, v19, 0 op_sel_hi:[0,1,0]
	s_delay_alu instid0(VALU_DEP_1) | instskip(SKIP_1) | instid1(VALU_DEP_1)
	v_add_f16_e32 v15, v33, v14
	v_lshrrev_b32_e32 v14, 16, v33
	v_add_f16_e32 v14, v14, v32
	global_load_b128 v[32:35], v[12:13], off
	s_wait_xcnt 0x0
	v_add_nc_u64_e32 v[12:13], s[6:7], v[12:13]
	global_load_b128 v[88:91], v[12:13], off
	s_wait_loadcnt 0x1
	v_and_b32_e32 v36, 0xff, v32
	s_delay_alu instid0(VALU_DEP_1) | instskip(NEXT) | instid1(VALU_DEP_1)
	v_sub_nc_u32_e32 v36, v36, v31
	v_cvt_f32_i32_e32 v36, v36
	s_delay_alu instid0(VALU_DEP_1) | instskip(SKIP_1) | instid1(VALU_DEP_1)
	v_cvt_f16_f32_e32 v47, v36
	v_bfe_u32 v36, v32, 8, 8
	v_sub_nc_u32_e32 v36, v36, v31
	s_delay_alu instid0(VALU_DEP_1) | instskip(NEXT) | instid1(VALU_DEP_1)
	v_cvt_f32_i32_e32 v36, v36
	v_cvt_f16_f32_e32 v50, v36
	v_bfe_u32 v36, v32, 16, 8
	s_delay_alu instid0(VALU_DEP_1) | instskip(NEXT) | instid1(VALU_DEP_1)
	v_dual_lshrrev_b32 v32, 24, v32 :: v_dual_sub_nc_u32 v36, v36, v31
	v_sub_nc_u32_e32 v32, v32, v31
	s_delay_alu instid0(VALU_DEP_2) | instskip(NEXT) | instid1(VALU_DEP_2)
	v_cvt_f32_i32_e32 v36, v36
	v_cvt_f32_i32_e32 v32, v32
	s_delay_alu instid0(VALU_DEP_2) | instskip(NEXT) | instid1(VALU_DEP_2)
	v_cvt_f16_f32_e32 v53, v36
	v_cvt_f16_f32_e32 v56, v32
	s_wait_loadcnt 0x0
	v_and_b32_e32 v32, 0xff, v88
	s_delay_alu instid0(VALU_DEP_1) | instskip(NEXT) | instid1(VALU_DEP_1)
	v_sub_nc_u32_e32 v32, v32, v31
	v_cvt_f32_i32_e32 v32, v32
	s_delay_alu instid0(VALU_DEP_1) | instskip(SKIP_1) | instid1(VALU_DEP_1)
	v_cvt_f16_f32_e32 v59, v32
	v_bfe_u32 v32, v88, 8, 8
	v_sub_nc_u32_e32 v32, v32, v31
	s_delay_alu instid0(VALU_DEP_1) | instskip(NEXT) | instid1(VALU_DEP_1)
	v_cvt_f32_i32_e32 v32, v32
	v_cvt_f16_f32_e32 v62, v32
	v_bfe_u32 v32, v88, 16, 8
	s_delay_alu instid0(VALU_DEP_1) | instskip(NEXT) | instid1(VALU_DEP_1)
	v_sub_nc_u32_e32 v32, v32, v31
	v_cvt_f32_i32_e32 v32, v32
	s_delay_alu instid0(VALU_DEP_1) | instskip(SKIP_1) | instid1(VALU_DEP_1)
	v_cvt_f16_f32_e32 v65, v32
	v_lshrrev_b32_e32 v32, 24, v88
	v_sub_nc_u32_e32 v32, v32, v31
	s_delay_alu instid0(VALU_DEP_1) | instskip(NEXT) | instid1(VALU_DEP_1)
	v_cvt_f32_i32_e32 v32, v32
	v_cvt_f16_f32_e32 v67, v32
	v_and_b32_e32 v32, 0xff, v33
	s_delay_alu instid0(VALU_DEP_1) | instskip(NEXT) | instid1(VALU_DEP_1)
	v_sub_nc_u32_e32 v32, v32, v30
	v_cvt_f32_i32_e32 v32, v32
	s_delay_alu instid0(VALU_DEP_1) | instskip(SKIP_1) | instid1(VALU_DEP_1)
	v_cvt_f16_f32_e32 v45, v32
	v_bfe_u32 v32, v33, 8, 8
	v_sub_nc_u32_e32 v32, v32, v30
	s_delay_alu instid0(VALU_DEP_1) | instskip(NEXT) | instid1(VALU_DEP_1)
	v_cvt_f32_i32_e32 v32, v32
	v_cvt_f16_f32_e32 v48, v32
	v_bfe_u32 v32, v33, 16, 8
	s_delay_alu instid0(VALU_DEP_1) | instskip(NEXT) | instid1(VALU_DEP_1)
	v_sub_nc_u32_e32 v32, v32, v30
	v_cvt_f32_i32_e32 v32, v32
	s_delay_alu instid0(VALU_DEP_1) | instskip(SKIP_1) | instid1(VALU_DEP_1)
	v_cvt_f16_f32_e32 v51, v32
	v_lshrrev_b32_e32 v32, 24, v33
	v_sub_nc_u32_e32 v32, v32, v30
	s_delay_alu instid0(VALU_DEP_1) | instskip(NEXT) | instid1(VALU_DEP_1)
	v_cvt_f32_i32_e32 v32, v32
	v_cvt_f16_f32_e32 v54, v32
	;; [unrolled: 22-line block ×7, first 2 shown]
	v_fma_mix_f32 v32, v47, v8, 0 op_sel_hi:[1,1,0]
	s_delay_alu instid0(VALU_DEP_1) | instskip(NEXT) | instid1(VALU_DEP_1)
	v_fma_mix_f32 v32, v50, v8, v32 op_sel:[0,1,0] op_sel_hi:[1,1,0]
	v_fma_mix_f32 v32, v53, v9, v32 op_sel_hi:[1,1,0]
	s_delay_alu instid0(VALU_DEP_1) | instskip(NEXT) | instid1(VALU_DEP_1)
	v_fma_mix_f32 v32, v56, v9, v32 op_sel:[0,1,0] op_sel_hi:[1,1,0]
	v_fma_mix_f32 v32, v59, v10, v32 op_sel_hi:[1,1,0]
	s_delay_alu instid0(VALU_DEP_1) | instskip(NEXT) | instid1(VALU_DEP_1)
	v_fma_mix_f32 v32, v62, v10, v32 op_sel:[0,1,0] op_sel_hi:[1,1,0]
	v_fma_mix_f32 v32, v65, v11, v32 op_sel_hi:[1,1,0]
	s_delay_alu instid0(VALU_DEP_1) | instskip(NEXT) | instid1(VALU_DEP_1)
	v_fma_mix_f32 v32, v67, v11, v32 op_sel:[0,1,0] op_sel_hi:[1,1,0]
	v_fma_mixlo_f16 v32, v32, v18, 0 op_sel_hi:[0,1,0]
	s_delay_alu instid0(VALU_DEP_1) | instskip(SKIP_1) | instid1(VALU_DEP_1)
	v_add_f16_e32 v35, v94, v32
	v_fma_mix_f32 v32, v45, v8, 0 op_sel_hi:[1,1,0]
	v_fma_mix_f32 v32, v48, v8, v32 op_sel:[0,1,0] op_sel_hi:[1,1,0]
	s_delay_alu instid0(VALU_DEP_1) | instskip(NEXT) | instid1(VALU_DEP_1)
	v_fma_mix_f32 v32, v51, v9, v32 op_sel_hi:[1,1,0]
	v_fma_mix_f32 v32, v54, v9, v32 op_sel:[0,1,0] op_sel_hi:[1,1,0]
	s_delay_alu instid0(VALU_DEP_1) | instskip(NEXT) | instid1(VALU_DEP_1)
	v_fma_mix_f32 v32, v57, v10, v32 op_sel_hi:[1,1,0]
	v_fma_mix_f32 v32, v60, v10, v32 op_sel:[0,1,0] op_sel_hi:[1,1,0]
	s_delay_alu instid0(VALU_DEP_1) | instskip(NEXT) | instid1(VALU_DEP_1)
	v_fma_mix_f32 v32, v63, v11, v32 op_sel_hi:[1,1,0]
	v_fma_mix_f32 v32, v66, v11, v32 op_sel:[0,1,0] op_sel_hi:[1,1,0]
	s_delay_alu instid0(VALU_DEP_1) | instskip(NEXT) | instid1(VALU_DEP_1)
	v_fma_mixlo_f16 v32, v32, v18, 0 op_sel:[0,1,0] op_sel_hi:[0,1,0]
	v_add_f16_e32 v34, v95, v32
	v_fma_mix_f32 v32, v43, v8, 0 op_sel_hi:[1,1,0]
	s_delay_alu instid0(VALU_DEP_1) | instskip(NEXT) | instid1(VALU_DEP_1)
	v_fma_mix_f32 v32, v46, v8, v32 op_sel:[0,1,0] op_sel_hi:[1,1,0]
	v_fma_mix_f32 v32, v49, v9, v32 op_sel_hi:[1,1,0]
	s_delay_alu instid0(VALU_DEP_1) | instskip(NEXT) | instid1(VALU_DEP_1)
	v_fma_mix_f32 v32, v52, v9, v32 op_sel:[0,1,0] op_sel_hi:[1,1,0]
	v_fma_mix_f32 v32, v55, v10, v32 op_sel_hi:[1,1,0]
	s_delay_alu instid0(VALU_DEP_1) | instskip(NEXT) | instid1(VALU_DEP_1)
	v_fma_mix_f32 v32, v58, v10, v32 op_sel:[0,1,0] op_sel_hi:[1,1,0]
	v_fma_mix_f32 v32, v61, v11, v32 op_sel_hi:[1,1,0]
	s_delay_alu instid0(VALU_DEP_1) | instskip(NEXT) | instid1(VALU_DEP_1)
	v_fma_mix_f32 v32, v64, v11, v32 op_sel:[0,1,0] op_sel_hi:[1,1,0]
	v_fma_mixlo_f16 v32, v32, v19, 0 op_sel_hi:[0,1,0]
	s_delay_alu instid0(VALU_DEP_1) | instskip(SKIP_1) | instid1(VALU_DEP_1)
	v_add_f16_e32 v33, v96, v32
	v_fma_mix_f32 v32, v42, v8, 0 op_sel_hi:[1,1,0]
	v_fma_mix_f32 v8, v44, v8, v32 op_sel:[0,1,0] op_sel_hi:[1,1,0]
	s_delay_alu instid0(VALU_DEP_1) | instskip(NEXT) | instid1(VALU_DEP_1)
	v_fma_mix_f32 v8, v41, v9, v8 op_sel_hi:[1,1,0]
	v_fma_mix_f32 v8, v40, v9, v8 op_sel:[0,1,0] op_sel_hi:[1,1,0]
	s_delay_alu instid0(VALU_DEP_1) | instskip(NEXT) | instid1(VALU_DEP_1)
	v_fma_mix_f32 v8, v39, v10, v8 op_sel_hi:[1,1,0]
	v_fma_mix_f32 v8, v38, v10, v8 op_sel:[0,1,0] op_sel_hi:[1,1,0]
	s_delay_alu instid0(VALU_DEP_1) | instskip(NEXT) | instid1(VALU_DEP_1)
	v_fma_mix_f32 v8, v36, v11, v8 op_sel_hi:[1,1,0]
	v_fma_mix_f32 v8, v37, v11, v8 op_sel:[0,1,0] op_sel_hi:[1,1,0]
	s_delay_alu instid0(VALU_DEP_1) | instskip(NEXT) | instid1(VALU_DEP_1)
	v_fma_mixlo_f16 v8, v8, v19, 0 op_sel:[0,1,0] op_sel_hi:[0,1,0]
	v_add_f16_e32 v32, v97, v8
	ds_load_b128 v[8:11], v27 offset:272
	s_wait_dscnt 0x0
	v_fma_mix_f32 v88, v47, v8, 0 op_sel_hi:[1,1,0]
	s_delay_alu instid0(VALU_DEP_1) | instskip(NEXT) | instid1(VALU_DEP_1)
	v_fma_mix_f32 v88, v50, v8, v88 op_sel:[0,1,0] op_sel_hi:[1,1,0]
	v_fma_mix_f32 v88, v53, v9, v88 op_sel_hi:[1,1,0]
	s_delay_alu instid0(VALU_DEP_1) | instskip(NEXT) | instid1(VALU_DEP_1)
	v_fma_mix_f32 v88, v56, v9, v88 op_sel:[0,1,0] op_sel_hi:[1,1,0]
	v_fma_mix_f32 v88, v59, v10, v88 op_sel_hi:[1,1,0]
	s_delay_alu instid0(VALU_DEP_1) | instskip(NEXT) | instid1(VALU_DEP_1)
	v_fma_mix_f32 v88, v62, v10, v88 op_sel:[0,1,0] op_sel_hi:[1,1,0]
	v_fma_mix_f32 v88, v65, v11, v88 op_sel_hi:[1,1,0]
	s_delay_alu instid0(VALU_DEP_1) | instskip(NEXT) | instid1(VALU_DEP_1)
	v_fma_mix_f32 v88, v67, v11, v88 op_sel:[0,1,0] op_sel_hi:[1,1,0]
	v_fma_mixlo_f16 v88, v88, v18, 0 op_sel_hi:[0,1,0]
	s_delay_alu instid0(VALU_DEP_1) | instskip(SKIP_1) | instid1(VALU_DEP_1)
	v_add_f16_e32 v68, v68, v88
	v_fma_mix_f32 v88, v45, v8, 0 op_sel_hi:[1,1,0]
	v_fma_mix_f32 v88, v48, v8, v88 op_sel:[0,1,0] op_sel_hi:[1,1,0]
	s_delay_alu instid0(VALU_DEP_1) | instskip(NEXT) | instid1(VALU_DEP_1)
	v_fma_mix_f32 v88, v51, v9, v88 op_sel_hi:[1,1,0]
	v_fma_mix_f32 v88, v54, v9, v88 op_sel:[0,1,0] op_sel_hi:[1,1,0]
	s_delay_alu instid0(VALU_DEP_1) | instskip(NEXT) | instid1(VALU_DEP_1)
	v_fma_mix_f32 v88, v57, v10, v88 op_sel_hi:[1,1,0]
	v_fma_mix_f32 v88, v60, v10, v88 op_sel:[0,1,0] op_sel_hi:[1,1,0]
	s_delay_alu instid0(VALU_DEP_1) | instskip(NEXT) | instid1(VALU_DEP_1)
	v_fma_mix_f32 v88, v63, v11, v88 op_sel_hi:[1,1,0]
	v_fma_mix_f32 v88, v66, v11, v88 op_sel:[0,1,0] op_sel_hi:[1,1,0]
	s_delay_alu instid0(VALU_DEP_1) | instskip(NEXT) | instid1(VALU_DEP_1)
	v_fma_mixlo_f16 v88, v88, v18, 0 op_sel:[0,1,0] op_sel_hi:[0,1,0]
	v_add_f16_e32 v69, v69, v88
	v_fma_mix_f32 v88, v43, v8, 0 op_sel_hi:[1,1,0]
	s_delay_alu instid0(VALU_DEP_1) | instskip(NEXT) | instid1(VALU_DEP_1)
	v_fma_mix_f32 v88, v46, v8, v88 op_sel:[0,1,0] op_sel_hi:[1,1,0]
	v_fma_mix_f32 v88, v49, v9, v88 op_sel_hi:[1,1,0]
	s_delay_alu instid0(VALU_DEP_1) | instskip(NEXT) | instid1(VALU_DEP_1)
	v_fma_mix_f32 v88, v52, v9, v88 op_sel:[0,1,0] op_sel_hi:[1,1,0]
	v_fma_mix_f32 v88, v55, v10, v88 op_sel_hi:[1,1,0]
	s_delay_alu instid0(VALU_DEP_1) | instskip(NEXT) | instid1(VALU_DEP_1)
	v_fma_mix_f32 v88, v58, v10, v88 op_sel:[0,1,0] op_sel_hi:[1,1,0]
	v_fma_mix_f32 v88, v61, v11, v88 op_sel_hi:[1,1,0]
	s_delay_alu instid0(VALU_DEP_1) | instskip(NEXT) | instid1(VALU_DEP_1)
	v_fma_mix_f32 v88, v64, v11, v88 op_sel:[0,1,0] op_sel_hi:[1,1,0]
	v_fma_mixlo_f16 v88, v88, v19, 0 op_sel_hi:[0,1,0]
	s_delay_alu instid0(VALU_DEP_1) | instskip(SKIP_1) | instid1(VALU_DEP_1)
	v_add_f16_e32 v70, v70, v88
	v_fma_mix_f32 v88, v42, v8, 0 op_sel_hi:[1,1,0]
	v_fma_mix_f32 v8, v44, v8, v88 op_sel:[0,1,0] op_sel_hi:[1,1,0]
	s_delay_alu instid0(VALU_DEP_1) | instskip(NEXT) | instid1(VALU_DEP_1)
	v_fma_mix_f32 v8, v41, v9, v8 op_sel_hi:[1,1,0]
	v_fma_mix_f32 v8, v40, v9, v8 op_sel:[0,1,0] op_sel_hi:[1,1,0]
	s_delay_alu instid0(VALU_DEP_1) | instskip(NEXT) | instid1(VALU_DEP_1)
	v_fma_mix_f32 v8, v39, v10, v8 op_sel_hi:[1,1,0]
	v_fma_mix_f32 v8, v38, v10, v8 op_sel:[0,1,0] op_sel_hi:[1,1,0]
	s_delay_alu instid0(VALU_DEP_1) | instskip(NEXT) | instid1(VALU_DEP_1)
	v_fma_mix_f32 v8, v36, v11, v8 op_sel_hi:[1,1,0]
	v_fma_mix_f32 v8, v37, v11, v8 op_sel:[0,1,0] op_sel_hi:[1,1,0]
	s_delay_alu instid0(VALU_DEP_1) | instskip(NEXT) | instid1(VALU_DEP_1)
	v_fma_mixlo_f16 v8, v8, v19, 0 op_sel:[0,1,0] op_sel_hi:[0,1,0]
	v_add_f16_e32 v71, v71, v8
	ds_load_b128 v[8:11], v27 offset:528
	s_wait_dscnt 0x0
	;; [unrolled: 60-line block ×6, first 2 shown]
	v_fma_mix_f32 v47, v47, v8, 0 op_sel_hi:[1,1,0]
	s_delay_alu instid0(VALU_DEP_1) | instskip(NEXT) | instid1(VALU_DEP_1)
	v_fma_mix_f32 v47, v50, v8, v47 op_sel:[0,1,0] op_sel_hi:[1,1,0]
	v_fma_mix_f32 v47, v53, v9, v47 op_sel_hi:[1,1,0]
	s_delay_alu instid0(VALU_DEP_1) | instskip(NEXT) | instid1(VALU_DEP_1)
	v_fma_mix_f32 v47, v56, v9, v47 op_sel:[0,1,0] op_sel_hi:[1,1,0]
	;; [unrolled: 3-line block ×4, first 2 shown]
	v_fma_mixlo_f16 v47, v47, v18, 0 op_sel_hi:[0,1,0]
	s_delay_alu instid0(VALU_DEP_1) | instskip(SKIP_1) | instid1(VALU_DEP_1)
	v_add_f16_e32 v47, v21, v47
	v_fma_mix_f32 v21, v45, v8, 0 op_sel_hi:[1,1,0]
	v_fma_mix_f32 v21, v48, v8, v21 op_sel:[0,1,0] op_sel_hi:[1,1,0]
	s_delay_alu instid0(VALU_DEP_1) | instskip(NEXT) | instid1(VALU_DEP_1)
	v_fma_mix_f32 v21, v51, v9, v21 op_sel_hi:[1,1,0]
	v_fma_mix_f32 v21, v54, v9, v21 op_sel:[0,1,0] op_sel_hi:[1,1,0]
	s_delay_alu instid0(VALU_DEP_1) | instskip(NEXT) | instid1(VALU_DEP_1)
	;; [unrolled: 3-line block ×4, first 2 shown]
	v_fma_mixlo_f16 v21, v21, v18, 0 op_sel:[0,1,0] op_sel_hi:[0,1,0]
	v_add_f16_e32 v45, v20, v21
	v_fma_mix_f32 v20, v43, v8, 0 op_sel_hi:[1,1,0]
	s_delay_alu instid0(VALU_DEP_1) | instskip(NEXT) | instid1(VALU_DEP_1)
	v_fma_mix_f32 v20, v46, v8, v20 op_sel:[0,1,0] op_sel_hi:[1,1,0]
	v_fma_mix_f32 v20, v49, v9, v20 op_sel_hi:[1,1,0]
	s_delay_alu instid0(VALU_DEP_1) | instskip(NEXT) | instid1(VALU_DEP_1)
	v_fma_mix_f32 v20, v52, v9, v20 op_sel:[0,1,0] op_sel_hi:[1,1,0]
	;; [unrolled: 3-line block ×4, first 2 shown]
	v_fma_mixlo_f16 v20, v20, v19, 0 op_sel_hi:[0,1,0]
	s_delay_alu instid0(VALU_DEP_1) | instskip(SKIP_1) | instid1(VALU_DEP_1)
	v_add_f16_e32 v43, v15, v20
	v_fma_mix_f32 v15, v42, v8, 0 op_sel_hi:[1,1,0]
	v_fma_mix_f32 v8, v44, v8, v15 op_sel:[0,1,0] op_sel_hi:[1,1,0]
	s_delay_alu instid0(VALU_DEP_1) | instskip(NEXT) | instid1(VALU_DEP_1)
	v_fma_mix_f32 v8, v41, v9, v8 op_sel_hi:[1,1,0]
	v_fma_mix_f32 v8, v40, v9, v8 op_sel:[0,1,0] op_sel_hi:[1,1,0]
	s_delay_alu instid0(VALU_DEP_1) | instskip(NEXT) | instid1(VALU_DEP_1)
	;; [unrolled: 3-line block ×4, first 2 shown]
	v_fma_mixlo_f16 v8, v8, v19, 0 op_sel:[0,1,0] op_sel_hi:[0,1,0]
	v_add_f16_e32 v36, v14, v8
	v_add_nc_u64_e32 v[8:9], s[6:7], v[12:13]
	s_delay_alu instid0(VALU_DEP_1)
	v_add_nc_u64_e32 v[20:21], s[6:7], v[8:9]
	s_clause 0x1
	global_load_b128 v[12:15], v[8:9], off
	global_load_b128 v[8:11], v[20:21], off
	s_wait_loadcnt 0x1
	v_and_b32_e32 v37, 0xff, v12
	v_bfe_u32 v38, v12, 8, 8
	v_bfe_u32 v39, v12, 16, 8
	v_lshrrev_b32_e32 v12, 24, v12
	v_and_b32_e32 v44, 0xff, v13
	v_sub_nc_u32_e32 v37, v37, v31
	s_wait_loadcnt 0x0
	v_and_b32_e32 v55, 0xff, v10
	v_dual_sub_nc_u32 v38, v38, v31 :: v_dual_sub_nc_u32 v39, v39, v31
	v_sub_nc_u32_e32 v12, v12, v31
	v_cvt_f32_i32_e32 v37, v37
	s_delay_alu instid0(VALU_DEP_4) | instskip(NEXT) | instid1(VALU_DEP_4)
	v_sub_nc_u32_e32 v55, v55, v29
	v_cvt_f32_i32_e32 v38, v38
	v_cvt_f32_i32_e32 v39, v39
	v_and_b32_e32 v40, 0xff, v8
	v_cvt_f16_f32_e32 v37, v37
	v_cvt_f32_i32_e32 v55, v55
	v_cvt_f16_f32_e32 v38, v38
	v_cvt_f16_f32_e32 v39, v39
	v_cvt_f32_i32_e32 v12, v12
	v_sub_nc_u32_e32 v40, v40, v31
	v_cvt_f16_f32_e32 v90, v55
	v_bfe_u32 v55, v10, 8, 8
	v_bfe_u32 v41, v8, 8, 8
	v_cvt_f16_f32_e32 v12, v12
	v_cvt_f32_i32_e32 v40, v40
	v_bfe_u32 v42, v8, 16, 8
	s_delay_alu instid0(VALU_DEP_4) | instskip(SKIP_1) | instid1(VALU_DEP_4)
	v_dual_sub_nc_u32 v55, v55, v29 :: v_dual_sub_nc_u32 v41, v41, v31
	v_lshrrev_b32_e32 v8, 24, v8
	v_cvt_f16_f32_e32 v40, v40
	s_delay_alu instid0(VALU_DEP_4) | instskip(NEXT) | instid1(VALU_DEP_4)
	v_sub_nc_u32_e32 v42, v42, v31
	v_cvt_f32_i32_e32 v55, v55
	v_cvt_f32_i32_e32 v41, v41
	v_sub_nc_u32_e32 v8, v8, v31
	v_sub_nc_u32_e32 v44, v44, v30
	v_cvt_f32_i32_e32 v42, v42
	v_cvt_f16_f32_e32 v91, v55
	v_bfe_u32 v55, v10, 16, 8
	v_lshrrev_b32_e32 v10, 24, v10
	v_cvt_f16_f32_e32 v41, v41
	v_cvt_f16_f32_e32 v42, v42
	v_cvt_f32_i32_e32 v8, v8
	v_bfe_u32 v46, v13, 8, 8
	v_sub_nc_u32_e32 v10, v10, v29
	v_cvt_f32_i32_e32 v44, v44
	v_bfe_u32 v48, v13, 16, 8
	v_cvt_f16_f32_e32 v8, v8
	v_sub_nc_u32_e32 v46, v46, v30
	v_cvt_f32_i32_e32 v10, v10
	v_cvt_f16_f32_e32 v44, v44
	v_dual_sub_nc_u32 v48, v48, v30 :: v_dual_lshrrev_b32 v13, 24, v13
	s_delay_alu instid0(VALU_DEP_4) | instskip(NEXT) | instid1(VALU_DEP_4)
	v_cvt_f32_i32_e32 v46, v46
	v_cvt_f16_f32_e32 v93, v10
	v_and_b32_e32 v10, 0xff, v15
	s_delay_alu instid0(VALU_DEP_4)
	v_cvt_f32_i32_e32 v48, v48
	v_sub_nc_u32_e32 v13, v13, v30
	v_cvt_f16_f32_e32 v46, v46
	v_and_b32_e32 v49, 0xff, v9
	v_sub_nc_u32_e32 v10, v10, v28
	v_cvt_f16_f32_e32 v48, v48
	v_cvt_f32_i32_e32 v13, v13
	v_bfe_u32 v50, v9, 8, 8
	v_sub_nc_u32_e32 v49, v49, v30
	v_cvt_f32_i32_e32 v10, v10
	v_bfe_u32 v51, v9, 16, 8
	v_cvt_f16_f32_e32 v13, v13
	v_sub_nc_u32_e32 v50, v50, v30
	v_cvt_f32_i32_e32 v49, v49
	v_cvt_f16_f32_e32 v94, v10
	v_bfe_u32 v10, v15, 8, 8
	v_sub_nc_u32_e32 v51, v51, v30
	v_cvt_f32_i32_e32 v50, v50
	v_cvt_f16_f32_e32 v49, v49
	s_delay_alu instid0(VALU_DEP_4) | instskip(NEXT) | instid1(VALU_DEP_4)
	v_dual_lshrrev_b32 v9, 24, v9 :: v_dual_sub_nc_u32 v10, v10, v28
	v_cvt_f32_i32_e32 v51, v51
	s_delay_alu instid0(VALU_DEP_4) | instskip(SKIP_1) | instid1(VALU_DEP_4)
	v_cvt_f16_f32_e32 v50, v50
	v_and_b32_e32 v52, 0xff, v14
	v_sub_nc_u32_e32 v9, v9, v30
	v_cvt_f32_i32_e32 v10, v10
	v_cvt_f16_f32_e32 v51, v51
	v_bfe_u32 v53, v14, 8, 8
	v_sub_nc_u32_e32 v52, v52, v29
	v_cvt_f32_i32_e32 v9, v9
	v_cvt_f16_f32_e32 v95, v10
	v_bfe_u32 v10, v15, 16, 8
	;; [unrolled: 4-line block ×3, first 2 shown]
	v_sub_nc_u32_e32 v10, v10, v28
	v_cvt_f32_i32_e32 v53, v53
	v_cvt_f16_f32_e32 v52, v52
	s_delay_alu instid0(VALU_DEP_4) | instskip(NEXT) | instid1(VALU_DEP_4)
	v_dual_lshrrev_b32 v14, 24, v14 :: v_dual_sub_nc_u32 v54, v54, v29
	v_cvt_f32_i32_e32 v10, v10
	s_delay_alu instid0(VALU_DEP_4) | instskip(NEXT) | instid1(VALU_DEP_3)
	v_cvt_f16_f32_e32 v53, v53
	v_dual_sub_nc_u32 v55, v55, v29 :: v_dual_sub_nc_u32 v14, v14, v29
	s_delay_alu instid0(VALU_DEP_4) | instskip(NEXT) | instid1(VALU_DEP_4)
	v_cvt_f32_i32_e32 v54, v54
	v_cvt_f16_f32_e32 v96, v10
	v_lshrrev_b32_e32 v10, 24, v15
	s_delay_alu instid0(VALU_DEP_4) | instskip(SKIP_2) | instid1(VALU_DEP_4)
	v_cvt_f32_i32_e32 v55, v55
	v_cvt_f32_i32_e32 v14, v14
	v_cvt_f16_f32_e32 v54, v54
	v_sub_nc_u32_e32 v10, v10, v28
	s_delay_alu instid0(VALU_DEP_4) | instskip(NEXT) | instid1(VALU_DEP_4)
	v_cvt_f16_f32_e32 v92, v55
	v_cvt_f16_f32_e32 v14, v14
	s_delay_alu instid0(VALU_DEP_3) | instskip(NEXT) | instid1(VALU_DEP_1)
	v_cvt_f32_i32_e32 v10, v10
	v_cvt_f16_f32_e32 v15, v10
	v_and_b32_e32 v10, 0xff, v11
	s_delay_alu instid0(VALU_DEP_1) | instskip(NEXT) | instid1(VALU_DEP_1)
	v_sub_nc_u32_e32 v10, v10, v28
	v_cvt_f32_i32_e32 v10, v10
	s_delay_alu instid0(VALU_DEP_1) | instskip(SKIP_1) | instid1(VALU_DEP_1)
	v_cvt_f16_f32_e32 v97, v10
	v_bfe_u32 v10, v11, 8, 8
	v_sub_nc_u32_e32 v10, v10, v28
	s_delay_alu instid0(VALU_DEP_1) | instskip(NEXT) | instid1(VALU_DEP_1)
	v_cvt_f32_i32_e32 v10, v10
	v_cvt_f16_f32_e32 v98, v10
	v_bfe_u32 v10, v11, 16, 8
	s_delay_alu instid0(VALU_DEP_1) | instskip(NEXT) | instid1(VALU_DEP_1)
	v_sub_nc_u32_e32 v10, v10, v28
	v_cvt_f32_i32_e32 v10, v10
	s_delay_alu instid0(VALU_DEP_1) | instskip(SKIP_1) | instid1(VALU_DEP_1)
	v_cvt_f16_f32_e32 v99, v10
	v_lshrrev_b32_e32 v10, 24, v11
	v_sub_nc_u32_e32 v10, v10, v28
	s_delay_alu instid0(VALU_DEP_1) | instskip(NEXT) | instid1(VALU_DEP_1)
	v_cvt_f32_i32_e32 v10, v10
	v_cvt_f16_f32_e32 v11, v10
	v_fma_mix_f32 v10, v37, v4, 0 op_sel_hi:[1,1,0]
	s_delay_alu instid0(VALU_DEP_1) | instskip(NEXT) | instid1(VALU_DEP_1)
	v_fma_mix_f32 v10, v38, v4, v10 op_sel:[0,1,0] op_sel_hi:[1,1,0]
	v_fma_mix_f32 v10, v39, v5, v10 op_sel_hi:[1,1,0]
	s_delay_alu instid0(VALU_DEP_1) | instskip(NEXT) | instid1(VALU_DEP_1)
	v_fma_mix_f32 v10, v12, v5, v10 op_sel:[0,1,0] op_sel_hi:[1,1,0]
	v_fma_mix_f32 v10, v40, v6, v10 op_sel_hi:[1,1,0]
	s_delay_alu instid0(VALU_DEP_1) | instskip(NEXT) | instid1(VALU_DEP_1)
	v_fma_mix_f32 v10, v41, v6, v10 op_sel:[0,1,0] op_sel_hi:[1,1,0]
	v_fma_mix_f32 v10, v42, v7, v10 op_sel_hi:[1,1,0]
	s_delay_alu instid0(VALU_DEP_1) | instskip(NEXT) | instid1(VALU_DEP_1)
	v_fma_mix_f32 v10, v8, v7, v10 op_sel:[0,1,0] op_sel_hi:[1,1,0]
	v_fma_mixlo_f16 v10, v10, v18, 0 op_sel_hi:[0,1,0]
	s_delay_alu instid0(VALU_DEP_1) | instskip(SKIP_1) | instid1(VALU_DEP_1)
	v_add_f16_e32 v100, v35, v10
	v_fma_mix_f32 v10, v44, v4, 0 op_sel_hi:[1,1,0]
	v_fma_mix_f32 v10, v46, v4, v10 op_sel:[0,1,0] op_sel_hi:[1,1,0]
	s_delay_alu instid0(VALU_DEP_1) | instskip(NEXT) | instid1(VALU_DEP_1)
	v_fma_mix_f32 v10, v48, v5, v10 op_sel_hi:[1,1,0]
	v_fma_mix_f32 v10, v13, v5, v10 op_sel:[0,1,0] op_sel_hi:[1,1,0]
	s_delay_alu instid0(VALU_DEP_1) | instskip(NEXT) | instid1(VALU_DEP_1)
	v_fma_mix_f32 v10, v49, v6, v10 op_sel_hi:[1,1,0]
	v_fma_mix_f32 v10, v50, v6, v10 op_sel:[0,1,0] op_sel_hi:[1,1,0]
	s_delay_alu instid0(VALU_DEP_1) | instskip(NEXT) | instid1(VALU_DEP_1)
	v_fma_mix_f32 v10, v51, v7, v10 op_sel_hi:[1,1,0]
	v_fma_mix_f32 v10, v9, v7, v10 op_sel:[0,1,0] op_sel_hi:[1,1,0]
	s_delay_alu instid0(VALU_DEP_1) | instskip(NEXT) | instid1(VALU_DEP_1)
	v_fma_mixlo_f16 v10, v10, v18, 0 op_sel:[0,1,0] op_sel_hi:[0,1,0]
	v_add_f16_e32 v101, v34, v10
	v_fma_mix_f32 v10, v52, v4, 0 op_sel_hi:[1,1,0]
	s_delay_alu instid0(VALU_DEP_1) | instskip(NEXT) | instid1(VALU_DEP_1)
	v_fma_mix_f32 v10, v53, v4, v10 op_sel:[0,1,0] op_sel_hi:[1,1,0]
	v_fma_mix_f32 v10, v54, v5, v10 op_sel_hi:[1,1,0]
	s_delay_alu instid0(VALU_DEP_1) | instskip(NEXT) | instid1(VALU_DEP_1)
	v_fma_mix_f32 v10, v14, v5, v10 op_sel:[0,1,0] op_sel_hi:[1,1,0]
	v_fma_mix_f32 v10, v90, v6, v10 op_sel_hi:[1,1,0]
	s_delay_alu instid0(VALU_DEP_1) | instskip(NEXT) | instid1(VALU_DEP_1)
	v_fma_mix_f32 v10, v91, v6, v10 op_sel:[0,1,0] op_sel_hi:[1,1,0]
	v_fma_mix_f32 v10, v92, v7, v10 op_sel_hi:[1,1,0]
	s_delay_alu instid0(VALU_DEP_1) | instskip(NEXT) | instid1(VALU_DEP_1)
	v_fma_mix_f32 v10, v93, v7, v10 op_sel:[0,1,0] op_sel_hi:[1,1,0]
	v_fma_mixlo_f16 v10, v10, v19, 0 op_sel_hi:[0,1,0]
	s_delay_alu instid0(VALU_DEP_1) | instskip(SKIP_1) | instid1(VALU_DEP_1)
	v_add_f16_e32 v102, v33, v10
	v_fma_mix_f32 v10, v94, v4, 0 op_sel_hi:[1,1,0]
	v_fma_mix_f32 v4, v95, v4, v10 op_sel:[0,1,0] op_sel_hi:[1,1,0]
	s_delay_alu instid0(VALU_DEP_1) | instskip(NEXT) | instid1(VALU_DEP_1)
	v_fma_mix_f32 v4, v96, v5, v4 op_sel_hi:[1,1,0]
	v_fma_mix_f32 v4, v15, v5, v4 op_sel:[0,1,0] op_sel_hi:[1,1,0]
	s_delay_alu instid0(VALU_DEP_1) | instskip(NEXT) | instid1(VALU_DEP_1)
	v_fma_mix_f32 v4, v97, v6, v4 op_sel_hi:[1,1,0]
	v_fma_mix_f32 v4, v98, v6, v4 op_sel:[0,1,0] op_sel_hi:[1,1,0]
	s_delay_alu instid0(VALU_DEP_1) | instskip(NEXT) | instid1(VALU_DEP_1)
	v_fma_mix_f32 v4, v99, v7, v4 op_sel_hi:[1,1,0]
	v_fma_mix_f32 v4, v11, v7, v4 op_sel:[0,1,0] op_sel_hi:[1,1,0]
	s_delay_alu instid0(VALU_DEP_1) | instskip(NEXT) | instid1(VALU_DEP_1)
	v_fma_mixlo_f16 v4, v4, v19, 0 op_sel:[0,1,0] op_sel_hi:[0,1,0]
	v_add_f16_e32 v103, v32, v4
	ds_load_b128 v[4:7], v27 offset:288
	s_wait_dscnt 0x0
	v_fma_mix_f32 v10, v37, v4, 0 op_sel_hi:[1,1,0]
	s_delay_alu instid0(VALU_DEP_1) | instskip(NEXT) | instid1(VALU_DEP_1)
	v_fma_mix_f32 v10, v38, v4, v10 op_sel:[0,1,0] op_sel_hi:[1,1,0]
	v_fma_mix_f32 v10, v39, v5, v10 op_sel_hi:[1,1,0]
	s_delay_alu instid0(VALU_DEP_1) | instskip(NEXT) | instid1(VALU_DEP_1)
	v_fma_mix_f32 v10, v12, v5, v10 op_sel:[0,1,0] op_sel_hi:[1,1,0]
	v_fma_mix_f32 v10, v40, v6, v10 op_sel_hi:[1,1,0]
	s_delay_alu instid0(VALU_DEP_1) | instskip(NEXT) | instid1(VALU_DEP_1)
	v_fma_mix_f32 v10, v41, v6, v10 op_sel:[0,1,0] op_sel_hi:[1,1,0]
	v_fma_mix_f32 v10, v42, v7, v10 op_sel_hi:[1,1,0]
	s_delay_alu instid0(VALU_DEP_1) | instskip(NEXT) | instid1(VALU_DEP_1)
	v_fma_mix_f32 v10, v8, v7, v10 op_sel:[0,1,0] op_sel_hi:[1,1,0]
	v_fma_mixlo_f16 v10, v10, v18, 0 op_sel_hi:[0,1,0]
	s_delay_alu instid0(VALU_DEP_1) | instskip(SKIP_1) | instid1(VALU_DEP_1)
	v_add_f16_e32 v56, v68, v10
	v_fma_mix_f32 v10, v44, v4, 0 op_sel_hi:[1,1,0]
	v_fma_mix_f32 v10, v46, v4, v10 op_sel:[0,1,0] op_sel_hi:[1,1,0]
	s_delay_alu instid0(VALU_DEP_1) | instskip(NEXT) | instid1(VALU_DEP_1)
	v_fma_mix_f32 v10, v48, v5, v10 op_sel_hi:[1,1,0]
	v_fma_mix_f32 v10, v13, v5, v10 op_sel:[0,1,0] op_sel_hi:[1,1,0]
	s_delay_alu instid0(VALU_DEP_1) | instskip(NEXT) | instid1(VALU_DEP_1)
	v_fma_mix_f32 v10, v49, v6, v10 op_sel_hi:[1,1,0]
	v_fma_mix_f32 v10, v50, v6, v10 op_sel:[0,1,0] op_sel_hi:[1,1,0]
	s_delay_alu instid0(VALU_DEP_1) | instskip(NEXT) | instid1(VALU_DEP_1)
	v_fma_mix_f32 v10, v51, v7, v10 op_sel_hi:[1,1,0]
	v_fma_mix_f32 v10, v9, v7, v10 op_sel:[0,1,0] op_sel_hi:[1,1,0]
	s_delay_alu instid0(VALU_DEP_1) | instskip(NEXT) | instid1(VALU_DEP_1)
	v_fma_mixlo_f16 v10, v10, v18, 0 op_sel:[0,1,0] op_sel_hi:[0,1,0]
	v_add_f16_e32 v89, v69, v10
	v_fma_mix_f32 v10, v52, v4, 0 op_sel_hi:[1,1,0]
	s_delay_alu instid0(VALU_DEP_1) | instskip(NEXT) | instid1(VALU_DEP_1)
	v_fma_mix_f32 v10, v53, v4, v10 op_sel:[0,1,0] op_sel_hi:[1,1,0]
	v_fma_mix_f32 v10, v54, v5, v10 op_sel_hi:[1,1,0]
	s_delay_alu instid0(VALU_DEP_1) | instskip(NEXT) | instid1(VALU_DEP_1)
	v_fma_mix_f32 v10, v14, v5, v10 op_sel:[0,1,0] op_sel_hi:[1,1,0]
	v_fma_mix_f32 v10, v90, v6, v10 op_sel_hi:[1,1,0]
	s_delay_alu instid0(VALU_DEP_1) | instskip(NEXT) | instid1(VALU_DEP_1)
	v_fma_mix_f32 v10, v91, v6, v10 op_sel:[0,1,0] op_sel_hi:[1,1,0]
	v_fma_mix_f32 v10, v92, v7, v10 op_sel_hi:[1,1,0]
	s_delay_alu instid0(VALU_DEP_1) | instskip(NEXT) | instid1(VALU_DEP_1)
	v_fma_mix_f32 v10, v93, v7, v10 op_sel:[0,1,0] op_sel_hi:[1,1,0]
	v_fma_mixlo_f16 v10, v10, v19, 0 op_sel_hi:[0,1,0]
	s_delay_alu instid0(VALU_DEP_1) | instskip(SKIP_1) | instid1(VALU_DEP_1)
	v_add_f16_e32 v55, v70, v10
	v_fma_mix_f32 v10, v94, v4, 0 op_sel_hi:[1,1,0]
	v_fma_mix_f32 v4, v95, v4, v10 op_sel:[0,1,0] op_sel_hi:[1,1,0]
	s_delay_alu instid0(VALU_DEP_1) | instskip(NEXT) | instid1(VALU_DEP_1)
	v_fma_mix_f32 v4, v96, v5, v4 op_sel_hi:[1,1,0]
	v_fma_mix_f32 v4, v15, v5, v4 op_sel:[0,1,0] op_sel_hi:[1,1,0]
	s_delay_alu instid0(VALU_DEP_1) | instskip(NEXT) | instid1(VALU_DEP_1)
	v_fma_mix_f32 v4, v97, v6, v4 op_sel_hi:[1,1,0]
	v_fma_mix_f32 v4, v98, v6, v4 op_sel:[0,1,0] op_sel_hi:[1,1,0]
	s_delay_alu instid0(VALU_DEP_1) | instskip(NEXT) | instid1(VALU_DEP_1)
	v_fma_mix_f32 v4, v99, v7, v4 op_sel_hi:[1,1,0]
	v_fma_mix_f32 v4, v11, v7, v4 op_sel:[0,1,0] op_sel_hi:[1,1,0]
	s_delay_alu instid0(VALU_DEP_1) | instskip(NEXT) | instid1(VALU_DEP_1)
	v_fma_mixlo_f16 v4, v4, v19, 0 op_sel:[0,1,0] op_sel_hi:[0,1,0]
	v_add_f16_e32 v88, v71, v4
	ds_load_b128 v[4:7], v27 offset:544
	s_wait_dscnt 0x0
	;; [unrolled: 60-line block ×5, first 2 shown]
	v_fma_mix_f32 v10, v37, v4, 0 op_sel_hi:[1,1,0]
	s_delay_alu instid0(VALU_DEP_1) | instskip(NEXT) | instid1(VALU_DEP_1)
	v_fma_mix_f32 v10, v38, v4, v10 op_sel:[0,1,0] op_sel_hi:[1,1,0]
	v_fma_mix_f32 v10, v39, v5, v10 op_sel_hi:[1,1,0]
	s_delay_alu instid0(VALU_DEP_1) | instskip(NEXT) | instid1(VALU_DEP_1)
	v_fma_mix_f32 v10, v12, v5, v10 op_sel:[0,1,0] op_sel_hi:[1,1,0]
	;; [unrolled: 3-line block ×4, first 2 shown]
	v_fma_mixlo_f16 v10, v10, v18, 0 op_sel_hi:[0,1,0]
	s_delay_alu instid0(VALU_DEP_1) | instskip(SKIP_1) | instid1(VALU_DEP_1)
	v_add_f16_e32 v64, v76, v10
	v_fma_mix_f32 v10, v44, v4, 0 op_sel_hi:[1,1,0]
	v_fma_mix_f32 v10, v46, v4, v10 op_sel:[0,1,0] op_sel_hi:[1,1,0]
	s_delay_alu instid0(VALU_DEP_1) | instskip(NEXT) | instid1(VALU_DEP_1)
	v_fma_mix_f32 v10, v48, v5, v10 op_sel_hi:[1,1,0]
	v_fma_mix_f32 v10, v13, v5, v10 op_sel:[0,1,0] op_sel_hi:[1,1,0]
	s_delay_alu instid0(VALU_DEP_1) | instskip(NEXT) | instid1(VALU_DEP_1)
	v_fma_mix_f32 v10, v49, v6, v10 op_sel_hi:[1,1,0]
	v_fma_mix_f32 v10, v50, v6, v10 op_sel:[0,1,0] op_sel_hi:[1,1,0]
	s_delay_alu instid0(VALU_DEP_1) | instskip(NEXT) | instid1(VALU_DEP_1)
	v_fma_mix_f32 v10, v51, v7, v10 op_sel_hi:[1,1,0]
	v_fma_mix_f32 v10, v9, v7, v10 op_sel:[0,1,0] op_sel_hi:[1,1,0]
	s_delay_alu instid0(VALU_DEP_1) | instskip(NEXT) | instid1(VALU_DEP_1)
	v_fma_mixlo_f16 v10, v10, v18, 0 op_sel:[0,1,0] op_sel_hi:[0,1,0]
	v_add_f16_e32 v66, v77, v10
	v_fma_mix_f32 v10, v52, v4, 0 op_sel_hi:[1,1,0]
	ds_load_b128 v[74:77], v27 offset:1568
	v_fma_mix_f32 v10, v53, v4, v10 op_sel:[0,1,0] op_sel_hi:[1,1,0]
	s_delay_alu instid0(VALU_DEP_1) | instskip(NEXT) | instid1(VALU_DEP_1)
	v_fma_mix_f32 v10, v54, v5, v10 op_sel_hi:[1,1,0]
	v_fma_mix_f32 v10, v14, v5, v10 op_sel:[0,1,0] op_sel_hi:[1,1,0]
	s_delay_alu instid0(VALU_DEP_1) | instskip(NEXT) | instid1(VALU_DEP_1)
	v_fma_mix_f32 v10, v90, v6, v10 op_sel_hi:[1,1,0]
	;; [unrolled: 3-line block ×3, first 2 shown]
	v_fma_mix_f32 v10, v93, v7, v10 op_sel:[0,1,0] op_sel_hi:[1,1,0]
	s_delay_alu instid0(VALU_DEP_1) | instskip(NEXT) | instid1(VALU_DEP_1)
	v_fma_mixlo_f16 v10, v10, v19, 0 op_sel_hi:[0,1,0]
	v_add_f16_e32 v63, v78, v10
	v_fma_mix_f32 v10, v94, v4, 0 op_sel_hi:[1,1,0]
	s_delay_alu instid0(VALU_DEP_1) | instskip(NEXT) | instid1(VALU_DEP_1)
	v_fma_mix_f32 v4, v95, v4, v10 op_sel:[0,1,0] op_sel_hi:[1,1,0]
	v_fma_mix_f32 v4, v96, v5, v4 op_sel_hi:[1,1,0]
	s_delay_alu instid0(VALU_DEP_1) | instskip(NEXT) | instid1(VALU_DEP_1)
	v_fma_mix_f32 v4, v15, v5, v4 op_sel:[0,1,0] op_sel_hi:[1,1,0]
	;; [unrolled: 3-line block ×4, first 2 shown]
	v_fma_mixlo_f16 v4, v4, v19, 0 op_sel:[0,1,0] op_sel_hi:[0,1,0]
	s_delay_alu instid0(VALU_DEP_1) | instskip(SKIP_2) | instid1(VALU_DEP_1)
	v_add_f16_e32 v65, v79, v4
	s_wait_dscnt 0x0
	v_fma_mix_f32 v4, v37, v74, 0 op_sel_hi:[1,1,0]
	v_fma_mix_f32 v4, v38, v74, v4 op_sel:[0,1,0] op_sel_hi:[1,1,0]
	s_delay_alu instid0(VALU_DEP_1) | instskip(NEXT) | instid1(VALU_DEP_1)
	v_fma_mix_f32 v4, v39, v75, v4 op_sel_hi:[1,1,0]
	v_fma_mix_f32 v4, v12, v75, v4 op_sel:[0,1,0] op_sel_hi:[1,1,0]
	s_delay_alu instid0(VALU_DEP_1) | instskip(NEXT) | instid1(VALU_DEP_1)
	;; [unrolled: 3-line block ×4, first 2 shown]
	v_fma_mixlo_f16 v4, v4, v18, 0 op_sel_hi:[0,1,0]
	v_add_f16_e32 v32, v47, v4
	v_fma_mix_f32 v4, v44, v74, 0 op_sel_hi:[1,1,0]
	s_delay_alu instid0(VALU_DEP_1) | instskip(NEXT) | instid1(VALU_DEP_1)
	v_fma_mix_f32 v4, v46, v74, v4 op_sel:[0,1,0] op_sel_hi:[1,1,0]
	v_fma_mix_f32 v4, v48, v75, v4 op_sel_hi:[1,1,0]
	s_delay_alu instid0(VALU_DEP_1) | instskip(NEXT) | instid1(VALU_DEP_1)
	v_fma_mix_f32 v4, v13, v75, v4 op_sel:[0,1,0] op_sel_hi:[1,1,0]
	;; [unrolled: 3-line block ×4, first 2 shown]
	v_fma_mixlo_f16 v4, v4, v18, 0 op_sel:[0,1,0] op_sel_hi:[0,1,0]
	s_delay_alu instid0(VALU_DEP_1) | instskip(SKIP_1) | instid1(VALU_DEP_1)
	v_add_f16_e32 v10, v45, v4
	v_fma_mix_f32 v4, v52, v74, 0 op_sel_hi:[1,1,0]
	v_fma_mix_f32 v4, v53, v74, v4 op_sel:[0,1,0] op_sel_hi:[1,1,0]
	s_delay_alu instid0(VALU_DEP_1) | instskip(NEXT) | instid1(VALU_DEP_1)
	v_fma_mix_f32 v4, v54, v75, v4 op_sel_hi:[1,1,0]
	v_fma_mix_f32 v4, v14, v75, v4 op_sel:[0,1,0] op_sel_hi:[1,1,0]
	s_delay_alu instid0(VALU_DEP_1) | instskip(NEXT) | instid1(VALU_DEP_1)
	v_fma_mix_f32 v4, v90, v76, v4 op_sel_hi:[1,1,0]
	v_fma_mix_f32 v4, v91, v76, v4 op_sel:[0,1,0] op_sel_hi:[1,1,0]
	s_delay_alu instid0(VALU_DEP_1) | instskip(NEXT) | instid1(VALU_DEP_1)
	v_fma_mix_f32 v4, v92, v77, v4 op_sel_hi:[1,1,0]
	v_fma_mix_f32 v4, v93, v77, v4 op_sel:[0,1,0] op_sel_hi:[1,1,0]
	s_delay_alu instid0(VALU_DEP_1) | instskip(NEXT) | instid1(VALU_DEP_1)
	v_fma_mixlo_f16 v4, v4, v19, 0 op_sel_hi:[0,1,0]
	v_add_f16_e32 v7, v43, v4
	v_fma_mix_f32 v4, v94, v74, 0 op_sel_hi:[1,1,0]
	s_delay_alu instid0(VALU_DEP_1) | instskip(NEXT) | instid1(VALU_DEP_1)
	v_fma_mix_f32 v4, v95, v74, v4 op_sel:[0,1,0] op_sel_hi:[1,1,0]
	v_fma_mix_f32 v4, v96, v75, v4 op_sel_hi:[1,1,0]
	s_delay_alu instid0(VALU_DEP_1) | instskip(NEXT) | instid1(VALU_DEP_1)
	v_fma_mix_f32 v4, v15, v75, v4 op_sel:[0,1,0] op_sel_hi:[1,1,0]
	;; [unrolled: 3-line block ×4, first 2 shown]
	v_fma_mixlo_f16 v4, v4, v19, 0 op_sel:[0,1,0] op_sel_hi:[0,1,0]
	s_delay_alu instid0(VALU_DEP_1)
	v_add_f16_e32 v6, v36, v4
	v_add_nc_u64_e32 v[4:5], s[6:7], v[20:21]
	global_load_b128 v[12:15], v[4:5], off
	s_wait_xcnt 0x0
	v_add_nc_u64_e32 v[4:5], s[6:7], v[4:5]
	global_load_b128 v[74:77], v[4:5], off
	s_wait_loadcnt 0x1
	v_and_b32_e32 v8, 0xff, v12
	s_delay_alu instid0(VALU_DEP_1) | instskip(NEXT) | instid1(VALU_DEP_1)
	v_sub_nc_u32_e32 v8, v8, v31
	v_cvt_f32_i32_e32 v8, v8
	s_delay_alu instid0(VALU_DEP_1) | instskip(SKIP_1) | instid1(VALU_DEP_1)
	v_cvt_f16_f32_e32 v38, v8
	v_bfe_u32 v8, v12, 8, 8
	v_sub_nc_u32_e32 v8, v8, v31
	s_delay_alu instid0(VALU_DEP_1) | instskip(NEXT) | instid1(VALU_DEP_1)
	v_cvt_f32_i32_e32 v8, v8
	v_cvt_f16_f32_e32 v41, v8
	v_bfe_u32 v8, v12, 16, 8
	s_delay_alu instid0(VALU_DEP_1) | instskip(NEXT) | instid1(VALU_DEP_1)
	v_sub_nc_u32_e32 v8, v8, v31
	v_cvt_f32_i32_e32 v8, v8
	s_delay_alu instid0(VALU_DEP_1) | instskip(SKIP_1) | instid1(VALU_DEP_1)
	v_cvt_f16_f32_e32 v44, v8
	v_lshrrev_b32_e32 v8, 24, v12
	v_sub_nc_u32_e32 v8, v8, v31
	s_delay_alu instid0(VALU_DEP_1) | instskip(NEXT) | instid1(VALU_DEP_1)
	v_cvt_f32_i32_e32 v8, v8
	v_cvt_f16_f32_e32 v47, v8
	s_wait_loadcnt 0x0
	v_and_b32_e32 v8, 0xff, v74
	s_delay_alu instid0(VALU_DEP_1) | instskip(NEXT) | instid1(VALU_DEP_1)
	v_sub_nc_u32_e32 v8, v8, v31
	v_cvt_f32_i32_e32 v8, v8
	s_delay_alu instid0(VALU_DEP_1) | instskip(SKIP_1) | instid1(VALU_DEP_1)
	v_cvt_f16_f32_e32 v49, v8
	v_bfe_u32 v8, v74, 8, 8
	v_sub_nc_u32_e32 v8, v8, v31
	s_delay_alu instid0(VALU_DEP_1) | instskip(NEXT) | instid1(VALU_DEP_1)
	v_cvt_f32_i32_e32 v8, v8
	v_cvt_f16_f32_e32 v51, v8
	v_bfe_u32 v8, v74, 16, 8
	s_delay_alu instid0(VALU_DEP_1) | instskip(NEXT) | instid1(VALU_DEP_1)
	v_sub_nc_u32_e32 v8, v8, v31
	v_cvt_f32_i32_e32 v8, v8
	s_delay_alu instid0(VALU_DEP_1) | instskip(SKIP_1) | instid1(VALU_DEP_1)
	v_cvt_f16_f32_e32 v53, v8
	v_lshrrev_b32_e32 v8, 24, v74
	v_sub_nc_u32_e32 v8, v8, v31
	s_delay_alu instid0(VALU_DEP_1) | instskip(NEXT) | instid1(VALU_DEP_1)
	v_cvt_f32_i32_e32 v8, v8
	v_cvt_f16_f32_e32 v54, v8
	v_and_b32_e32 v8, 0xff, v13
	s_delay_alu instid0(VALU_DEP_1) | instskip(NEXT) | instid1(VALU_DEP_1)
	v_sub_nc_u32_e32 v8, v8, v30
	v_cvt_f32_i32_e32 v8, v8
	s_delay_alu instid0(VALU_DEP_1) | instskip(SKIP_1) | instid1(VALU_DEP_1)
	v_cvt_f16_f32_e32 v34, v8
	v_bfe_u32 v8, v13, 8, 8
	v_sub_nc_u32_e32 v8, v8, v30
	s_delay_alu instid0(VALU_DEP_1) | instskip(NEXT) | instid1(VALU_DEP_1)
	v_cvt_f32_i32_e32 v8, v8
	v_cvt_f16_f32_e32 v36, v8
	v_bfe_u32 v8, v13, 16, 8
	s_delay_alu instid0(VALU_DEP_1) | instskip(NEXT) | instid1(VALU_DEP_1)
	v_sub_nc_u32_e32 v8, v8, v30
	v_cvt_f32_i32_e32 v8, v8
	s_delay_alu instid0(VALU_DEP_1) | instskip(SKIP_1) | instid1(VALU_DEP_1)
	v_cvt_f16_f32_e32 v39, v8
	v_lshrrev_b32_e32 v8, 24, v13
	v_sub_nc_u32_e32 v8, v8, v30
	s_delay_alu instid0(VALU_DEP_1) | instskip(NEXT) | instid1(VALU_DEP_1)
	v_cvt_f32_i32_e32 v8, v8
	v_cvt_f16_f32_e32 v42, v8
	;; [unrolled: 22-line block ×3, first 2 shown]
	v_and_b32_e32 v8, 0xff, v14
	s_delay_alu instid0(VALU_DEP_1) | instskip(NEXT) | instid1(VALU_DEP_1)
	v_sub_nc_u32_e32 v8, v8, v29
	v_cvt_f32_i32_e32 v8, v8
	s_delay_alu instid0(VALU_DEP_1) | instskip(SKIP_1) | instid1(VALU_DEP_1)
	v_cvt_f16_f32_e32 v30, v8
	v_bfe_u32 v8, v14, 8, 8
	v_sub_nc_u32_e32 v8, v8, v29
	s_delay_alu instid0(VALU_DEP_1) | instskip(NEXT) | instid1(VALU_DEP_1)
	v_cvt_f32_i32_e32 v8, v8
	v_cvt_f16_f32_e32 v31, v8
	v_bfe_u32 v8, v14, 16, 8
	s_delay_alu instid0(VALU_DEP_1) | instskip(NEXT) | instid1(VALU_DEP_1)
	v_sub_nc_u32_e32 v8, v8, v29
	v_cvt_f32_i32_e32 v8, v8
	s_delay_alu instid0(VALU_DEP_1) | instskip(SKIP_2) | instid1(VALU_DEP_2)
	v_cvt_f16_f32_e32 v33, v8
	v_lshrrev_b32_e32 v8, 24, v14
	v_fma_mix_f32 v14, v38, v0, 0 op_sel_hi:[1,1,0]
	v_sub_nc_u32_e32 v8, v8, v29
	s_delay_alu instid0(VALU_DEP_2) | instskip(NEXT) | instid1(VALU_DEP_2)
	v_fma_mix_f32 v14, v41, v0, v14 op_sel:[0,1,0] op_sel_hi:[1,1,0]
	v_cvt_f32_i32_e32 v8, v8
	s_delay_alu instid0(VALU_DEP_2) | instskip(NEXT) | instid1(VALU_DEP_2)
	v_fma_mix_f32 v14, v44, v1, v14 op_sel_hi:[1,1,0]
	v_cvt_f16_f32_e32 v35, v8
	v_and_b32_e32 v8, 0xff, v76
	s_delay_alu instid0(VALU_DEP_3) | instskip(NEXT) | instid1(VALU_DEP_2)
	v_fma_mix_f32 v14, v47, v1, v14 op_sel:[0,1,0] op_sel_hi:[1,1,0]
	v_sub_nc_u32_e32 v8, v8, v29
	s_delay_alu instid0(VALU_DEP_2) | instskip(NEXT) | instid1(VALU_DEP_2)
	v_fma_mix_f32 v14, v49, v2, v14 op_sel_hi:[1,1,0]
	v_cvt_f32_i32_e32 v8, v8
	s_delay_alu instid0(VALU_DEP_2) | instskip(NEXT) | instid1(VALU_DEP_2)
	v_fma_mix_f32 v14, v51, v2, v14 op_sel:[0,1,0] op_sel_hi:[1,1,0]
	v_cvt_f16_f32_e32 v37, v8
	v_bfe_u32 v8, v76, 8, 8
	s_delay_alu instid0(VALU_DEP_3) | instskip(NEXT) | instid1(VALU_DEP_2)
	v_fma_mix_f32 v14, v53, v3, v14 op_sel_hi:[1,1,0]
	v_sub_nc_u32_e32 v8, v8, v29
	s_delay_alu instid0(VALU_DEP_2) | instskip(NEXT) | instid1(VALU_DEP_2)
	v_fma_mix_f32 v14, v54, v3, v14 op_sel:[0,1,0] op_sel_hi:[1,1,0]
	v_cvt_f32_i32_e32 v8, v8
	s_delay_alu instid0(VALU_DEP_2) | instskip(NEXT) | instid1(VALU_DEP_2)
	v_fma_mixlo_f16 v14, v14, v18, 0 op_sel_hi:[0,1,0]
	v_cvt_f16_f32_e32 v40, v8
	v_bfe_u32 v8, v76, 16, 8
	s_delay_alu instid0(VALU_DEP_3) | instskip(NEXT) | instid1(VALU_DEP_2)
	v_add_f16_e32 v14, v100, v14
	v_sub_nc_u32_e32 v8, v8, v29
	s_delay_alu instid0(VALU_DEP_1) | instskip(NEXT) | instid1(VALU_DEP_1)
	v_cvt_f32_i32_e32 v8, v8
	v_cvt_f16_f32_e32 v43, v8
	v_lshrrev_b32_e32 v8, 24, v76
	s_delay_alu instid0(VALU_DEP_1) | instskip(NEXT) | instid1(VALU_DEP_1)
	v_sub_nc_u32_e32 v8, v8, v29
	v_cvt_f32_i32_e32 v8, v8
	s_delay_alu instid0(VALU_DEP_1) | instskip(SKIP_1) | instid1(VALU_DEP_1)
	v_cvt_f16_f32_e32 v46, v8
	v_and_b32_e32 v8, 0xff, v15
	v_sub_nc_u32_e32 v8, v8, v28
	s_delay_alu instid0(VALU_DEP_1) | instskip(NEXT) | instid1(VALU_DEP_1)
	v_cvt_f32_i32_e32 v8, v8
	v_cvt_f16_f32_e32 v29, v8
	v_bfe_u32 v8, v15, 8, 8
	s_delay_alu instid0(VALU_DEP_1) | instskip(NEXT) | instid1(VALU_DEP_1)
	v_sub_nc_u32_e32 v8, v8, v28
	v_cvt_f32_i32_e32 v8, v8
	s_delay_alu instid0(VALU_DEP_1) | instskip(SKIP_1) | instid1(VALU_DEP_1)
	v_cvt_f16_f32_e32 v21, v8
	v_bfe_u32 v8, v15, 16, 8
	v_sub_nc_u32_e32 v8, v8, v28
	s_delay_alu instid0(VALU_DEP_1) | instskip(NEXT) | instid1(VALU_DEP_1)
	v_cvt_f32_i32_e32 v8, v8
	v_cvt_f16_f32_e32 v20, v8
	v_lshrrev_b32_e32 v8, 24, v15
	v_fma_mix_f32 v15, v34, v0, 0 op_sel_hi:[1,1,0]
	s_delay_alu instid0(VALU_DEP_2) | instskip(NEXT) | instid1(VALU_DEP_2)
	v_sub_nc_u32_e32 v8, v8, v28
	v_fma_mix_f32 v15, v36, v0, v15 op_sel:[0,1,0] op_sel_hi:[1,1,0]
	s_delay_alu instid0(VALU_DEP_2) | instskip(NEXT) | instid1(VALU_DEP_2)
	v_cvt_f32_i32_e32 v8, v8
	v_fma_mix_f32 v15, v39, v1, v15 op_sel_hi:[1,1,0]
	s_delay_alu instid0(VALU_DEP_2) | instskip(SKIP_1) | instid1(VALU_DEP_3)
	v_cvt_f16_f32_e32 v13, v8
	v_and_b32_e32 v8, 0xff, v77
	v_fma_mix_f32 v15, v42, v1, v15 op_sel:[0,1,0] op_sel_hi:[1,1,0]
	s_delay_alu instid0(VALU_DEP_2) | instskip(NEXT) | instid1(VALU_DEP_2)
	v_sub_nc_u32_e32 v8, v8, v28
	v_fma_mix_f32 v15, v45, v2, v15 op_sel_hi:[1,1,0]
	s_delay_alu instid0(VALU_DEP_2) | instskip(NEXT) | instid1(VALU_DEP_2)
	v_cvt_f32_i32_e32 v8, v8
	v_fma_mix_f32 v15, v48, v2, v15 op_sel:[0,1,0] op_sel_hi:[1,1,0]
	s_delay_alu instid0(VALU_DEP_2) | instskip(SKIP_1) | instid1(VALU_DEP_3)
	v_cvt_f16_f32_e32 v12, v8
	v_bfe_u32 v8, v77, 8, 8
	v_fma_mix_f32 v15, v50, v3, v15 op_sel_hi:[1,1,0]
	s_delay_alu instid0(VALU_DEP_2) | instskip(NEXT) | instid1(VALU_DEP_2)
	v_sub_nc_u32_e32 v8, v8, v28
	v_fma_mix_f32 v15, v52, v3, v15 op_sel:[0,1,0] op_sel_hi:[1,1,0]
	s_delay_alu instid0(VALU_DEP_2) | instskip(NEXT) | instid1(VALU_DEP_2)
	v_cvt_f32_i32_e32 v8, v8
	v_fma_mixlo_f16 v15, v15, v18, 0 op_sel:[0,1,0] op_sel_hi:[0,1,0]
	s_delay_alu instid0(VALU_DEP_2) | instskip(SKIP_1) | instid1(VALU_DEP_3)
	v_cvt_f16_f32_e32 v11, v8
	v_bfe_u32 v8, v77, 16, 8
	v_add_f16_e32 v15, v101, v15
	s_delay_alu instid0(VALU_DEP_2) | instskip(NEXT) | instid1(VALU_DEP_2)
	v_sub_nc_u32_e32 v8, v8, v28
	v_pack_b32_f16 v15, v14, v15
	v_fma_mix_f32 v14, v30, v0, 0 op_sel_hi:[1,1,0]
	s_delay_alu instid0(VALU_DEP_3) | instskip(NEXT) | instid1(VALU_DEP_2)
	v_cvt_f32_i32_e32 v8, v8
	v_fma_mix_f32 v14, v31, v0, v14 op_sel:[0,1,0] op_sel_hi:[1,1,0]
	s_delay_alu instid0(VALU_DEP_2) | instskip(SKIP_1) | instid1(VALU_DEP_3)
	v_cvt_f16_f32_e32 v9, v8
	v_lshrrev_b32_e32 v8, 24, v77
	v_fma_mix_f32 v14, v33, v1, v14 op_sel_hi:[1,1,0]
	s_delay_alu instid0(VALU_DEP_2) | instskip(SKIP_1) | instid1(VALU_DEP_3)
	v_sub_nc_u32_e32 v8, v8, v28
	v_fma_mix_f32 v28, v29, v0, 0 op_sel_hi:[1,1,0]
	v_fma_mix_f32 v14, v35, v1, v14 op_sel:[0,1,0] op_sel_hi:[1,1,0]
	s_delay_alu instid0(VALU_DEP_3) | instskip(NEXT) | instid1(VALU_DEP_3)
	v_cvt_f32_i32_e32 v8, v8
	v_fma_mix_f32 v0, v21, v0, v28 op_sel:[0,1,0] op_sel_hi:[1,1,0]
	s_delay_alu instid0(VALU_DEP_3) | instskip(NEXT) | instid1(VALU_DEP_3)
	v_fma_mix_f32 v14, v37, v2, v14 op_sel_hi:[1,1,0]
	v_cvt_f16_f32_e32 v8, v8
	s_delay_alu instid0(VALU_DEP_3) | instskip(NEXT) | instid1(VALU_DEP_3)
	v_fma_mix_f32 v0, v20, v1, v0 op_sel_hi:[1,1,0]
	v_fma_mix_f32 v14, v40, v2, v14 op_sel:[0,1,0] op_sel_hi:[1,1,0]
	s_delay_alu instid0(VALU_DEP_2) | instskip(NEXT) | instid1(VALU_DEP_2)
	v_fma_mix_f32 v0, v13, v1, v0 op_sel:[0,1,0] op_sel_hi:[1,1,0]
	v_fma_mix_f32 v14, v43, v3, v14 op_sel_hi:[1,1,0]
	s_delay_alu instid0(VALU_DEP_2) | instskip(NEXT) | instid1(VALU_DEP_2)
	v_fma_mix_f32 v0, v12, v2, v0 op_sel_hi:[1,1,0]
	v_fma_mix_f32 v14, v46, v3, v14 op_sel:[0,1,0] op_sel_hi:[1,1,0]
	s_delay_alu instid0(VALU_DEP_2) | instskip(NEXT) | instid1(VALU_DEP_2)
	v_fma_mix_f32 v0, v11, v2, v0 op_sel:[0,1,0] op_sel_hi:[1,1,0]
	v_fma_mixlo_f16 v14, v14, v19, 0 op_sel_hi:[0,1,0]
	s_delay_alu instid0(VALU_DEP_2) | instskip(NEXT) | instid1(VALU_DEP_2)
	v_fma_mix_f32 v0, v9, v3, v0 op_sel_hi:[1,1,0]
	v_add_f16_e32 v14, v102, v14
	s_delay_alu instid0(VALU_DEP_2) | instskip(NEXT) | instid1(VALU_DEP_1)
	v_fma_mix_f32 v0, v8, v3, v0 op_sel:[0,1,0] op_sel_hi:[1,1,0]
	v_fma_mixlo_f16 v0, v0, v19, 0 op_sel:[0,1,0] op_sel_hi:[0,1,0]
	s_delay_alu instid0(VALU_DEP_1) | instskip(NEXT) | instid1(VALU_DEP_1)
	v_add_f16_e32 v0, v103, v0
	v_pack_b32_f16 v14, v14, v0
	ds_load_b128 v[0:3], v27 offset:304
	s_wait_dscnt 0x0
	v_fma_mix_f32 v28, v38, v0, 0 op_sel_hi:[1,1,0]
	s_delay_alu instid0(VALU_DEP_1) | instskip(NEXT) | instid1(VALU_DEP_1)
	v_fma_mix_f32 v28, v41, v0, v28 op_sel:[0,1,0] op_sel_hi:[1,1,0]
	v_fma_mix_f32 v28, v44, v1, v28 op_sel_hi:[1,1,0]
	s_delay_alu instid0(VALU_DEP_1) | instskip(NEXT) | instid1(VALU_DEP_1)
	v_fma_mix_f32 v28, v47, v1, v28 op_sel:[0,1,0] op_sel_hi:[1,1,0]
	v_fma_mix_f32 v28, v49, v2, v28 op_sel_hi:[1,1,0]
	s_delay_alu instid0(VALU_DEP_1) | instskip(NEXT) | instid1(VALU_DEP_1)
	v_fma_mix_f32 v28, v51, v2, v28 op_sel:[0,1,0] op_sel_hi:[1,1,0]
	v_fma_mix_f32 v28, v53, v3, v28 op_sel_hi:[1,1,0]
	s_delay_alu instid0(VALU_DEP_1) | instskip(NEXT) | instid1(VALU_DEP_1)
	v_fma_mix_f32 v28, v54, v3, v28 op_sel:[0,1,0] op_sel_hi:[1,1,0]
	v_fma_mixlo_f16 v28, v28, v18, 0 op_sel_hi:[0,1,0]
	s_delay_alu instid0(VALU_DEP_1) | instskip(SKIP_1) | instid1(VALU_DEP_1)
	v_add_f16_e32 v28, v56, v28
	v_fma_mix_f32 v56, v34, v0, 0 op_sel_hi:[1,1,0]
	v_fma_mix_f32 v56, v36, v0, v56 op_sel:[0,1,0] op_sel_hi:[1,1,0]
	s_delay_alu instid0(VALU_DEP_1) | instskip(NEXT) | instid1(VALU_DEP_1)
	v_fma_mix_f32 v56, v39, v1, v56 op_sel_hi:[1,1,0]
	v_fma_mix_f32 v56, v42, v1, v56 op_sel:[0,1,0] op_sel_hi:[1,1,0]
	s_delay_alu instid0(VALU_DEP_1) | instskip(NEXT) | instid1(VALU_DEP_1)
	v_fma_mix_f32 v56, v45, v2, v56 op_sel_hi:[1,1,0]
	v_fma_mix_f32 v56, v48, v2, v56 op_sel:[0,1,0] op_sel_hi:[1,1,0]
	s_delay_alu instid0(VALU_DEP_1) | instskip(NEXT) | instid1(VALU_DEP_1)
	v_fma_mix_f32 v56, v50, v3, v56 op_sel_hi:[1,1,0]
	v_fma_mix_f32 v56, v52, v3, v56 op_sel:[0,1,0] op_sel_hi:[1,1,0]
	s_delay_alu instid0(VALU_DEP_1) | instskip(NEXT) | instid1(VALU_DEP_1)
	v_fma_mixlo_f16 v56, v56, v18, 0 op_sel:[0,1,0] op_sel_hi:[0,1,0]
	v_add_f16_e32 v56, v89, v56
	s_delay_alu instid0(VALU_DEP_1) | instskip(SKIP_1) | instid1(VALU_DEP_1)
	v_pack_b32_f16 v56, v28, v56
	v_fma_mix_f32 v28, v30, v0, 0 op_sel_hi:[1,1,0]
	v_fma_mix_f32 v28, v31, v0, v28 op_sel:[0,1,0] op_sel_hi:[1,1,0]
	s_delay_alu instid0(VALU_DEP_1) | instskip(NEXT) | instid1(VALU_DEP_1)
	v_fma_mix_f32 v28, v33, v1, v28 op_sel_hi:[1,1,0]
	v_fma_mix_f32 v28, v35, v1, v28 op_sel:[0,1,0] op_sel_hi:[1,1,0]
	s_delay_alu instid0(VALU_DEP_1) | instskip(NEXT) | instid1(VALU_DEP_1)
	v_fma_mix_f32 v28, v37, v2, v28 op_sel_hi:[1,1,0]
	v_fma_mix_f32 v28, v40, v2, v28 op_sel:[0,1,0] op_sel_hi:[1,1,0]
	s_delay_alu instid0(VALU_DEP_1) | instskip(NEXT) | instid1(VALU_DEP_1)
	v_fma_mix_f32 v28, v43, v3, v28 op_sel_hi:[1,1,0]
	v_fma_mix_f32 v28, v46, v3, v28 op_sel:[0,1,0] op_sel_hi:[1,1,0]
	s_delay_alu instid0(VALU_DEP_1) | instskip(NEXT) | instid1(VALU_DEP_1)
	v_fma_mixlo_f16 v28, v28, v19, 0 op_sel_hi:[0,1,0]
	v_add_f16_e32 v28, v55, v28
	v_fma_mix_f32 v55, v29, v0, 0 op_sel_hi:[1,1,0]
	s_delay_alu instid0(VALU_DEP_1) | instskip(NEXT) | instid1(VALU_DEP_1)
	v_fma_mix_f32 v0, v21, v0, v55 op_sel:[0,1,0] op_sel_hi:[1,1,0]
	v_fma_mix_f32 v0, v20, v1, v0 op_sel_hi:[1,1,0]
	s_delay_alu instid0(VALU_DEP_1) | instskip(NEXT) | instid1(VALU_DEP_1)
	v_fma_mix_f32 v0, v13, v1, v0 op_sel:[0,1,0] op_sel_hi:[1,1,0]
	v_fma_mix_f32 v0, v12, v2, v0 op_sel_hi:[1,1,0]
	s_delay_alu instid0(VALU_DEP_1) | instskip(NEXT) | instid1(VALU_DEP_1)
	v_fma_mix_f32 v0, v11, v2, v0 op_sel:[0,1,0] op_sel_hi:[1,1,0]
	v_fma_mix_f32 v0, v9, v3, v0 op_sel_hi:[1,1,0]
	s_delay_alu instid0(VALU_DEP_1) | instskip(NEXT) | instid1(VALU_DEP_1)
	v_fma_mix_f32 v0, v8, v3, v0 op_sel:[0,1,0] op_sel_hi:[1,1,0]
	v_fma_mixlo_f16 v0, v0, v19, 0 op_sel:[0,1,0] op_sel_hi:[0,1,0]
	s_delay_alu instid0(VALU_DEP_1) | instskip(NEXT) | instid1(VALU_DEP_1)
	v_add_f16_e32 v0, v88, v0
	v_pack_b32_f16 v55, v28, v0
	ds_load_b128 v[0:3], v27 offset:560
	s_wait_dscnt 0x0
	v_fma_mix_f32 v28, v38, v0, 0 op_sel_hi:[1,1,0]
	s_delay_alu instid0(VALU_DEP_1) | instskip(NEXT) | instid1(VALU_DEP_1)
	v_fma_mix_f32 v28, v41, v0, v28 op_sel:[0,1,0] op_sel_hi:[1,1,0]
	v_fma_mix_f32 v28, v44, v1, v28 op_sel_hi:[1,1,0]
	s_delay_alu instid0(VALU_DEP_1) | instskip(NEXT) | instid1(VALU_DEP_1)
	v_fma_mix_f32 v28, v47, v1, v28 op_sel:[0,1,0] op_sel_hi:[1,1,0]
	v_fma_mix_f32 v28, v49, v2, v28 op_sel_hi:[1,1,0]
	s_delay_alu instid0(VALU_DEP_1) | instskip(NEXT) | instid1(VALU_DEP_1)
	v_fma_mix_f32 v28, v51, v2, v28 op_sel:[0,1,0] op_sel_hi:[1,1,0]
	v_fma_mix_f32 v28, v53, v3, v28 op_sel_hi:[1,1,0]
	s_delay_alu instid0(VALU_DEP_1) | instskip(NEXT) | instid1(VALU_DEP_1)
	v_fma_mix_f32 v28, v54, v3, v28 op_sel:[0,1,0] op_sel_hi:[1,1,0]
	v_fma_mixlo_f16 v28, v28, v18, 0 op_sel_hi:[0,1,0]
	s_delay_alu instid0(VALU_DEP_1) | instskip(SKIP_1) | instid1(VALU_DEP_1)
	v_add_f16_e32 v28, v58, v28
	v_fma_mix_f32 v58, v34, v0, 0 op_sel_hi:[1,1,0]
	v_fma_mix_f32 v58, v36, v0, v58 op_sel:[0,1,0] op_sel_hi:[1,1,0]
	s_delay_alu instid0(VALU_DEP_1) | instskip(NEXT) | instid1(VALU_DEP_1)
	v_fma_mix_f32 v58, v39, v1, v58 op_sel_hi:[1,1,0]
	v_fma_mix_f32 v58, v42, v1, v58 op_sel:[0,1,0] op_sel_hi:[1,1,0]
	s_delay_alu instid0(VALU_DEP_1) | instskip(NEXT) | instid1(VALU_DEP_1)
	v_fma_mix_f32 v58, v45, v2, v58 op_sel_hi:[1,1,0]
	v_fma_mix_f32 v58, v48, v2, v58 op_sel:[0,1,0] op_sel_hi:[1,1,0]
	s_delay_alu instid0(VALU_DEP_1) | instskip(NEXT) | instid1(VALU_DEP_1)
	v_fma_mix_f32 v58, v50, v3, v58 op_sel_hi:[1,1,0]
	v_fma_mix_f32 v58, v52, v3, v58 op_sel:[0,1,0] op_sel_hi:[1,1,0]
	s_delay_alu instid0(VALU_DEP_1) | instskip(NEXT) | instid1(VALU_DEP_1)
	v_fma_mixlo_f16 v58, v58, v18, 0 op_sel:[0,1,0] op_sel_hi:[0,1,0]
	v_add_f16_e32 v58, v72, v58
	s_delay_alu instid0(VALU_DEP_1) | instskip(SKIP_1) | instid1(VALU_DEP_1)
	v_pack_b32_f16 v58, v28, v58
	v_fma_mix_f32 v28, v30, v0, 0 op_sel_hi:[1,1,0]
	v_fma_mix_f32 v28, v31, v0, v28 op_sel:[0,1,0] op_sel_hi:[1,1,0]
	s_delay_alu instid0(VALU_DEP_1) | instskip(NEXT) | instid1(VALU_DEP_1)
	v_fma_mix_f32 v28, v33, v1, v28 op_sel_hi:[1,1,0]
	v_fma_mix_f32 v28, v35, v1, v28 op_sel:[0,1,0] op_sel_hi:[1,1,0]
	s_delay_alu instid0(VALU_DEP_1) | instskip(NEXT) | instid1(VALU_DEP_1)
	v_fma_mix_f32 v28, v37, v2, v28 op_sel_hi:[1,1,0]
	v_fma_mix_f32 v28, v40, v2, v28 op_sel:[0,1,0] op_sel_hi:[1,1,0]
	s_delay_alu instid0(VALU_DEP_1) | instskip(NEXT) | instid1(VALU_DEP_1)
	v_fma_mix_f32 v28, v43, v3, v28 op_sel_hi:[1,1,0]
	v_fma_mix_f32 v28, v46, v3, v28 op_sel:[0,1,0] op_sel_hi:[1,1,0]
	s_delay_alu instid0(VALU_DEP_1) | instskip(NEXT) | instid1(VALU_DEP_1)
	v_fma_mixlo_f16 v28, v28, v19, 0 op_sel_hi:[0,1,0]
	v_add_f16_e32 v28, v57, v28
	v_fma_mix_f32 v57, v29, v0, 0 op_sel_hi:[1,1,0]
	s_delay_alu instid0(VALU_DEP_1) | instskip(NEXT) | instid1(VALU_DEP_1)
	v_fma_mix_f32 v0, v21, v0, v57 op_sel:[0,1,0] op_sel_hi:[1,1,0]
	v_fma_mix_f32 v0, v20, v1, v0 op_sel_hi:[1,1,0]
	s_delay_alu instid0(VALU_DEP_1) | instskip(NEXT) | instid1(VALU_DEP_1)
	v_fma_mix_f32 v0, v13, v1, v0 op_sel:[0,1,0] op_sel_hi:[1,1,0]
	v_fma_mix_f32 v0, v12, v2, v0 op_sel_hi:[1,1,0]
	s_delay_alu instid0(VALU_DEP_1) | instskip(NEXT) | instid1(VALU_DEP_1)
	v_fma_mix_f32 v0, v11, v2, v0 op_sel:[0,1,0] op_sel_hi:[1,1,0]
	v_fma_mix_f32 v0, v9, v3, v0 op_sel_hi:[1,1,0]
	s_delay_alu instid0(VALU_DEP_1) | instskip(NEXT) | instid1(VALU_DEP_1)
	;; [unrolled: 63-line block ×5, first 2 shown]
	v_fma_mix_f32 v0, v8, v3, v0 op_sel:[0,1,0] op_sel_hi:[1,1,0]
	v_fma_mixlo_f16 v0, v0, v19, 0 op_sel:[0,1,0] op_sel_hi:[0,1,0]
	s_delay_alu instid0(VALU_DEP_1) | instskip(NEXT) | instid1(VALU_DEP_1)
	v_add_f16_e32 v0, v65, v0
	v_pack_b32_f16 v63, v28, v0
	ds_load_b128 v[0:3], v27 offset:1584
	s_wait_dscnt 0x0
	v_fma_mix_f32 v27, v38, v0, 0 op_sel_hi:[1,1,0]
	v_fma_mix_f32 v28, v34, v0, 0 op_sel_hi:[1,1,0]
	s_delay_alu instid0(VALU_DEP_2) | instskip(NEXT) | instid1(VALU_DEP_2)
	v_fma_mix_f32 v27, v41, v0, v27 op_sel:[0,1,0] op_sel_hi:[1,1,0]
	v_fma_mix_f32 v28, v36, v0, v28 op_sel:[0,1,0] op_sel_hi:[1,1,0]
	s_delay_alu instid0(VALU_DEP_2) | instskip(NEXT) | instid1(VALU_DEP_2)
	v_fma_mix_f32 v27, v44, v1, v27 op_sel_hi:[1,1,0]
	v_fma_mix_f32 v28, v39, v1, v28 op_sel_hi:[1,1,0]
	s_delay_alu instid0(VALU_DEP_2) | instskip(NEXT) | instid1(VALU_DEP_2)
	v_fma_mix_f32 v27, v47, v1, v27 op_sel:[0,1,0] op_sel_hi:[1,1,0]
	v_fma_mix_f32 v28, v42, v1, v28 op_sel:[0,1,0] op_sel_hi:[1,1,0]
	s_delay_alu instid0(VALU_DEP_2) | instskip(NEXT) | instid1(VALU_DEP_2)
	;; [unrolled: 6-line block ×4, first 2 shown]
	v_fma_mixlo_f16 v27, v27, v18, 0 op_sel_hi:[0,1,0]
	v_fma_mixlo_f16 v28, v28, v18, 0 op_sel:[0,1,0] op_sel_hi:[0,1,0]
	s_delay_alu instid0(VALU_DEP_2) | instskip(NEXT) | instid1(VALU_DEP_2)
	v_add_f16_e32 v27, v32, v27
	v_add_f16_e32 v10, v10, v28
	s_delay_alu instid0(VALU_DEP_1) | instskip(SKIP_1) | instid1(VALU_DEP_1)
	v_pack_b32_f16 v32, v27, v10
	v_fma_mix_f32 v10, v30, v0, 0 op_sel_hi:[1,1,0]
	v_fma_mix_f32 v10, v31, v0, v10 op_sel:[0,1,0] op_sel_hi:[1,1,0]
	s_delay_alu instid0(VALU_DEP_1) | instskip(NEXT) | instid1(VALU_DEP_1)
	v_fma_mix_f32 v10, v33, v1, v10 op_sel_hi:[1,1,0]
	v_fma_mix_f32 v10, v35, v1, v10 op_sel:[0,1,0] op_sel_hi:[1,1,0]
	s_delay_alu instid0(VALU_DEP_1) | instskip(NEXT) | instid1(VALU_DEP_1)
	;; [unrolled: 3-line block ×4, first 2 shown]
	v_fma_mixlo_f16 v10, v10, v19, 0 op_sel_hi:[0,1,0]
	v_add_f16_e32 v7, v7, v10
	v_fma_mix_f32 v10, v29, v0, 0 op_sel_hi:[1,1,0]
	s_delay_alu instid0(VALU_DEP_1) | instskip(NEXT) | instid1(VALU_DEP_1)
	v_fma_mix_f32 v0, v21, v0, v10 op_sel:[0,1,0] op_sel_hi:[1,1,0]
	v_fma_mix_f32 v0, v20, v1, v0 op_sel_hi:[1,1,0]
	s_delay_alu instid0(VALU_DEP_1) | instskip(NEXT) | instid1(VALU_DEP_1)
	v_fma_mix_f32 v0, v13, v1, v0 op_sel:[0,1,0] op_sel_hi:[1,1,0]
	;; [unrolled: 3-line block ×4, first 2 shown]
	v_fma_mixlo_f16 v0, v0, v19, 0 op_sel:[0,1,0] op_sel_hi:[0,1,0]
	s_delay_alu instid0(VALU_DEP_1) | instskip(NEXT) | instid1(VALU_DEP_1)
	v_add_f16_e32 v0, v6, v0
	v_pack_b32_f16 v33, v7, v0
	v_add_nc_u64_e32 v[0:1], s[6:7], v[4:5]
	s_cbranch_scc1 .LBB42_22
.LBB42_20:                              ; =>This Inner Loop Header: Depth=1
	s_cmp_lg_u32 s15, s12
	s_cbranch_scc1 .LBB42_19
; %bb.21:                               ;   in Loop: Header=BB42_20 Depth=1
	s_add_co_i32 s17, s17, 1
	s_add_co_i32 s12, s12, s0
	s_mul_i32 s5, s17, s4
	s_delay_alu instid0(SALU_CYCLE_1) | instskip(SKIP_2) | instid1(SALU_CYCLE_1)
	s_ashr_i32 s13, s5, 31
	v_add_nc_u32_e32 v2, s5, v16
	s_lshr_b32 s13, s13, 30
	s_add_co_i32 s13, s5, s13
	s_delay_alu instid0(SALU_CYCLE_1) | instskip(NEXT) | instid1(SALU_CYCLE_1)
	s_ashr_i32 s5, s13, 2
	v_add_nc_u32_e32 v4, s5, v22
	global_load_b32 v4, v4, s[2:3] scale_offset
	s_wait_loadcnt 0x0
	v_dual_ashrrev_i32 v3, 31, v2 :: v_dual_lshrrev_b32 v26, 24, v4
	s_delay_alu instid0(VALU_DEP_1)
	v_lshl_add_u64 v[2:3], v[2:3], 1, s[8:9]
	v_and_b32_e32 v17, 0xff, v4
	v_bfe_u32 v24, v4, 8, 8
	v_bfe_u32 v25, v4, 16, 8
	global_load_b64 v[18:19], v[2:3], off
	s_branch .LBB42_19
.LBB42_22:
	v_mad_u32 v0, s14, s4, v16
	s_mov_b32 s0, 0
	s_delay_alu instid0(VALU_DEP_1) | instskip(SKIP_1) | instid1(VALU_DEP_1)
	v_ashrrev_i32_e32 v1, 31, v0
	s_wait_kmcnt 0x0
	v_lshl_add_u64 v[2:3], v[0:1], 1, s[10:11]
	global_load_b32 v5, v[2:3], off
.LBB42_23:                              ; =>This Inner Loop Header: Depth=1
	s_wait_loadcnt 0x0
	v_pk_add_f16 v4, v15, v5
	global_atomic_cmpswap_b32 v1, v[2:3], v[4:5], off th:TH_ATOMIC_RETURN scope:SCOPE_DEV
	s_wait_loadcnt 0x0
	v_cmp_eq_u32_e32 vcc_lo, v5, v1
	v_mov_b32_e32 v5, v1
	s_or_b32 s0, vcc_lo, s0
	s_delay_alu instid0(SALU_CYCLE_1)
	s_and_not1_b32 exec_lo, exec_lo, s0
	s_cbranch_execnz .LBB42_23
; %bb.24:
	s_or_b32 exec_lo, exec_lo, s0
	global_load_b32 v5, v[2:3], off offset:4
	s_mov_b32 s0, 0
.LBB42_25:                              ; =>This Inner Loop Header: Depth=1
	s_wait_loadcnt 0x0
	v_pk_add_f16 v4, v14, v5
	global_atomic_cmpswap_b32 v1, v[2:3], v[4:5], off offset:4 th:TH_ATOMIC_RETURN scope:SCOPE_DEV
	s_wait_loadcnt 0x0
	v_cmp_eq_u32_e32 vcc_lo, v5, v1
	v_mov_b32_e32 v5, v1
	s_or_b32 s0, vcc_lo, s0
	s_delay_alu instid0(SALU_CYCLE_1)
	s_and_not1_b32 exec_lo, exec_lo, s0
	s_cbranch_execnz .LBB42_25
; %bb.26:
	s_or_b32 exec_lo, exec_lo, s0
	v_add_nc_u32_e32 v0, s4, v0
	s_mov_b32 s0, 0
	s_delay_alu instid0(VALU_DEP_1) | instskip(NEXT) | instid1(VALU_DEP_1)
	v_ashrrev_i32_e32 v1, 31, v0
	v_lshl_add_u64 v[2:3], v[0:1], 1, s[10:11]
	global_load_b32 v5, v[2:3], off
.LBB42_27:                              ; =>This Inner Loop Header: Depth=1
	s_wait_loadcnt 0x0
	v_pk_add_f16 v4, v56, v5
	global_atomic_cmpswap_b32 v1, v[2:3], v[4:5], off th:TH_ATOMIC_RETURN scope:SCOPE_DEV
	s_wait_loadcnt 0x0
	v_cmp_eq_u32_e32 vcc_lo, v5, v1
	v_mov_b32_e32 v5, v1
	s_or_b32 s0, vcc_lo, s0
	s_delay_alu instid0(SALU_CYCLE_1)
	s_and_not1_b32 exec_lo, exec_lo, s0
	s_cbranch_execnz .LBB42_27
; %bb.28:
	s_or_b32 exec_lo, exec_lo, s0
	global_load_b32 v5, v[2:3], off offset:4
	s_mov_b32 s0, 0
.LBB42_29:                              ; =>This Inner Loop Header: Depth=1
	s_wait_loadcnt 0x0
	v_pk_add_f16 v4, v55, v5
	global_atomic_cmpswap_b32 v1, v[2:3], v[4:5], off offset:4 th:TH_ATOMIC_RETURN scope:SCOPE_DEV
	s_wait_loadcnt 0x0
	v_cmp_eq_u32_e32 vcc_lo, v5, v1
	v_mov_b32_e32 v5, v1
	s_or_b32 s0, vcc_lo, s0
	s_delay_alu instid0(SALU_CYCLE_1)
	s_and_not1_b32 exec_lo, exec_lo, s0
	s_cbranch_execnz .LBB42_29
; %bb.30:
	s_or_b32 exec_lo, exec_lo, s0
	v_add_nc_u32_e32 v0, s4, v0
	s_mov_b32 s0, 0
	s_delay_alu instid0(VALU_DEP_1) | instskip(NEXT) | instid1(VALU_DEP_1)
	v_ashrrev_i32_e32 v1, 31, v0
	;; [unrolled: 34-line block ×6, first 2 shown]
	v_lshl_add_u64 v[0:1], v[0:1], 1, s[10:11]
	global_load_b32 v3, v[0:1], off
.LBB42_47:                              ; =>This Inner Loop Header: Depth=1
	s_wait_loadcnt 0x0
	v_pk_add_f16 v2, v32, v3
	global_atomic_cmpswap_b32 v2, v[0:1], v[2:3], off th:TH_ATOMIC_RETURN scope:SCOPE_DEV
	s_wait_loadcnt 0x0
	v_cmp_eq_u32_e32 vcc_lo, v3, v2
	v_mov_b32_e32 v3, v2
	s_or_b32 s0, vcc_lo, s0
	s_delay_alu instid0(SALU_CYCLE_1)
	s_and_not1_b32 exec_lo, exec_lo, s0
	s_cbranch_execnz .LBB42_47
; %bb.48:
	s_or_b32 exec_lo, exec_lo, s0
	global_load_b32 v3, v[0:1], off offset:4
	s_mov_b32 s0, 0
.LBB42_49:                              ; =>This Inner Loop Header: Depth=1
	s_wait_loadcnt 0x0
	v_pk_add_f16 v2, v33, v3
	global_atomic_cmpswap_b32 v2, v[0:1], v[2:3], off offset:4 th:TH_ATOMIC_RETURN scope:SCOPE_DEV
	s_wait_loadcnt 0x0
	v_cmp_eq_u32_e32 vcc_lo, v3, v2
	v_mov_b32_e32 v3, v2
	s_or_b32 s0, vcc_lo, s0
	s_delay_alu instid0(SALU_CYCLE_1)
	s_and_not1_b32 exec_lo, exec_lo, s0
	s_cbranch_execnz .LBB42_49
.LBB42_50:
	s_endpgm
	.section	.rodata,"a",@progbits
	.p2align	6, 0x0
	.amdhsa_kernel _ZN4vllm4gptq33gemm_half_q_half_gptq_8bit_kernelILb1ELi7EEEvPK6__halfPKjS6_S4_PS2_iiiibPKi
		.amdhsa_group_segment_fixed_size 1792
		.amdhsa_private_segment_fixed_size 0
		.amdhsa_kernarg_size 72
		.amdhsa_user_sgpr_count 2
		.amdhsa_user_sgpr_dispatch_ptr 0
		.amdhsa_user_sgpr_queue_ptr 0
		.amdhsa_user_sgpr_kernarg_segment_ptr 1
		.amdhsa_user_sgpr_dispatch_id 0
		.amdhsa_user_sgpr_kernarg_preload_length 0
		.amdhsa_user_sgpr_kernarg_preload_offset 0
		.amdhsa_user_sgpr_private_segment_size 0
		.amdhsa_wavefront_size32 1
		.amdhsa_uses_dynamic_stack 0
		.amdhsa_enable_private_segment 0
		.amdhsa_system_sgpr_workgroup_id_x 1
		.amdhsa_system_sgpr_workgroup_id_y 1
		.amdhsa_system_sgpr_workgroup_id_z 1
		.amdhsa_system_sgpr_workgroup_info 0
		.amdhsa_system_vgpr_workitem_id 0
		.amdhsa_next_free_vgpr 104
		.amdhsa_next_free_sgpr 21
		.amdhsa_named_barrier_count 0
		.amdhsa_reserve_vcc 1
		.amdhsa_float_round_mode_32 0
		.amdhsa_float_round_mode_16_64 0
		.amdhsa_float_denorm_mode_32 3
		.amdhsa_float_denorm_mode_16_64 3
		.amdhsa_fp16_overflow 0
		.amdhsa_memory_ordered 1
		.amdhsa_forward_progress 1
		.amdhsa_inst_pref_size 135
		.amdhsa_round_robin_scheduling 0
		.amdhsa_exception_fp_ieee_invalid_op 0
		.amdhsa_exception_fp_denorm_src 0
		.amdhsa_exception_fp_ieee_div_zero 0
		.amdhsa_exception_fp_ieee_overflow 0
		.amdhsa_exception_fp_ieee_underflow 0
		.amdhsa_exception_fp_ieee_inexact 0
		.amdhsa_exception_int_div_zero 0
	.end_amdhsa_kernel
	.section	.text._ZN4vllm4gptq33gemm_half_q_half_gptq_8bit_kernelILb1ELi7EEEvPK6__halfPKjS6_S4_PS2_iiiibPKi,"axG",@progbits,_ZN4vllm4gptq33gemm_half_q_half_gptq_8bit_kernelILb1ELi7EEEvPK6__halfPKjS6_S4_PS2_iiiibPKi,comdat
.Lfunc_end42:
	.size	_ZN4vllm4gptq33gemm_half_q_half_gptq_8bit_kernelILb1ELi7EEEvPK6__halfPKjS6_S4_PS2_iiiibPKi, .Lfunc_end42-_ZN4vllm4gptq33gemm_half_q_half_gptq_8bit_kernelILb1ELi7EEEvPK6__halfPKjS6_S4_PS2_iiiibPKi
                                        ; -- End function
	.set _ZN4vllm4gptq33gemm_half_q_half_gptq_8bit_kernelILb1ELi7EEEvPK6__halfPKjS6_S4_PS2_iiiibPKi.num_vgpr, 104
	.set _ZN4vllm4gptq33gemm_half_q_half_gptq_8bit_kernelILb1ELi7EEEvPK6__halfPKjS6_S4_PS2_iiiibPKi.num_agpr, 0
	.set _ZN4vllm4gptq33gemm_half_q_half_gptq_8bit_kernelILb1ELi7EEEvPK6__halfPKjS6_S4_PS2_iiiibPKi.numbered_sgpr, 21
	.set _ZN4vllm4gptq33gemm_half_q_half_gptq_8bit_kernelILb1ELi7EEEvPK6__halfPKjS6_S4_PS2_iiiibPKi.num_named_barrier, 0
	.set _ZN4vllm4gptq33gemm_half_q_half_gptq_8bit_kernelILb1ELi7EEEvPK6__halfPKjS6_S4_PS2_iiiibPKi.private_seg_size, 0
	.set _ZN4vllm4gptq33gemm_half_q_half_gptq_8bit_kernelILb1ELi7EEEvPK6__halfPKjS6_S4_PS2_iiiibPKi.uses_vcc, 1
	.set _ZN4vllm4gptq33gemm_half_q_half_gptq_8bit_kernelILb1ELi7EEEvPK6__halfPKjS6_S4_PS2_iiiibPKi.uses_flat_scratch, 0
	.set _ZN4vllm4gptq33gemm_half_q_half_gptq_8bit_kernelILb1ELi7EEEvPK6__halfPKjS6_S4_PS2_iiiibPKi.has_dyn_sized_stack, 0
	.set _ZN4vllm4gptq33gemm_half_q_half_gptq_8bit_kernelILb1ELi7EEEvPK6__halfPKjS6_S4_PS2_iiiibPKi.has_recursion, 0
	.set _ZN4vllm4gptq33gemm_half_q_half_gptq_8bit_kernelILb1ELi7EEEvPK6__halfPKjS6_S4_PS2_iiiibPKi.has_indirect_call, 0
	.section	.AMDGPU.csdata,"",@progbits
; Kernel info:
; codeLenInByte = 17168
; TotalNumSgprs: 23
; NumVgprs: 104
; ScratchSize: 0
; MemoryBound: 0
; FloatMode: 240
; IeeeMode: 1
; LDSByteSize: 1792 bytes/workgroup (compile time only)
; SGPRBlocks: 0
; VGPRBlocks: 6
; NumSGPRsForWavesPerEU: 23
; NumVGPRsForWavesPerEU: 104
; NamedBarCnt: 0
; Occupancy: 9
; WaveLimiterHint : 0
; COMPUTE_PGM_RSRC2:SCRATCH_EN: 0
; COMPUTE_PGM_RSRC2:USER_SGPR: 2
; COMPUTE_PGM_RSRC2:TRAP_HANDLER: 0
; COMPUTE_PGM_RSRC2:TGID_X_EN: 1
; COMPUTE_PGM_RSRC2:TGID_Y_EN: 1
; COMPUTE_PGM_RSRC2:TGID_Z_EN: 1
; COMPUTE_PGM_RSRC2:TIDIG_COMP_CNT: 0
	.section	.text._ZN4vllm4gptq33gemm_half_q_half_gptq_2bit_kernelILb1ELi8EEEvPK6__halfPKjS6_S4_PS2_iiiibPKi,"axG",@progbits,_ZN4vllm4gptq33gemm_half_q_half_gptq_2bit_kernelILb1ELi8EEEvPK6__halfPKjS6_S4_PS2_iiiibPKi,comdat
	.protected	_ZN4vllm4gptq33gemm_half_q_half_gptq_2bit_kernelILb1ELi8EEEvPK6__halfPKjS6_S4_PS2_iiiibPKi ; -- Begin function _ZN4vllm4gptq33gemm_half_q_half_gptq_2bit_kernelILb1ELi8EEEvPK6__halfPKjS6_S4_PS2_iiiibPKi
	.globl	_ZN4vllm4gptq33gemm_half_q_half_gptq_2bit_kernelILb1ELi8EEEvPK6__halfPKjS6_S4_PS2_iiiibPKi
	.p2align	8
	.type	_ZN4vllm4gptq33gemm_half_q_half_gptq_2bit_kernelILb1ELi8EEEvPK6__halfPKjS6_S4_PS2_iiiibPKi,@function
_ZN4vllm4gptq33gemm_half_q_half_gptq_2bit_kernelILb1ELi8EEEvPK6__halfPKjS6_S4_PS2_iiiibPKi: ; @_ZN4vllm4gptq33gemm_half_q_half_gptq_2bit_kernelILb1ELi8EEEvPK6__halfPKjS6_S4_PS2_iiiibPKi
; %bb.0:
	s_load_b128 s[4:7], s[0:1], 0x2c
	s_bfe_u32 s2, ttmp6, 0x40010
	s_and_b32 s3, ttmp7, 0xffff
	s_add_co_i32 s2, s2, 1
	s_bfe_u32 s9, ttmp6, 0x40014
	s_mul_i32 s2, s3, s2
	s_bfe_u32 s8, ttmp6, 0x40004
	s_lshr_b32 s10, ttmp7, 16
	s_add_co_i32 s9, s9, 1
	s_add_co_i32 s8, s8, s2
	s_mul_i32 s2, s10, s9
	s_bfe_u32 s9, ttmp6, 0x40008
	s_getreg_b32 s17, hwreg(HW_REG_IB_STS2, 6, 4)
	s_add_co_i32 s9, s9, s2
	s_cmp_eq_u32 s17, 0
	s_mov_b32 s12, exec_lo
	s_cselect_b32 s2, s10, s9
	s_cselect_b32 s8, s3, s8
	s_lshl_b32 s15, s2, 7
	s_lshl_b32 s14, s8, 3
	s_add_co_i32 s2, s15, 0x80
	s_delay_alu instid0(SALU_CYCLE_1) | instskip(SKIP_3) | instid1(VALU_DEP_1)
	v_cvt_f64_u32_e32 v[2:3], s2
	s_load_b64 s[2:3], s[0:1], 0x10
	s_wait_kmcnt 0x0
	v_cvt_f64_i32_e32 v[4:5], s5
	v_min_num_f64_e32 v[2:3], v[2:3], v[4:5]
	s_delay_alu instid0(VALU_DEP_1) | instskip(SKIP_1) | instid1(VALU_DEP_2)
	v_cvt_i32_f64_e32 v1, v[2:3]
	v_add_nc_u32_e32 v2, s15, v0
	v_readfirstlane_b32 s16, v1
	s_delay_alu instid0(VALU_DEP_2)
	v_cmpx_lt_u32_e64 v2, v1
	s_cbranch_execz .LBB43_18
; %bb.1:
	s_clause 0x1
	s_load_b64 s[10:11], s[0:1], 0x40
	s_load_b64 s[8:9], s[0:1], 0x0
	v_mov_b32_e32 v3, 0
	s_delay_alu instid0(VALU_DEP_1)
	v_mov_b64_e32 v[6:7], v[2:3]
	s_wait_kmcnt 0x0
	v_lshl_add_u64 v[4:5], v[2:3], 2, s[10:11]
	s_cmp_lg_u64 s[10:11], 0
	s_cselect_b32 s13, -1, 0
	s_cmp_eq_u64 s[10:11], 0
	s_cbranch_scc1 .LBB43_3
; %bb.2:
	global_load_b32 v6, v[4:5], off
	s_wait_loadcnt 0x0
	v_ashrrev_i32_e32 v7, 31, v6
.LBB43_3:
	s_mul_i32 s10, s14, s5
	v_cndmask_b32_e64 v8, 0, 1, s13
	s_ashr_i32 s11, s10, 31
	v_lshlrev_b32_e32 v1, 1, v0
	s_lshl_b64 s[18:19], s[10:11], 1
	s_and_not1_b32 vcc_lo, exec_lo, s13
	s_add_nc_u64 s[18:19], s[8:9], s[18:19]
	s_delay_alu instid0(SALU_CYCLE_1)
	v_lshl_add_u64 v[6:7], v[6:7], 1, s[18:19]
	global_load_u16 v9, v[6:7], off
	s_wait_xcnt 0x0
	v_mov_b64_e32 v[6:7], v[2:3]
	s_wait_loadcnt 0x0
	ds_store_b16 v1, v9
	s_cbranch_vccnz .LBB43_5
; %bb.4:
	global_load_b32 v6, v[4:5], off
	s_wait_loadcnt 0x0
	v_ashrrev_i32_e32 v7, 31, v6
.LBB43_5:
	s_add_co_i32 s10, s10, s5
	v_cmp_ne_u32_e32 vcc_lo, 1, v8
	s_ashr_i32 s11, s10, 31
	s_delay_alu instid0(SALU_CYCLE_1) | instskip(SKIP_2) | instid1(SALU_CYCLE_1)
	s_lshl_b64 s[18:19], s[10:11], 1
	s_and_b32 vcc_lo, exec_lo, vcc_lo
	s_add_nc_u64 s[18:19], s[8:9], s[18:19]
	v_lshl_add_u64 v[6:7], v[6:7], 1, s[18:19]
	global_load_u16 v9, v[6:7], off
	s_wait_xcnt 0x0
	v_mov_b64_e32 v[6:7], v[2:3]
	s_wait_loadcnt 0x0
	ds_store_b16 v1, v9 offset:256
	s_cbranch_vccnz .LBB43_7
; %bb.6:
	global_load_b32 v6, v[4:5], off
	s_wait_loadcnt 0x0
	v_ashrrev_i32_e32 v7, 31, v6
.LBB43_7:
	s_add_co_i32 s10, s10, s5
	v_cmp_ne_u32_e32 vcc_lo, 1, v8
	s_ashr_i32 s11, s10, 31
	s_delay_alu instid0(SALU_CYCLE_1) | instskip(SKIP_2) | instid1(SALU_CYCLE_1)
	s_lshl_b64 s[18:19], s[10:11], 1
	s_and_b32 vcc_lo, exec_lo, vcc_lo
	s_add_nc_u64 s[18:19], s[8:9], s[18:19]
	v_lshl_add_u64 v[6:7], v[6:7], 1, s[18:19]
	global_load_u16 v9, v[6:7], off
	s_wait_xcnt 0x0
	v_mov_b64_e32 v[6:7], v[2:3]
	s_wait_loadcnt 0x0
	ds_store_b16 v1, v9 offset:512
	;; [unrolled: 19-line block ×5, first 2 shown]
	s_cbranch_vccnz .LBB43_15
; %bb.14:
	global_load_b32 v6, v[4:5], off
	s_wait_loadcnt 0x0
	v_ashrrev_i32_e32 v7, 31, v6
.LBB43_15:
	s_add_co_i32 s10, s10, s5
	v_cmp_ne_u32_e32 vcc_lo, 1, v8
	s_ashr_i32 s11, s10, 31
	s_delay_alu instid0(SALU_CYCLE_1) | instskip(SKIP_2) | instid1(SALU_CYCLE_1)
	s_lshl_b64 s[18:19], s[10:11], 1
	s_and_b32 vcc_lo, exec_lo, vcc_lo
	s_add_nc_u64 s[18:19], s[8:9], s[18:19]
	v_lshl_add_u64 v[6:7], v[6:7], 1, s[18:19]
	global_load_u16 v6, v[6:7], off
	s_wait_loadcnt 0x0
	ds_store_b16 v1, v6 offset:1536
	s_cbranch_vccnz .LBB43_17
; %bb.16:
	global_load_b32 v2, v[4:5], off
	s_wait_loadcnt 0x0
	v_ashrrev_i32_e32 v3, 31, v2
.LBB43_17:
	s_add_co_i32 s10, s10, s5
	s_delay_alu instid0(SALU_CYCLE_1) | instskip(NEXT) | instid1(SALU_CYCLE_1)
	s_ashr_i32 s11, s10, 31
	s_lshl_b64 s[10:11], s[10:11], 1
	s_delay_alu instid0(SALU_CYCLE_1) | instskip(NEXT) | instid1(SALU_CYCLE_1)
	s_add_nc_u64 s[8:9], s[8:9], s[10:11]
	v_lshl_add_u64 v[2:3], v[2:3], 1, s[8:9]
	global_load_u16 v2, v[2:3], off
	s_wait_loadcnt 0x0
	ds_store_b16 v1, v2 offset:1792
.LBB43_18:
	s_or_b32 exec_lo, exec_lo, s12
	s_clause 0x1
	s_load_b64 s[12:13], s[0:1], 0x8
	s_load_b128 s[8:11], s[0:1], 0x18
	s_wait_xcnt 0x0
	s_bfe_u32 s0, ttmp6, 0x4000c
	s_and_b32 s1, ttmp6, 15
	s_add_co_i32 s0, s0, 1
	v_lshlrev_b32_e32 v1, 2, v0
	s_mul_i32 s0, ttmp9, s0
	s_delay_alu instid0(SALU_CYCLE_1)
	s_add_co_i32 s1, s1, s0
	s_cmp_eq_u32 s17, 0
	s_cselect_b32 s0, ttmp9, s1
	s_mov_b32 s1, 0
	v_lshl_add_u32 v4, s0, 9, v1
	s_mov_b32 s0, exec_lo
	s_delay_alu instid0(VALU_DEP_1)
	v_cmpx_gt_i32_e64 s4, v4
	s_cbranch_execz .LBB43_56
; %bb.19:
	s_abs_i32 s17, s6
	v_dual_mov_b32 v29, 0 :: v_dual_mov_b32 v28, 0
	s_cvt_f32_u32 s0, s17
	v_dual_mov_b32 v27, 0 :: v_dual_mov_b32 v26, 0
	v_dual_mov_b32 v25, 0 :: v_dual_mov_b32 v24, 0
	s_delay_alu instid0(SALU_CYCLE_1) | instskip(SKIP_3) | instid1(TRANS32_DEP_1)
	v_rcp_iflag_f32_e32 v1, s0
	v_dual_mov_b32 v23, 0 :: v_dual_mov_b32 v22, 0
	v_dual_mov_b32 v21, 0 :: v_dual_mov_b32 v20, 0
	v_dual_mov_b32 v19, 0 :: v_dual_mov_b32 v18, 0
	v_readfirstlane_b32 s0, v1
	v_dual_mov_b32 v17, 0 :: v_dual_mov_b32 v16, 0
	v_dual_mov_b32 v15, 0 :: v_dual_mov_b32 v14, 0
	s_cmp_ge_i32 s15, s16
	s_wait_dscnt 0x0
	s_barrier_signal -1
	s_barrier_wait -1
	s_cbranch_scc1 .LBB43_24
; %bb.20:
	s_mul_f32 s0, s0, 0x4f7ffffe
	s_ashr_i32 s6, s6, 31
	v_dual_mov_b32 v14, 0 :: v_dual_ashrrev_i32 v5, 31, v4
	v_mov_b32_e32 v15, 0
	s_cvt_u32_f32 s18, s0
	s_sub_co_i32 s0, 0, s17
	v_dual_mov_b32 v16, 0 :: v_dual_mov_b32 v17, 0
	s_delay_alu instid0(SALU_CYCLE_1)
	s_mul_i32 s19, s0, s18
	s_abs_i32 s0, s5
	s_mul_hi_u32 s20, s18, s19
	s_mov_b32 s19, s1
	s_add_co_i32 s18, s18, s20
	s_ashr_i32 s5, s5, 31
	s_mul_u64 s[18:19], s[0:1], s[18:19]
	s_xor_b32 s5, s5, s6
	s_mul_i32 s18, s19, s17
	s_add_co_i32 s6, s19, 1
	s_sub_co_i32 s0, s0, s18
	v_dual_mov_b32 v18, 0 :: v_dual_mov_b32 v19, 0
	s_sub_co_i32 s18, s0, s17
	s_cmp_ge_u32 s0, s17
	v_dual_mov_b32 v20, 0 :: v_dual_mov_b32 v21, 0
	s_cselect_b32 s6, s6, s19
	s_cselect_b32 s0, s18, s0
	s_add_co_i32 s18, s6, 1
	s_cmp_ge_u32 s0, s17
	v_dual_mov_b32 v22, 0 :: v_dual_mov_b32 v23, 0
	s_cselect_b32 s0, s18, s6
	v_dual_mov_b32 v24, 0 :: v_dual_mov_b32 v25, 0
	s_xor_b32 s0, s0, s5
	v_dual_mov_b32 v26, 0 :: v_dual_mov_b32 v27, 0
	s_sub_co_i32 s0, s0, s5
	s_bitcmp1_b32 s7, 0
	s_cvt_f32_u32 s5, s0
	s_cselect_b32 s6, -1, 0
	s_sub_co_i32 s7, 0, s0
	s_xor_b32 s20, s6, -1
	v_rcp_iflag_f32_e32 v1, s5
	v_cndmask_b32_e64 v32, 0, 1, s20
	s_mov_b32 s18, 0x10001
	s_mov_b32 s19, 0x30003
	;; [unrolled: 1-line block ×3, first 2 shown]
	v_mov_b32_e32 v29, 0
	s_delay_alu instid0(TRANS32_DEP_1) | instskip(SKIP_1) | instid1(SALU_CYCLE_3)
	v_readfirstlane_b32 s5, v1
	s_mul_f32 s5, s5, 0x4f7ffffe
	s_cvt_u32_f32 s5, s5
	s_delay_alu instid0(SALU_CYCLE_3) | instskip(NEXT) | instid1(SALU_CYCLE_1)
	s_mul_i32 s7, s7, s5
	s_mul_hi_u32 s7, s5, s7
	s_delay_alu instid0(SALU_CYCLE_1) | instskip(NEXT) | instid1(SALU_CYCLE_1)
	s_add_co_i32 s5, s5, s7
	s_mul_hi_u32 s5, s15, s5
	s_delay_alu instid0(SALU_CYCLE_1) | instskip(NEXT) | instid1(SALU_CYCLE_1)
	s_mul_i32 s7, s5, s0
	s_sub_co_i32 s6, s15, s7
	s_add_co_i32 s7, s5, 1
	s_sub_co_i32 s17, s6, s0
	s_cmp_ge_u32 s6, s0
	s_cselect_b32 s5, s7, s5
	s_cselect_b32 s6, s17, s6
	s_add_co_i32 s7, s5, 1
	s_cmp_ge_u32 s6, s0
	s_cselect_b32 s17, s7, s5
	s_delay_alu instid0(SALU_CYCLE_1) | instskip(NEXT) | instid1(SALU_CYCLE_1)
	s_mul_i32 s5, s17, s4
	v_dual_lshrrev_b32 v1, 28, v5 :: v_dual_add_nc_u32 v2, s5, v4
	s_ashr_i32 s6, s5, 31
	s_delay_alu instid0(SALU_CYCLE_1) | instskip(NEXT) | instid1(VALU_DEP_1)
	s_lshr_b32 s6, s6, 28
	v_dual_add_nc_u32 v1, v4, v1 :: v_dual_ashrrev_i32 v3, 31, v2
	s_add_co_i32 s6, s5, s6
	s_lshr_b32 s5, s15, 4
	s_ashr_i32 s6, s6, 4
	s_delay_alu instid0(VALU_DEP_1) | instskip(SKIP_2) | instid1(VALU_DEP_2)
	v_ashrrev_i32_e32 v30, 4, v1
	s_wait_kmcnt 0x0
	v_lshl_add_u64 v[2:3], v[2:3], 1, s[8:9]
	v_add_nc_u32_e32 v1, s6, v30
	global_load_b64 v[6:7], v[2:3], off
	s_wait_xcnt 0x0
	v_lshlrev_b32_e32 v2, 3, v0
	s_mul_i32 s6, s4, s5
	v_mov_b32_e32 v28, 0
	global_load_b32 v10, v1, s[2:3] scale_offset
	s_ashr_i32 s7, s6, 31
	v_and_b32_e32 v31, 24, v2
	s_lshl_b64 s[6:7], s[6:7], 2
	s_ashr_i32 s5, s4, 31
	s_add_nc_u64 s[6:7], s[12:13], s[6:7]
	s_add_co_i32 s12, s0, s15
	s_wait_xcnt 0x0
	v_lshl_add_u64 v[0:1], v[4:5], 2, s[6:7]
	s_lshl_b64 s[6:7], s[4:5], 2
	s_mov_b32 s5, 0xc000c
	s_mov_b32 s13, 0x300030
	s_delay_alu instid0(VALU_DEP_1) | instskip(SKIP_3) | instid1(VALU_DEP_2)
	v_add_nc_u64_e32 v[8:9], 8, v[0:1]
	s_wait_loadcnt 0x0
	v_lshrrev_b32_e32 v2, v2, v10
	v_bfe_u32 v5, v10, v31, 2
	v_bfe_u32 v33, v2, 2, 2
	;; [unrolled: 1-line block ×4, first 2 shown]
	s_branch .LBB43_22
.LBB43_21:                              ;   in Loop: Header=BB43_22 Depth=1
	global_load_b128 v[0:3], v[8:9], off offset:-8
	v_dual_add_nc_u32 v11, v5, v32 :: v_dual_add_nc_u32 v13, v34, v32
	v_dual_add_nc_u32 v12, v33, v32 :: v_dual_add_nc_u32 v36, v35, v32
	v_mov_b32_e32 v10, s1
	s_delay_alu instid0(VALU_DEP_3) | instskip(SKIP_1) | instid1(VALU_DEP_4)
	v_cvt_f32_i32_e32 v37, v11
	v_and_b32_e32 v11, 0x1bff, v11
	v_cvt_f32_i32_e32 v38, v12
	v_cvt_f32_i32_e32 v39, v13
	;; [unrolled: 1-line block ×3, first 2 shown]
	v_cvt_f16_f32_e32 v48, v37
	v_mad_u32_u24 v44, v11, s18, 0xe400e400
	v_and_b32_e32 v12, 0x1bff, v12
	v_cvt_f16_f32_e32 v51, v38
	v_cvt_f16_f32_e32 v41, v39
	v_sub_f16_e32 v11, 0xdc00, v48
	v_cvt_f16_f32_e32 v40, v40
	v_and_b32_e32 v13, 0x1bff, v13
	v_and_b32_e32 v36, 0x1bff, v36
	v_mad_u32_u24 v45, v12, s18, 0xe400e400
	v_and_b32_e32 v11, 0xffff, v11
	v_sub_f16_e32 v12, 0xdc00, v51
	v_sub_f16_e32 v37, 0xdc00, v41
	;; [unrolled: 1-line block ×3, first 2 shown]
	v_mad_u32_u24 v47, v13, s18, 0xe400e400
	v_mul_u32_u24_e32 v56, 0x10001, v11
	v_and_b32_e32 v12, 0xffff, v12
	v_and_b32_e32 v13, 0xffff, v37
	;; [unrolled: 1-line block ×3, first 2 shown]
	v_mad_u32_u24 v49, v36, s18, 0xe400e400
	s_add_co_i32 s21, s1, 0x400
	v_mul_u32_u24_e32 v55, 0x10001, v12
	v_mul_u32_u24_e32 v54, 0x10001, v13
	;; [unrolled: 1-line block ×3, first 2 shown]
	v_sub_f16_e32 v74, 0xd400, v40
	v_sub_f16_e32 v40, 0xcc00, v40
	s_wait_xcnt 0x0
	v_add_nc_u64_e32 v[8:9], s[6:7], v[8:9]
	s_add_co_i32 s15, s15, 16
	v_and_b32_e32 v77, 0xffff, v74
	v_and_b32_e32 v40, 0xffff, v40
	s_delay_alu instid0(VALU_DEP_2)
	v_mul_u32_u24_e32 v77, 0x10001, v77
	s_wait_loadcnt 0x0
	v_lshrrev_b32_e32 v11, 8, v0
	ds_load_2addr_b32 v[58:59], v10 offset1:1
	ds_load_2addr_b32 v[62:63], v10 offset0:64 offset1:65
	v_and_or_b32 v36, v0, s19, 0x64006400
	v_and_or_b32 v39, v2, s19, 0x64006400
	;; [unrolled: 1-line block ×7, first 2 shown]
	v_dual_lshrrev_b32 v12, 8, v1 :: v_dual_lshrrev_b32 v13, 8, v2
	v_and_or_b32 v53, v2, s5, 0x64006400
	v_and_or_b32 v70, v2, s13, 0x64006400
	;; [unrolled: 1-line block ×4, first 2 shown]
	v_pk_add_f16 v2, v44, v36
	v_pk_add_f16 v39, v47, v39
	v_and_or_b32 v52, v1, s13, 0x64006400
	v_and_or_b32 v69, v1, s20, 0x64006400
	;; [unrolled: 1-line block ×5, first 2 shown]
	v_lshrrev_b32_e32 v46, 8, v3
	v_pk_fma_f16 v3, 0x3400, v37, v56 op_sel_hi:[0,1,1]
	v_pk_add_f16 v0, v45, v0
	v_pk_fma_f16 v1, 0x3400, v38, v55 op_sel_hi:[0,1,1]
	v_pk_fma_f16 v38, 0x3400, v53, v54 op_sel_hi:[0,1,1]
	v_pk_add_f16 v37, v49, v57
	s_wait_dscnt 0x1
	v_pk_fma_f16 v53, v2, v58, 0
	s_wait_dscnt 0x0
	v_pk_fma_f16 v72, v39, v62, 0
	v_pk_fma_f16 v61, v2, v62, 0
	;; [unrolled: 1-line block ×3, first 2 shown]
	v_pk_fma_f16 v36, 0x3400, v60, v50 op_sel_hi:[0,1,1]
	v_pk_fma_f16 v65, v3, v59, v53
	v_pk_fma_f16 v53, v37, v62, 0
	;; [unrolled: 1-line block ×3, first 2 shown]
	ds_load_2addr_b32 v[72:73], v10 offset0:128 offset1:129
	v_pk_fma_f16 v60, v39, v58, 0
	v_pk_fma_f16 v57, v0, v58, 0
	;; [unrolled: 1-line block ×3, first 2 shown]
	s_delay_alu instid0(VALU_DEP_3)
	v_pk_fma_f16 v67, v38, v59, v60
	v_pk_fma_f16 v60, v3, v63, v61
	;; [unrolled: 1-line block ×6, first 2 shown]
	s_wait_dscnt 0x0
	v_pk_fma_f16 v53, v2, v72, 0
	s_delay_alu instid0(VALU_DEP_1) | instskip(SKIP_1) | instid1(VALU_DEP_1)
	v_pk_fma_f16 v57, v3, v73, v53
	v_pk_fma_f16 v53, v0, v72, 0
	;; [unrolled: 1-line block ×4, first 2 shown]
	s_delay_alu instid0(VALU_DEP_1) | instskip(SKIP_1) | instid1(VALU_DEP_1)
	v_pk_fma_f16 v59, v38, v73, v53
	v_pk_fma_f16 v53, v37, v72, 0
	;; [unrolled: 1-line block ×3, first 2 shown]
	ds_load_2addr_b32 v[72:73], v10 offset0:192 offset1:193
	s_wait_dscnt 0x0
	v_pk_fma_f16 v53, v2, v72, 0
	s_delay_alu instid0(VALU_DEP_1) | instskip(SKIP_1) | instid1(VALU_DEP_1)
	v_pk_fma_f16 v82, v3, v73, v53
	v_pk_fma_f16 v53, v0, v72, 0
	;; [unrolled: 1-line block ×4, first 2 shown]
	s_delay_alu instid0(VALU_DEP_1) | instskip(SKIP_1) | instid1(VALU_DEP_1)
	v_pk_fma_f16 v88, v38, v73, v53
	v_pk_fma_f16 v53, v37, v72, 0
	;; [unrolled: 1-line block ×3, first 2 shown]
	v_mov_b32_e32 v53, s21
	s_add_co_i32 s21, s1, 0x500
	ds_load_2addr_b32 v[72:73], v53 offset1:1
	s_wait_dscnt 0x0
	v_pk_fma_f16 v53, v2, v72, 0
	s_delay_alu instid0(VALU_DEP_1) | instskip(SKIP_1) | instid1(VALU_DEP_1)
	v_pk_fma_f16 v83, v3, v73, v53
	v_pk_fma_f16 v53, v0, v72, 0
	;; [unrolled: 1-line block ×4, first 2 shown]
	s_delay_alu instid0(VALU_DEP_1) | instskip(SKIP_1) | instid1(VALU_DEP_1)
	v_pk_fma_f16 v89, v38, v73, v53
	v_pk_fma_f16 v53, v37, v72, 0
	v_pk_fma_f16 v92, v36, v73, v53
	v_mov_b32_e32 v53, s21
	s_add_co_i32 s21, s1, 0x408
	ds_load_2addr_b32 v[72:73], v53 offset1:1
	s_wait_dscnt 0x0
	v_pk_fma_f16 v53, v2, v72, 0
	s_delay_alu instid0(VALU_DEP_1) | instskip(SKIP_1) | instid1(VALU_DEP_1)
	v_pk_fma_f16 v84, v3, v73, v53
	v_pk_fma_f16 v53, v0, v72, 0
	;; [unrolled: 1-line block ×4, first 2 shown]
	s_delay_alu instid0(VALU_DEP_1) | instskip(SKIP_3) | instid1(VALU_DEP_3)
	v_pk_fma_f16 v90, v38, v73, v53
	v_pk_fma_f16 v53, v37, v72, 0
	v_sub_f16_e32 v72, 0xd400, v51
	v_sub_f16_e32 v51, 0xcc00, v51
	v_pk_fma_f16 v93, v36, v73, v53
	v_sub_f16_e32 v53, 0xd400, v48
	v_sub_f16_e32 v48, 0xcc00, v48
	;; [unrolled: 1-line block ×4, first 2 shown]
	v_and_b32_e32 v72, 0xffff, v72
	v_and_b32_e32 v53, 0xffff, v53
	;; [unrolled: 1-line block ×6, first 2 shown]
	v_mul_u32_u24_e32 v75, 0x10001, v53
	v_mul_u32_u24_e32 v73, 0x10001, v48
	;; [unrolled: 1-line block ×6, first 2 shown]
	v_pk_fma_f16 v53, 0x2c00, v42, v75 op_sel_hi:[0,1,1]
	v_pk_fma_f16 v51, 0x2400, v43, v73 op_sel_hi:[0,1,1]
	;; [unrolled: 1-line block ×4, first 2 shown]
	ds_load_2addr_b32 v[70:71], v10 offset0:2 offset1:3
	v_pk_fma_f16 v52, 0x2c00, v52, v74 op_sel_hi:[0,1,1]
	v_mul_u32_u24_e32 v76, 0x10001, v40
	v_pk_fma_f16 v48, 0x2400, v69, v72 op_sel_hi:[0,1,1]
	v_pk_fma_f16 v41, 0x2c00, v80, v77 op_sel_hi:[0,1,1]
	s_delay_alu instid0(VALU_DEP_3)
	v_pk_fma_f16 v40, 0x2400, v81, v76 op_sel_hi:[0,1,1]
	s_wait_dscnt 0x0
	v_pk_fma_f16 v66, v52, v70, v66
	v_pk_fma_f16 v67, v43, v70, v67
	v_pk_fma_f16 v68, v41, v70, v68
	v_pk_fma_f16 v65, v53, v70, v65
	s_delay_alu instid0(VALU_DEP_4) | instskip(NEXT) | instid1(VALU_DEP_4)
	v_pk_fma_f16 v80, v48, v71, v66
	v_pk_fma_f16 v81, v42, v71, v67
	ds_load_2addr_b32 v[66:67], v10 offset0:66 offset1:67
	v_pk_fma_f16 v94, v40, v71, v68
	v_pk_fma_f16 v65, v51, v71, v65
	s_wait_dscnt 0x0
	v_pk_fma_f16 v60, v53, v66, v60
	v_pk_fma_f16 v61, v52, v66, v61
	v_pk_fma_f16 v62, v43, v66, v62
	v_pk_fma_f16 v63, v41, v66, v63
	s_delay_alu instid0(VALU_DEP_4) | instskip(NEXT) | instid1(VALU_DEP_4)
	v_pk_fma_f16 v66, v51, v67, v60
	v_pk_fma_f16 v95, v48, v67, v61
	ds_load_2addr_b32 v[60:61], v10 offset0:130 offset1:131
	v_pk_fma_f16 v62, v42, v67, v62
	v_pk_fma_f16 v63, v40, v67, v63
	s_wait_dscnt 0x0
	v_pk_fma_f16 v58, v52, v60, v58
	v_pk_fma_f16 v59, v43, v60, v59
	v_pk_fma_f16 v57, v53, v60, v57
	v_pk_fma_f16 v60, v41, v60, v64
	s_delay_alu instid0(VALU_DEP_4) | instskip(NEXT) | instid1(VALU_DEP_4)
	v_pk_fma_f16 v67, v48, v61, v58
	v_pk_fma_f16 v96, v42, v61, v59
	ds_load_2addr_b32 v[58:59], v10 offset0:194 offset1:195
	v_pk_fma_f16 v64, v51, v61, v57
	v_pk_fma_f16 v60, v40, v61, v60
	s_wait_dscnt 0x0
	v_pk_fma_f16 v57, v53, v58, v82
	v_pk_fma_f16 v61, v52, v58, v85
	;; [unrolled: 1-line block ×4, first 2 shown]
	s_delay_alu instid0(VALU_DEP_4)
	v_pk_fma_f16 v82, v51, v59, v57
	v_mov_b32_e32 v57, s21
	v_pk_fma_f16 v61, v48, v59, v61
	v_pk_fma_f16 v85, v42, v59, v68
	v_pk_fma_f16 v88, v40, v59, v58
	s_add_co_i32 s21, s1, 0x508
	ds_load_2addr_b32 v[58:59], v57 offset1:1
	s_wait_dscnt 0x0
	v_pk_fma_f16 v57, v53, v58, v83
	v_pk_fma_f16 v68, v52, v58, v86
	;; [unrolled: 1-line block ×4, first 2 shown]
	s_delay_alu instid0(VALU_DEP_4)
	v_pk_fma_f16 v83, v51, v59, v57
	v_mov_b32_e32 v57, s21
	v_pk_fma_f16 v86, v48, v59, v68
	v_pk_fma_f16 v89, v42, v59, v69
	;; [unrolled: 1-line block ×3, first 2 shown]
	s_add_co_i32 s21, s1, 0x410
	ds_load_2addr_b32 v[58:59], v57 offset1:1
	s_wait_dscnt 0x0
	v_pk_fma_f16 v57, v53, v58, v84
	v_pk_fma_f16 v68, v52, v58, v87
	;; [unrolled: 1-line block ×4, first 2 shown]
	s_delay_alu instid0(VALU_DEP_4) | instskip(SKIP_1) | instid1(VALU_DEP_4)
	v_pk_fma_f16 v87, v51, v59, v57
	v_and_or_b32 v57, v11, s19, 0x64006400
	v_pk_fma_f16 v92, v42, v59, v69
	v_pk_fma_f16 v90, v48, v59, v68
	v_pk_fma_f16 v58, v40, v59, v58
	s_delay_alu instid0(VALU_DEP_4) | instskip(SKIP_1) | instid1(VALU_DEP_1)
	v_pk_add_f16 v69, v44, v57
	v_and_or_b32 v44, v11, s5, 0x64006400
	v_pk_fma_f16 v70, 0x3400, v44, v56 op_sel_hi:[0,1,1]
	v_and_or_b32 v44, v12, s19, 0x64006400
	ds_load_2addr_b32 v[56:57], v10 offset0:4 offset1:5
	v_pk_add_f16 v71, v45, v44
	v_and_or_b32 v44, v12, s5, 0x64006400
	s_delay_alu instid0(VALU_DEP_1) | instskip(SKIP_1) | instid1(VALU_DEP_1)
	v_pk_fma_f16 v68, 0x3400, v44, v55 op_sel_hi:[0,1,1]
	v_and_or_b32 v44, v13, s19, 0x64006400
	v_pk_add_f16 v55, v47, v44
	v_and_or_b32 v44, v13, s5, 0x64006400
	s_wait_dscnt 0x0
	v_pk_fma_f16 v47, v69, v56, v65
	s_delay_alu instid0(VALU_DEP_2) | instskip(SKIP_1) | instid1(VALU_DEP_3)
	v_pk_fma_f16 v54, 0x3400, v44, v54 op_sel_hi:[0,1,1]
	v_and_or_b32 v44, v46, s19, 0x64006400
	v_pk_fma_f16 v59, v70, v57, v47
	s_delay_alu instid0(VALU_DEP_2) | instskip(SKIP_2) | instid1(VALU_DEP_2)
	v_pk_add_f16 v45, v49, v44
	v_and_or_b32 v44, v46, s5, 0x64006400
	v_pk_fma_f16 v49, v71, v56, v80
	v_pk_fma_f16 v44, 0x3400, v44, v50 op_sel_hi:[0,1,1]
	v_pk_fma_f16 v50, v55, v56, v81
	v_pk_fma_f16 v56, v45, v56, v94
	s_delay_alu instid0(VALU_DEP_4) | instskip(NEXT) | instid1(VALU_DEP_3)
	v_pk_fma_f16 v80, v68, v57, v49
	v_pk_fma_f16 v81, v54, v57, v50
	s_delay_alu instid0(VALU_DEP_3)
	v_pk_fma_f16 v93, v44, v57, v56
	ds_load_2addr_b32 v[56:57], v10 offset0:68 offset1:69
	s_wait_dscnt 0x0
	v_pk_fma_f16 v47, v69, v56, v66
	v_pk_fma_f16 v49, v71, v56, v95
	;; [unrolled: 1-line block ×4, first 2 shown]
	s_delay_alu instid0(VALU_DEP_4) | instskip(NEXT) | instid1(VALU_DEP_4)
	v_pk_fma_f16 v62, v70, v57, v47
	v_pk_fma_f16 v63, v68, v57, v49
	s_delay_alu instid0(VALU_DEP_4) | instskip(NEXT) | instid1(VALU_DEP_4)
	v_pk_fma_f16 v94, v54, v57, v50
	v_pk_fma_f16 v95, v44, v57, v56
	ds_load_2addr_b32 v[56:57], v10 offset0:132 offset1:133
	s_wait_dscnt 0x0
	v_pk_fma_f16 v47, v69, v56, v64
	v_pk_fma_f16 v49, v71, v56, v67
	;; [unrolled: 1-line block ×4, first 2 shown]
	s_delay_alu instid0(VALU_DEP_4) | instskip(NEXT) | instid1(VALU_DEP_4)
	v_pk_fma_f16 v60, v70, v57, v47
	v_pk_fma_f16 v96, v68, v57, v49
	s_delay_alu instid0(VALU_DEP_4) | instskip(NEXT) | instid1(VALU_DEP_4)
	v_pk_fma_f16 v97, v54, v57, v50
	v_pk_fma_f16 v98, v44, v57, v56
	ds_load_2addr_b32 v[56:57], v10 offset0:196 offset1:197
	s_wait_dscnt 0x0
	v_pk_fma_f16 v47, v69, v56, v82
	v_pk_fma_f16 v49, v71, v56, v61
	;; [unrolled: 1-line block ×4, first 2 shown]
	s_delay_alu instid0(VALU_DEP_4)
	v_pk_fma_f16 v88, v70, v57, v47
	v_mov_b32_e32 v47, s21
	v_pk_fma_f16 v99, v68, v57, v49
	v_pk_fma_f16 v100, v54, v57, v50
	;; [unrolled: 1-line block ×3, first 2 shown]
	s_add_co_i32 s21, s1, 0x510
	ds_load_2addr_b32 v[56:57], v47 offset1:1
	s_wait_dscnt 0x0
	v_pk_fma_f16 v47, v69, v56, v83
	v_pk_fma_f16 v49, v71, v56, v86
	;; [unrolled: 1-line block ×4, first 2 shown]
	s_delay_alu instid0(VALU_DEP_4)
	v_pk_fma_f16 v64, v70, v57, v47
	v_mov_b32_e32 v47, s21
	v_pk_fma_f16 v65, v68, v57, v49
	v_pk_fma_f16 v84, v54, v57, v50
	;; [unrolled: 1-line block ×3, first 2 shown]
	s_add_co_i32 s21, s1, 0x418
	ds_load_2addr_b32 v[56:57], v47 offset1:1
	s_wait_dscnt 0x0
	v_pk_fma_f16 v47, v69, v56, v87
	v_pk_fma_f16 v50, v55, v56, v92
	;; [unrolled: 1-line block ×4, first 2 shown]
	s_delay_alu instid0(VALU_DEP_4)
	v_pk_fma_f16 v66, v70, v57, v47
	v_and_or_b32 v47, v11, s13, 0x64006400
	v_and_or_b32 v11, v11, s20, 0x64006400
	v_pk_fma_f16 v82, v54, v57, v50
	v_pk_fma_f16 v67, v68, v57, v49
	;; [unrolled: 1-line block ×3, first 2 shown]
	v_pk_fma_f16 v75, 0x2c00, v47, v75 op_sel_hi:[0,1,1]
	v_pk_fma_f16 v73, 0x2400, v11, v73 op_sel_hi:[0,1,1]
	v_and_or_b32 v11, v12, s13, 0x64006400
	s_delay_alu instid0(VALU_DEP_1) | instskip(SKIP_1) | instid1(VALU_DEP_1)
	v_pk_fma_f16 v74, 0x2c00, v11, v74 op_sel_hi:[0,1,1]
	v_and_or_b32 v11, v12, s20, 0x64006400
	v_pk_fma_f16 v72, 0x2400, v11, v72 op_sel_hi:[0,1,1]
	v_and_or_b32 v11, v13, s13, 0x64006400
	s_delay_alu instid0(VALU_DEP_1) | instskip(SKIP_4) | instid1(VALU_DEP_1)
	v_pk_fma_f16 v50, 0x2c00, v11, v79 op_sel_hi:[0,1,1]
	v_and_or_b32 v11, v13, s20, 0x64006400
	ds_load_2addr_b32 v[12:13], v10 offset0:6 offset1:7
	v_pk_fma_f16 v47, 0x2400, v11, v78 op_sel_hi:[0,1,1]
	v_and_or_b32 v11, v46, s13, 0x64006400
	v_pk_fma_f16 v49, 0x2c00, v11, v77 op_sel_hi:[0,1,1]
	v_and_or_b32 v11, v46, s20, 0x64006400
	s_delay_alu instid0(VALU_DEP_1)
	v_pk_fma_f16 v46, 0x2400, v11, v76 op_sel_hi:[0,1,1]
	s_wait_dscnt 0x0
	v_pk_fma_f16 v11, v75, v12, v59
	v_pk_fma_f16 v56, v74, v12, v80
	;; [unrolled: 1-line block ×4, first 2 shown]
	s_delay_alu instid0(VALU_DEP_4) | instskip(NEXT) | instid1(VALU_DEP_4)
	v_pk_fma_f16 v76, v73, v13, v11
	v_pk_fma_f16 v77, v72, v13, v56
	s_delay_alu instid0(VALU_DEP_4) | instskip(NEXT) | instid1(VALU_DEP_4)
	v_pk_fma_f16 v56, v47, v13, v57
	v_pk_fma_f16 v57, v46, v13, v12
	ds_load_2addr_b32 v[12:13], v10 offset0:70 offset1:71
	s_wait_dscnt 0x0
	v_pk_fma_f16 v11, v75, v12, v62
	v_pk_fma_f16 v58, v74, v12, v63
	v_pk_fma_f16 v59, v50, v12, v94
	v_pk_fma_f16 v12, v49, v12, v95
	s_delay_alu instid0(VALU_DEP_4) | instskip(NEXT) | instid1(VALU_DEP_4)
	v_pk_fma_f16 v78, v73, v13, v11
	v_pk_fma_f16 v79, v72, v13, v58
	s_delay_alu instid0(VALU_DEP_4) | instskip(NEXT) | instid1(VALU_DEP_4)
	v_pk_fma_f16 v58, v47, v13, v59
	v_pk_fma_f16 v59, v46, v13, v12
	ds_load_2addr_b32 v[12:13], v10 offset0:134 offset1:135
	s_wait_dscnt 0x0
	v_pk_fma_f16 v11, v75, v12, v60
	v_pk_fma_f16 v60, v74, v12, v96
	;; [unrolled: 1-line block ×4, first 2 shown]
	s_delay_alu instid0(VALU_DEP_4)
	v_pk_fma_f16 v80, v73, v13, v11
	ds_load_2addr_b32 v[10:11], v10 offset0:198 offset1:199
	v_pk_fma_f16 v81, v72, v13, v60
	v_pk_fma_f16 v60, v47, v13, v61
	v_pk_fma_f16 v61, v46, v13, v12
	s_wait_dscnt 0x0
	v_pk_fma_f16 v12, v75, v10, v88
	v_pk_fma_f16 v13, v74, v10, v99
	v_pk_fma_f16 v62, v50, v10, v100
	v_pk_fma_f16 v10, v49, v10, v101
	s_delay_alu instid0(VALU_DEP_4) | instskip(NEXT) | instid1(VALU_DEP_4)
	v_pk_fma_f16 v86, v73, v11, v12
	v_pk_fma_f16 v87, v72, v11, v13
	s_delay_alu instid0(VALU_DEP_4) | instskip(NEXT) | instid1(VALU_DEP_4)
	v_pk_fma_f16 v62, v47, v11, v62
	v_pk_fma_f16 v63, v46, v11, v10
	v_mov_b32_e32 v10, s21
	s_add_co_i32 s21, s1, 0x518
	ds_load_2addr_b32 v[10:11], v10 offset1:1
	s_wait_dscnt 0x0
	v_pk_fma_f16 v12, v75, v10, v64
	v_pk_fma_f16 v13, v74, v10, v65
	v_pk_fma_f16 v64, v50, v10, v84
	v_pk_fma_f16 v10, v49, v10, v85
	s_delay_alu instid0(VALU_DEP_4) | instskip(NEXT) | instid1(VALU_DEP_4)
	v_pk_fma_f16 v88, v73, v11, v12
	v_pk_fma_f16 v89, v72, v11, v13
	s_delay_alu instid0(VALU_DEP_4) | instskip(NEXT) | instid1(VALU_DEP_4)
	v_pk_fma_f16 v64, v47, v11, v64
	v_pk_fma_f16 v65, v46, v11, v10
	v_mov_b32_e32 v10, s21
	s_add_co_i32 s21, s1, 0x600
	ds_load_2addr_b32 v[10:11], v10 offset1:1
	;; [unrolled: 14-line block ×7, first 2 shown]
	s_wait_dscnt 0x0
	v_pk_fma_f16 v2, v2, v12, 0
	v_pk_fma_f16 v0, v0, v12, 0
	;; [unrolled: 1-line block ×4, first 2 shown]
	s_delay_alu instid0(VALU_DEP_4)
	v_pk_fma_f16 v2, v3, v13, v2
	v_mov_b32_e32 v3, s21
	s_add_co_i32 s21, s1, 0x710
	v_pk_fma_f16 v0, v1, v13, v0
	v_pk_fma_f16 v38, v38, v13, v39
	;; [unrolled: 1-line block ×3, first 2 shown]
	ds_load_2addr_b32 v[10:11], v3 offset1:1
	v_pack_b32_f16 v13, v82, v83
	v_perm_b32 v36, v83, v82, 0x7060302
	s_wait_dscnt 0x0
	v_pk_fma_f16 v2, v53, v10, v2
	v_pk_fma_f16 v0, v52, v10, v0
	;; [unrolled: 1-line block ×4, first 2 shown]
	v_pack_b32_f16 v38, v90, v91
	v_pk_fma_f16 v1, v51, v11, v2
	v_mov_b32_e32 v2, s21
	v_pk_fma_f16 v0, v48, v11, v0
	s_add_co_i32 s21, s1, 0x718
	v_pk_fma_f16 v37, v42, v11, v37
	v_pk_fma_f16 v10, v40, v11, v10
	ds_load_2addr_b32 v[2:3], v2 offset1:1
	v_perm_b32 v12, v91, v90, 0x7060302
	v_pk_add_f16 v11, v13, v36
	v_pack_b32_f16 v52, v76, v77
	v_perm_b32 v53, v77, v76, 0x7060302
	s_add_co_i32 s1, s1, 32
	v_pk_add_f16 v12, v38, v12
	v_pk_fma_f16 v19, v11, v6, v19
	v_perm_b32 v11, v57, v56, 0x7060302
	v_pk_add_f16 v52, v52, v53
	s_cmp_ge_i32 s15, s16
	v_pk_fma_f16 v17, v12, v6, v17
	v_pack_b32_f16 v12, v58, v59
	s_delay_alu instid0(VALU_DEP_3)
	v_pk_fma_f16 v29, v52, v6, v29
	s_wait_dscnt 0x0
	v_pk_fma_f16 v1, v69, v2, v1
	v_pk_fma_f16 v51, v71, v2, v0
	v_mov_b32_e32 v0, s21
	v_pk_fma_f16 v37, v55, v2, v37
	v_pk_fma_f16 v2, v45, v2, v10
	;; [unrolled: 1-line block ×4, first 2 shown]
	ds_load_2addr_b32 v[0:1], v0 offset1:1
	v_pk_fma_f16 v36, v54, v3, v37
	v_pk_fma_f16 v2, v44, v3, v2
	v_pack_b32_f16 v3, v56, v57
	v_perm_b32 v37, v61, v60, 0x7060302
	v_pack_b32_f16 v68, v78, v79
	v_perm_b32 v69, v79, v78, 0x7060302
	;; [unrolled: 2-line block ×3, first 2 shown]
	s_delay_alu instid0(VALU_DEP_3) | instskip(NEXT) | instid1(VALU_DEP_2)
	v_pk_add_f16 v53, v68, v69
	v_pk_add_f16 v68, v70, v71
	v_pack_b32_f16 v70, v88, v89
	v_perm_b32 v71, v89, v88, 0x7060302
	s_delay_alu instid0(VALU_DEP_4) | instskip(NEXT) | instid1(VALU_DEP_4)
	v_pk_fma_f16 v27, v53, v6, v27
	v_pk_fma_f16 v25, v68, v6, v25
	s_wait_dscnt 0x0
	v_pk_fma_f16 v48, v75, v0, v48
	v_pk_fma_f16 v51, v74, v0, v51
	;; [unrolled: 1-line block ×3, first 2 shown]
	v_pack_b32_f16 v36, v60, v61
	v_pk_fma_f16 v0, v49, v0, v2
	v_pk_fma_f16 v48, v73, v1, v48
	;; [unrolled: 1-line block ×4, first 2 shown]
	v_pk_add_f16 v2, v3, v11
	v_pk_add_f16 v11, v36, v37
	v_pk_fma_f16 v0, v46, v1, v0
	v_pack_b32_f16 v39, v48, v51
	v_perm_b32 v41, v51, v48, 0x7060302
	v_pack_b32_f16 v73, v86, v87
	v_perm_b32 v74, v87, v86, 0x7060302
	v_pk_fma_f16 v28, v2, v7, v28
	v_pk_fma_f16 v24, v11, v7, v24
	v_pk_add_f16 v13, v39, v41
	v_pack_b32_f16 v2, v64, v65
	v_pack_b32_f16 v11, v66, v67
	v_perm_b32 v36, v85, v84, 0x7060302
	v_pack_b32_f16 v37, v10, v0
	v_pk_fma_f16 v15, v13, v6, v15
	v_perm_b32 v13, v59, v58, 0x7060302
	v_perm_b32 v0, v0, v10, 0x7060302
	v_pk_add_f16 v69, v73, v74
	v_pk_add_f16 v52, v70, v71
	s_delay_alu instid0(VALU_DEP_4)
	v_pk_add_f16 v3, v12, v13
	v_pack_b32_f16 v12, v62, v63
	v_perm_b32 v13, v63, v62, 0x7060302
	v_pk_add_f16 v0, v37, v0
	v_pk_fma_f16 v23, v69, v6, v23
	v_pk_fma_f16 v26, v3, v7, v26
	v_perm_b32 v3, v65, v64, 0x7060302
	v_pk_add_f16 v1, v12, v13
	v_perm_b32 v12, v67, v66, 0x7060302
	v_pack_b32_f16 v13, v84, v85
	v_pk_fma_f16 v21, v52, v6, v21
	v_pk_add_f16 v2, v2, v3
	v_pk_fma_f16 v22, v1, v7, v22
	v_pk_add_f16 v3, v11, v12
	v_pk_add_f16 v10, v13, v36
	v_pk_fma_f16 v14, v0, v7, v14
	v_pk_fma_f16 v20, v2, v7, v20
	s_delay_alu instid0(VALU_DEP_4) | instskip(NEXT) | instid1(VALU_DEP_4)
	v_pk_fma_f16 v18, v3, v7, v18
	v_pk_fma_f16 v16, v10, v7, v16
	s_cbranch_scc1 .LBB43_24
.LBB43_22:                              ; =>This Inner Loop Header: Depth=1
	s_cmp_lg_u32 s15, s12
	s_cbranch_scc1 .LBB43_21
; %bb.23:                               ;   in Loop: Header=BB43_22 Depth=1
	s_add_co_i32 s17, s17, 1
	s_add_co_i32 s12, s12, s0
	s_mul_i32 s21, s17, s4
	s_delay_alu instid0(SALU_CYCLE_1) | instskip(SKIP_2) | instid1(SALU_CYCLE_1)
	s_ashr_i32 s22, s21, 31
	v_add_nc_u32_e32 v0, s21, v4
	s_lshr_b32 s22, s22, 28
	s_add_co_i32 s22, s21, s22
	s_delay_alu instid0(SALU_CYCLE_1) | instskip(NEXT) | instid1(SALU_CYCLE_1)
	s_ashr_i32 s22, s22, 4
	v_add_nc_u32_e32 v1, s22, v30
	global_load_b32 v2, v1, s[2:3] scale_offset
	s_wait_xcnt 0x0
	v_ashrrev_i32_e32 v1, 31, v0
	s_delay_alu instid0(VALU_DEP_1)
	v_lshl_add_u64 v[0:1], v[0:1], 1, s[8:9]
	global_load_b64 v[6:7], v[0:1], off
	s_wait_loadcnt 0x1
	s_wait_xcnt 0x0
	v_lshrrev_b32_e32 v0, v31, v2
	v_bfe_u32 v5, v2, v31, 2
	s_delay_alu instid0(VALU_DEP_2)
	v_bfe_u32 v33, v0, 2, 2
	v_bfe_u32 v34, v0, 4, 2
	;; [unrolled: 1-line block ×3, first 2 shown]
	s_branch .LBB43_21
.LBB43_24:
	v_mad_u32 v0, s14, s4, v4
	s_mov_b32 s0, 0
	s_delay_alu instid0(VALU_DEP_1) | instskip(SKIP_1) | instid1(VALU_DEP_1)
	v_ashrrev_i32_e32 v1, 31, v0
	s_wait_kmcnt 0x0
	v_lshl_add_u64 v[2:3], v[0:1], 1, s[10:11]
	global_load_b32 v5, v[2:3], off
.LBB43_25:                              ; =>This Inner Loop Header: Depth=1
	s_wait_loadcnt 0x0
	v_pk_add_f16 v4, v29, v5
	global_atomic_cmpswap_b32 v1, v[2:3], v[4:5], off th:TH_ATOMIC_RETURN scope:SCOPE_DEV
	s_wait_loadcnt 0x0
	v_cmp_eq_u32_e32 vcc_lo, v5, v1
	v_mov_b32_e32 v5, v1
	s_or_b32 s0, vcc_lo, s0
	s_delay_alu instid0(SALU_CYCLE_1)
	s_and_not1_b32 exec_lo, exec_lo, s0
	s_cbranch_execnz .LBB43_25
; %bb.26:
	s_or_b32 exec_lo, exec_lo, s0
	global_load_b32 v5, v[2:3], off offset:4
	s_mov_b32 s0, 0
.LBB43_27:                              ; =>This Inner Loop Header: Depth=1
	s_wait_loadcnt 0x0
	v_pk_add_f16 v4, v28, v5
	global_atomic_cmpswap_b32 v1, v[2:3], v[4:5], off offset:4 th:TH_ATOMIC_RETURN scope:SCOPE_DEV
	s_wait_loadcnt 0x0
	v_cmp_eq_u32_e32 vcc_lo, v5, v1
	v_mov_b32_e32 v5, v1
	s_or_b32 s0, vcc_lo, s0
	s_delay_alu instid0(SALU_CYCLE_1)
	s_and_not1_b32 exec_lo, exec_lo, s0
	s_cbranch_execnz .LBB43_27
; %bb.28:
	s_or_b32 exec_lo, exec_lo, s0
	v_add_nc_u32_e32 v0, s4, v0
	s_mov_b32 s0, 0
	s_delay_alu instid0(VALU_DEP_1) | instskip(NEXT) | instid1(VALU_DEP_1)
	v_ashrrev_i32_e32 v1, 31, v0
	v_lshl_add_u64 v[2:3], v[0:1], 1, s[10:11]
	global_load_b32 v5, v[2:3], off
.LBB43_29:                              ; =>This Inner Loop Header: Depth=1
	s_wait_loadcnt 0x0
	v_pk_add_f16 v4, v27, v5
	global_atomic_cmpswap_b32 v1, v[2:3], v[4:5], off th:TH_ATOMIC_RETURN scope:SCOPE_DEV
	s_wait_loadcnt 0x0
	v_cmp_eq_u32_e32 vcc_lo, v5, v1
	v_mov_b32_e32 v5, v1
	s_or_b32 s0, vcc_lo, s0
	s_delay_alu instid0(SALU_CYCLE_1)
	s_and_not1_b32 exec_lo, exec_lo, s0
	s_cbranch_execnz .LBB43_29
; %bb.30:
	s_or_b32 exec_lo, exec_lo, s0
	global_load_b32 v5, v[2:3], off offset:4
	s_mov_b32 s0, 0
.LBB43_31:                              ; =>This Inner Loop Header: Depth=1
	s_wait_loadcnt 0x0
	v_pk_add_f16 v4, v26, v5
	global_atomic_cmpswap_b32 v1, v[2:3], v[4:5], off offset:4 th:TH_ATOMIC_RETURN scope:SCOPE_DEV
	s_wait_loadcnt 0x0
	v_cmp_eq_u32_e32 vcc_lo, v5, v1
	v_mov_b32_e32 v5, v1
	s_or_b32 s0, vcc_lo, s0
	s_delay_alu instid0(SALU_CYCLE_1)
	s_and_not1_b32 exec_lo, exec_lo, s0
	s_cbranch_execnz .LBB43_31
; %bb.32:
	s_or_b32 exec_lo, exec_lo, s0
	v_add_nc_u32_e32 v0, s4, v0
	s_mov_b32 s0, 0
	s_delay_alu instid0(VALU_DEP_1) | instskip(NEXT) | instid1(VALU_DEP_1)
	v_ashrrev_i32_e32 v1, 31, v0
	;; [unrolled: 34-line block ×7, first 2 shown]
	v_lshl_add_u64 v[0:1], v[0:1], 1, s[10:11]
	global_load_b32 v3, v[0:1], off
.LBB43_53:                              ; =>This Inner Loop Header: Depth=1
	s_wait_loadcnt 0x0
	v_pk_add_f16 v2, v15, v3
	global_atomic_cmpswap_b32 v2, v[0:1], v[2:3], off th:TH_ATOMIC_RETURN scope:SCOPE_DEV
	s_wait_loadcnt 0x0
	v_cmp_eq_u32_e32 vcc_lo, v3, v2
	v_mov_b32_e32 v3, v2
	s_or_b32 s0, vcc_lo, s0
	s_delay_alu instid0(SALU_CYCLE_1)
	s_and_not1_b32 exec_lo, exec_lo, s0
	s_cbranch_execnz .LBB43_53
; %bb.54:
	s_or_b32 exec_lo, exec_lo, s0
	global_load_b32 v3, v[0:1], off offset:4
	s_mov_b32 s0, 0
.LBB43_55:                              ; =>This Inner Loop Header: Depth=1
	s_wait_loadcnt 0x0
	v_pk_add_f16 v2, v14, v3
	global_atomic_cmpswap_b32 v2, v[0:1], v[2:3], off offset:4 th:TH_ATOMIC_RETURN scope:SCOPE_DEV
	s_wait_loadcnt 0x0
	v_cmp_eq_u32_e32 vcc_lo, v3, v2
	v_mov_b32_e32 v3, v2
	s_or_b32 s0, vcc_lo, s0
	s_delay_alu instid0(SALU_CYCLE_1)
	s_and_not1_b32 exec_lo, exec_lo, s0
	s_cbranch_execnz .LBB43_55
.LBB43_56:
	s_endpgm
	.section	.rodata,"a",@progbits
	.p2align	6, 0x0
	.amdhsa_kernel _ZN4vllm4gptq33gemm_half_q_half_gptq_2bit_kernelILb1ELi8EEEvPK6__halfPKjS6_S4_PS2_iiiibPKi
		.amdhsa_group_segment_fixed_size 2048
		.amdhsa_private_segment_fixed_size 0
		.amdhsa_kernarg_size 72
		.amdhsa_user_sgpr_count 2
		.amdhsa_user_sgpr_dispatch_ptr 0
		.amdhsa_user_sgpr_queue_ptr 0
		.amdhsa_user_sgpr_kernarg_segment_ptr 1
		.amdhsa_user_sgpr_dispatch_id 0
		.amdhsa_user_sgpr_kernarg_preload_length 0
		.amdhsa_user_sgpr_kernarg_preload_offset 0
		.amdhsa_user_sgpr_private_segment_size 0
		.amdhsa_wavefront_size32 1
		.amdhsa_uses_dynamic_stack 0
		.amdhsa_enable_private_segment 0
		.amdhsa_system_sgpr_workgroup_id_x 1
		.amdhsa_system_sgpr_workgroup_id_y 1
		.amdhsa_system_sgpr_workgroup_id_z 1
		.amdhsa_system_sgpr_workgroup_info 0
		.amdhsa_system_vgpr_workitem_id 0
		.amdhsa_next_free_vgpr 102
		.amdhsa_next_free_sgpr 23
		.amdhsa_named_barrier_count 0
		.amdhsa_reserve_vcc 1
		.amdhsa_float_round_mode_32 0
		.amdhsa_float_round_mode_16_64 0
		.amdhsa_float_denorm_mode_32 3
		.amdhsa_float_denorm_mode_16_64 3
		.amdhsa_fp16_overflow 0
		.amdhsa_memory_ordered 1
		.amdhsa_forward_progress 1
		.amdhsa_inst_pref_size 62
		.amdhsa_round_robin_scheduling 0
		.amdhsa_exception_fp_ieee_invalid_op 0
		.amdhsa_exception_fp_denorm_src 0
		.amdhsa_exception_fp_ieee_div_zero 0
		.amdhsa_exception_fp_ieee_overflow 0
		.amdhsa_exception_fp_ieee_underflow 0
		.amdhsa_exception_fp_ieee_inexact 0
		.amdhsa_exception_int_div_zero 0
	.end_amdhsa_kernel
	.section	.text._ZN4vllm4gptq33gemm_half_q_half_gptq_2bit_kernelILb1ELi8EEEvPK6__halfPKjS6_S4_PS2_iiiibPKi,"axG",@progbits,_ZN4vllm4gptq33gemm_half_q_half_gptq_2bit_kernelILb1ELi8EEEvPK6__halfPKjS6_S4_PS2_iiiibPKi,comdat
.Lfunc_end43:
	.size	_ZN4vllm4gptq33gemm_half_q_half_gptq_2bit_kernelILb1ELi8EEEvPK6__halfPKjS6_S4_PS2_iiiibPKi, .Lfunc_end43-_ZN4vllm4gptq33gemm_half_q_half_gptq_2bit_kernelILb1ELi8EEEvPK6__halfPKjS6_S4_PS2_iiiibPKi
                                        ; -- End function
	.set _ZN4vllm4gptq33gemm_half_q_half_gptq_2bit_kernelILb1ELi8EEEvPK6__halfPKjS6_S4_PS2_iiiibPKi.num_vgpr, 102
	.set _ZN4vllm4gptq33gemm_half_q_half_gptq_2bit_kernelILb1ELi8EEEvPK6__halfPKjS6_S4_PS2_iiiibPKi.num_agpr, 0
	.set _ZN4vllm4gptq33gemm_half_q_half_gptq_2bit_kernelILb1ELi8EEEvPK6__halfPKjS6_S4_PS2_iiiibPKi.numbered_sgpr, 23
	.set _ZN4vllm4gptq33gemm_half_q_half_gptq_2bit_kernelILb1ELi8EEEvPK6__halfPKjS6_S4_PS2_iiiibPKi.num_named_barrier, 0
	.set _ZN4vllm4gptq33gemm_half_q_half_gptq_2bit_kernelILb1ELi8EEEvPK6__halfPKjS6_S4_PS2_iiiibPKi.private_seg_size, 0
	.set _ZN4vllm4gptq33gemm_half_q_half_gptq_2bit_kernelILb1ELi8EEEvPK6__halfPKjS6_S4_PS2_iiiibPKi.uses_vcc, 1
	.set _ZN4vllm4gptq33gemm_half_q_half_gptq_2bit_kernelILb1ELi8EEEvPK6__halfPKjS6_S4_PS2_iiiibPKi.uses_flat_scratch, 0
	.set _ZN4vllm4gptq33gemm_half_q_half_gptq_2bit_kernelILb1ELi8EEEvPK6__halfPKjS6_S4_PS2_iiiibPKi.has_dyn_sized_stack, 0
	.set _ZN4vllm4gptq33gemm_half_q_half_gptq_2bit_kernelILb1ELi8EEEvPK6__halfPKjS6_S4_PS2_iiiibPKi.has_recursion, 0
	.set _ZN4vllm4gptq33gemm_half_q_half_gptq_2bit_kernelILb1ELi8EEEvPK6__halfPKjS6_S4_PS2_iiiibPKi.has_indirect_call, 0
	.section	.AMDGPU.csdata,"",@progbits
; Kernel info:
; codeLenInByte = 7824
; TotalNumSgprs: 25
; NumVgprs: 102
; ScratchSize: 0
; MemoryBound: 0
; FloatMode: 240
; IeeeMode: 1
; LDSByteSize: 2048 bytes/workgroup (compile time only)
; SGPRBlocks: 0
; VGPRBlocks: 6
; NumSGPRsForWavesPerEU: 25
; NumVGPRsForWavesPerEU: 102
; NamedBarCnt: 0
; Occupancy: 9
; WaveLimiterHint : 0
; COMPUTE_PGM_RSRC2:SCRATCH_EN: 0
; COMPUTE_PGM_RSRC2:USER_SGPR: 2
; COMPUTE_PGM_RSRC2:TRAP_HANDLER: 0
; COMPUTE_PGM_RSRC2:TGID_X_EN: 1
; COMPUTE_PGM_RSRC2:TGID_Y_EN: 1
; COMPUTE_PGM_RSRC2:TGID_Z_EN: 1
; COMPUTE_PGM_RSRC2:TIDIG_COMP_CNT: 0
	.section	.text._ZN4vllm4gptq33gemm_half_q_half_gptq_3bit_kernelILb1ELi8EEEvPK6__halfPKjS6_S4_PS2_iiiibPKi,"axG",@progbits,_ZN4vllm4gptq33gemm_half_q_half_gptq_3bit_kernelILb1ELi8EEEvPK6__halfPKjS6_S4_PS2_iiiibPKi,comdat
	.protected	_ZN4vllm4gptq33gemm_half_q_half_gptq_3bit_kernelILb1ELi8EEEvPK6__halfPKjS6_S4_PS2_iiiibPKi ; -- Begin function _ZN4vllm4gptq33gemm_half_q_half_gptq_3bit_kernelILb1ELi8EEEvPK6__halfPKjS6_S4_PS2_iiiibPKi
	.globl	_ZN4vllm4gptq33gemm_half_q_half_gptq_3bit_kernelILb1ELi8EEEvPK6__halfPKjS6_S4_PS2_iiiibPKi
	.p2align	8
	.type	_ZN4vllm4gptq33gemm_half_q_half_gptq_3bit_kernelILb1ELi8EEEvPK6__halfPKjS6_S4_PS2_iiiibPKi,@function
_ZN4vllm4gptq33gemm_half_q_half_gptq_3bit_kernelILb1ELi8EEEvPK6__halfPKjS6_S4_PS2_iiiibPKi: ; @_ZN4vllm4gptq33gemm_half_q_half_gptq_3bit_kernelILb1ELi8EEEvPK6__halfPKjS6_S4_PS2_iiiibPKi
; %bb.0:
	s_clause 0x1
	s_load_b128 s[4:7], s[0:1], 0x2c
	s_load_b64 s[12:13], s[0:1], 0x10
	s_bfe_u32 s2, ttmp6, 0x40010
	s_and_b32 s3, ttmp7, 0xffff
	s_add_co_i32 s2, s2, 1
	s_bfe_u32 s9, ttmp6, 0x40014
	s_mul_i32 s2, s3, s2
	s_bfe_u32 s8, ttmp6, 0x40004
	s_lshr_b32 s10, ttmp7, 16
	s_add_co_i32 s9, s9, 1
	s_add_co_i32 s8, s8, s2
	s_mul_i32 s2, s10, s9
	s_bfe_u32 s9, ttmp6, 0x40008
	s_getreg_b32 s19, hwreg(HW_REG_IB_STS2, 6, 4)
	s_add_co_i32 s9, s9, s2
	s_cmp_eq_u32 s19, 0
	s_cselect_b32 s2, s10, s9
	s_cselect_b32 s3, s3, s8
	s_lshl_b32 s17, s2, 7
	s_wait_kmcnt 0x0
	v_cvt_f64_i32_e32 v[4:5], s5
	s_add_co_i32 s2, s17, 0x80
	s_lshl_b32 s16, s3, 3
	v_cvt_f64_u32_e32 v[2:3], s2
	s_mov_b32 s10, exec_lo
	s_delay_alu instid0(VALU_DEP_1) | instskip(NEXT) | instid1(VALU_DEP_1)
	v_min_num_f64_e32 v[2:3], v[2:3], v[4:5]
	v_cvt_i32_f64_e32 v1, v[2:3]
	v_add_nc_u32_e32 v2, s17, v0
	s_delay_alu instid0(VALU_DEP_2) | instskip(NEXT) | instid1(VALU_DEP_2)
	v_readfirstlane_b32 s18, v1
	v_cmpx_lt_u32_e64 v2, v1
	s_cbranch_execz .LBB44_18
; %bb.1:
	s_clause 0x1
	s_load_b64 s[8:9], s[0:1], 0x40
	s_load_b64 s[2:3], s[0:1], 0x0
	v_mov_b32_e32 v3, 0
	s_delay_alu instid0(VALU_DEP_1)
	v_mov_b64_e32 v[6:7], v[2:3]
	s_wait_kmcnt 0x0
	v_lshl_add_u64 v[4:5], v[2:3], 2, s[8:9]
	s_cmp_lg_u64 s[8:9], 0
	s_cselect_b32 s11, -1, 0
	s_cmp_eq_u64 s[8:9], 0
	s_cbranch_scc1 .LBB44_3
; %bb.2:
	global_load_b32 v6, v[4:5], off
	s_wait_loadcnt 0x0
	v_ashrrev_i32_e32 v7, 31, v6
.LBB44_3:
	s_mul_i32 s8, s16, s5
	v_cndmask_b32_e64 v8, 0, 1, s11
	s_ashr_i32 s9, s8, 31
	v_lshlrev_b32_e32 v1, 1, v0
	s_lshl_b64 s[14:15], s[8:9], 1
	s_and_not1_b32 vcc_lo, exec_lo, s11
	s_add_nc_u64 s[14:15], s[2:3], s[14:15]
	s_delay_alu instid0(SALU_CYCLE_1)
	v_lshl_add_u64 v[6:7], v[6:7], 1, s[14:15]
	global_load_u16 v9, v[6:7], off
	s_wait_xcnt 0x0
	v_mov_b64_e32 v[6:7], v[2:3]
	s_wait_loadcnt 0x0
	ds_store_b16 v1, v9
	s_cbranch_vccnz .LBB44_5
; %bb.4:
	global_load_b32 v6, v[4:5], off
	s_wait_loadcnt 0x0
	v_ashrrev_i32_e32 v7, 31, v6
.LBB44_5:
	s_add_co_i32 s8, s8, s5
	v_cmp_ne_u32_e32 vcc_lo, 1, v8
	s_ashr_i32 s9, s8, 31
	s_delay_alu instid0(SALU_CYCLE_1) | instskip(SKIP_2) | instid1(SALU_CYCLE_1)
	s_lshl_b64 s[14:15], s[8:9], 1
	s_and_b32 vcc_lo, exec_lo, vcc_lo
	s_add_nc_u64 s[14:15], s[2:3], s[14:15]
	v_lshl_add_u64 v[6:7], v[6:7], 1, s[14:15]
	global_load_u16 v9, v[6:7], off
	s_wait_xcnt 0x0
	v_mov_b64_e32 v[6:7], v[2:3]
	s_wait_loadcnt 0x0
	ds_store_b16 v1, v9 offset:256
	s_cbranch_vccnz .LBB44_7
; %bb.6:
	global_load_b32 v6, v[4:5], off
	s_wait_loadcnt 0x0
	v_ashrrev_i32_e32 v7, 31, v6
.LBB44_7:
	s_add_co_i32 s8, s8, s5
	v_cmp_ne_u32_e32 vcc_lo, 1, v8
	s_ashr_i32 s9, s8, 31
	s_delay_alu instid0(SALU_CYCLE_1) | instskip(SKIP_2) | instid1(SALU_CYCLE_1)
	s_lshl_b64 s[14:15], s[8:9], 1
	s_and_b32 vcc_lo, exec_lo, vcc_lo
	s_add_nc_u64 s[14:15], s[2:3], s[14:15]
	v_lshl_add_u64 v[6:7], v[6:7], 1, s[14:15]
	global_load_u16 v9, v[6:7], off
	s_wait_xcnt 0x0
	v_mov_b64_e32 v[6:7], v[2:3]
	s_wait_loadcnt 0x0
	ds_store_b16 v1, v9 offset:512
	;; [unrolled: 19-line block ×5, first 2 shown]
	s_cbranch_vccnz .LBB44_15
; %bb.14:
	global_load_b32 v6, v[4:5], off
	s_wait_loadcnt 0x0
	v_ashrrev_i32_e32 v7, 31, v6
.LBB44_15:
	s_add_co_i32 s8, s8, s5
	v_cmp_ne_u32_e32 vcc_lo, 1, v8
	s_ashr_i32 s9, s8, 31
	s_delay_alu instid0(SALU_CYCLE_1) | instskip(SKIP_2) | instid1(SALU_CYCLE_1)
	s_lshl_b64 s[14:15], s[8:9], 1
	s_and_b32 vcc_lo, exec_lo, vcc_lo
	s_add_nc_u64 s[14:15], s[2:3], s[14:15]
	v_lshl_add_u64 v[6:7], v[6:7], 1, s[14:15]
	global_load_u16 v6, v[6:7], off
	s_wait_loadcnt 0x0
	ds_store_b16 v1, v6 offset:1536
	s_cbranch_vccnz .LBB44_17
; %bb.16:
	global_load_b32 v2, v[4:5], off
	s_wait_loadcnt 0x0
	v_ashrrev_i32_e32 v3, 31, v2
.LBB44_17:
	s_add_co_i32 s8, s8, s5
	s_delay_alu instid0(SALU_CYCLE_1) | instskip(NEXT) | instid1(SALU_CYCLE_1)
	s_ashr_i32 s9, s8, 31
	s_lshl_b64 s[8:9], s[8:9], 1
	s_delay_alu instid0(SALU_CYCLE_1) | instskip(NEXT) | instid1(SALU_CYCLE_1)
	s_add_nc_u64 s[2:3], s[2:3], s[8:9]
	v_lshl_add_u64 v[2:3], v[2:3], 1, s[2:3]
	global_load_u16 v2, v[2:3], off
	s_wait_loadcnt 0x0
	ds_store_b16 v1, v2 offset:1792
.LBB44_18:
	s_or_b32 exec_lo, exec_lo, s10
	s_clause 0x1
	s_load_b64 s[14:15], s[0:1], 0x8
	s_load_b128 s[8:11], s[0:1], 0x18
	s_wait_xcnt 0x0
	s_bfe_u32 s0, ttmp6, 0x4000c
	s_and_b32 s1, ttmp6, 15
	s_add_co_i32 s0, s0, 1
	v_lshlrev_b32_e32 v0, 2, v0
	s_mul_i32 s0, ttmp9, s0
	s_delay_alu instid0(SALU_CYCLE_1) | instskip(SKIP_2) | instid1(SALU_CYCLE_1)
	s_add_co_i32 s1, s1, s0
	s_cmp_eq_u32 s19, 0
	s_cselect_b32 s0, ttmp9, s1
	v_lshl_add_u32 v4, s0, 9, v0
	s_mov_b32 s0, exec_lo
	s_delay_alu instid0(VALU_DEP_1)
	v_mov_b32_e32 v2, v4
	scratch_store_b64 off, v[2:3], off offset:20 ; 8-byte Folded Spill
	s_wait_xcnt 0x0
	v_cmpx_gt_i32_e64 s4, v4
	s_cbranch_execz .LBB44_88
; %bb.19:
	s_abs_i32 s0, s6
	s_abs_i32 s3, s5
	s_cvt_f32_u32 s1, s0
	s_sub_co_i32 s2, 0, s0
	v_and_b32_e32 v2, 28, v0
	s_wait_storecnt_dscnt 0x0
	v_rcp_iflag_f32_e32 v1, s1
	s_barrier_signal -1
	s_barrier_wait -1
	v_cmp_lt_u32_e32 vcc_lo, 4, v2
                                        ; implicit-def: $vgpr0
	s_delay_alu instid0(TRANS32_DEP_1) | instskip(SKIP_1) | instid1(SALU_CYCLE_3)
	v_readfirstlane_b32 s1, v1
	s_mul_f32 s1, s1, 0x4f7ffffe
	s_cvt_u32_f32 s1, s1
	s_delay_alu instid0(SALU_CYCLE_3) | instskip(NEXT) | instid1(SALU_CYCLE_1)
	s_mul_i32 s2, s2, s1
	s_mul_hi_u32 s2, s1, s2
	s_delay_alu instid0(SALU_CYCLE_1) | instskip(SKIP_4) | instid1(SALU_CYCLE_1)
	s_add_co_i32 s1, s1, s2
	s_xor_b32 s2, s5, s6
	s_mul_hi_u32 s1, s3, s1
	s_ashr_i32 s2, s2, 31
	s_mul_i32 s5, s1, s0
	s_sub_co_i32 s3, s3, s5
	s_add_co_i32 s5, s1, 1
	s_sub_co_i32 s6, s3, s0
	s_cmp_ge_u32 s3, s0
	s_cselect_b32 s1, s5, s1
	s_cselect_b32 s3, s6, s3
	s_add_co_i32 s5, s1, 1
	s_cmp_ge_u32 s3, s0
	s_cselect_b32 s0, s5, s1
	s_delay_alu instid0(SALU_CYCLE_1) | instskip(NEXT) | instid1(SALU_CYCLE_1)
	s_xor_b32 s0, s0, s2
	s_sub_co_i32 s3, s0, s2
	s_delay_alu instid0(SALU_CYCLE_1) | instskip(SKIP_1) | instid1(SALU_CYCLE_2)
	s_cvt_f32_u32 s0, s3
	s_sub_co_i32 s1, 0, s3
	v_rcp_iflag_f32_e32 v1, s0
	v_nop
	s_delay_alu instid0(TRANS32_DEP_1) | instskip(SKIP_1) | instid1(SALU_CYCLE_3)
	v_readfirstlane_b32 s0, v1
                                        ; implicit-def: $vgpr1
	s_mul_f32 s0, s0, 0x4f7ffffe
	s_cvt_u32_f32 s0, s0
	s_delay_alu instid0(SALU_CYCLE_3) | instskip(NEXT) | instid1(SALU_CYCLE_1)
	s_mul_i32 s1, s1, s0
	s_mul_hi_u32 s1, s0, s1
	s_delay_alu instid0(SALU_CYCLE_1) | instskip(NEXT) | instid1(SALU_CYCLE_1)
	s_add_co_i32 s0, s0, s1
	s_mul_hi_u32 s0, s17, s0
	s_delay_alu instid0(SALU_CYCLE_1) | instskip(SKIP_2) | instid1(SALU_CYCLE_1)
	s_mul_i32 s1, s0, s3
	s_add_co_i32 s2, s0, 1
	s_sub_co_i32 s1, s17, s1
	s_sub_co_i32 s5, s1, s3
	s_cmp_ge_u32 s1, s3
	s_cselect_b32 s0, s2, s0
	s_cselect_b32 s1, s5, s1
	s_add_co_i32 s2, s0, 1
	s_cmp_ge_u32 s1, s3
	s_cselect_b32 s19, s2, s0
	s_and_saveexec_b32 s0, vcc_lo
	s_delay_alu instid0(SALU_CYCLE_1)
	s_xor_b32 s1, exec_lo, s0
	s_cbranch_execz .LBB44_33
; %bb.20:
	s_mov_b32 s2, exec_lo
                                        ; implicit-def: $vgpr1
                                        ; implicit-def: $vgpr0
	v_cmpx_ne_u32_e32 8, v2
	s_xor_b32 s2, exec_lo, s2
	s_cbranch_execz .LBB44_30
; %bb.21:
	s_mov_b32 s5, exec_lo
                                        ; implicit-def: $vgpr1
                                        ; implicit-def: $vgpr0
	v_cmpx_lt_u32_e32 16, v2
	s_xor_b32 s5, exec_lo, s5
	s_cbranch_execz .LBB44_27
; %bb.22:
	scratch_load_b64 v[0:1], off, off offset:20 ; 8-byte Folded Reload
	s_mul_i32 s6, s19, s4
	s_delay_alu instid0(SALU_CYCLE_1) | instskip(NEXT) | instid1(SALU_CYCLE_1)
	s_ashr_i32 s0, s6, 31
	s_lshr_b32 s0, s0, 27
	s_delay_alu instid0(SALU_CYCLE_1) | instskip(NEXT) | instid1(SALU_CYCLE_1)
	s_add_co_i32 s0, s6, s0
	s_ashr_i32 s0, s0, 5
	s_wait_loadcnt 0x0
	v_lshl_add_u32 v0, v0, 1, v0
	s_delay_alu instid0(VALU_DEP_1) | instskip(NEXT) | instid1(VALU_DEP_1)
	v_ashrrev_i32_e32 v1, 31, v0
	v_lshrrev_b32_e32 v1, 27, v1
	s_delay_alu instid0(VALU_DEP_1) | instskip(NEXT) | instid1(VALU_DEP_1)
	v_add_nc_u32_e32 v0, v0, v1
                                        ; implicit-def: $vgpr1
	v_ashrrev_i32_e32 v0, 5, v0
	s_delay_alu instid0(VALU_DEP_1) | instskip(SKIP_4) | instid1(SALU_CYCLE_1)
	v_mad_u32 v0, s0, 3, v0
	v_cmp_ne_u32_e64 s0, 20, v2
	global_load_b32 v3, v0, s[12:13] scale_offset
	s_wait_xcnt 0x0
	s_and_saveexec_b32 s20, s0
	s_xor_b32 s0, exec_lo, s20
	s_cbranch_execz .LBB44_24
; %bb.23:
	v_mad_u32_u24 v0, v2, 3, 0xffffffc0
	s_wait_loadcnt 0x0
	s_delay_alu instid0(VALU_DEP_1)
	v_lshrrev_b32_e32 v1, v0, v3
                                        ; implicit-def: $vgpr0
                                        ; implicit-def: $vgpr3
.LBB44_24:
	s_and_not1_saveexec_b32 s0, s0
	s_cbranch_execz .LBB44_26
; %bb.25:
	v_ashrrev_i32_e32 v1, 31, v0
	s_delay_alu instid0(VALU_DEP_1) | instskip(SKIP_3) | instid1(VALU_DEP_1)
	v_lshl_add_u64 v[0:1], v[0:1], 2, s[12:13]
	global_load_b32 v0, v[0:1], off offset:4
	s_wait_loadcnt 0x0
	v_alignbit_b32 v0, v0, v3, 28
	v_and_b32_e32 v1, 0xfff, v0
.LBB44_26:
	s_or_b32 exec_lo, exec_lo, s0
	v_mov_b32_e32 v0, s6
.LBB44_27:
	s_and_not1_saveexec_b32 s0, s5
	s_cbranch_execz .LBB44_29
; %bb.28:
	scratch_load_b64 v[0:1], off, off offset:20 ; 8-byte Folded Reload
	s_mul_i32 s5, s19, s4
	s_delay_alu instid0(SALU_CYCLE_1) | instskip(NEXT) | instid1(SALU_CYCLE_1)
	s_ashr_i32 s6, s5, 31
	s_lshr_b32 s6, s6, 27
	s_delay_alu instid0(SALU_CYCLE_1) | instskip(NEXT) | instid1(SALU_CYCLE_1)
	s_add_co_i32 s6, s5, s6
	s_ashr_i32 s6, s6, 5
	s_wait_loadcnt 0x0
	v_lshl_add_u32 v0, v0, 1, v0
	s_delay_alu instid0(VALU_DEP_1) | instskip(NEXT) | instid1(VALU_DEP_1)
	v_ashrrev_i32_e32 v1, 31, v0
	v_lshrrev_b32_e32 v1, 27, v1
	s_delay_alu instid0(VALU_DEP_1) | instskip(SKIP_1) | instid1(VALU_DEP_2)
	v_add_nc_u32_e32 v0, v0, v1
	v_mad_u32_u24 v1, v2, 3, 0xffffffe0
	v_ashrrev_i32_e32 v0, 5, v0
	s_delay_alu instid0(VALU_DEP_1)
	v_mad_u32 v0, s6, 3, v0
	global_load_b32 v0, v0, s[12:13] scale_offset
	s_wait_loadcnt 0x0
	v_dual_mov_b32 v0, s5 :: v_dual_lshrrev_b32 v1, v1, v0
.LBB44_29:
	s_or_b32 exec_lo, exec_lo, s0
.LBB44_30:
	s_and_not1_saveexec_b32 s0, s2
	s_cbranch_execz .LBB44_32
; %bb.31:
	scratch_load_b64 v[0:1], off, off offset:20 ; 8-byte Folded Reload
	s_mul_i32 s2, s19, s4
	s_delay_alu instid0(SALU_CYCLE_1) | instskip(NEXT) | instid1(SALU_CYCLE_1)
	s_ashr_i32 s5, s2, 31
	s_lshr_b32 s5, s5, 27
	s_delay_alu instid0(SALU_CYCLE_1) | instskip(NEXT) | instid1(SALU_CYCLE_1)
	s_add_co_i32 s5, s2, s5
	s_ashr_i32 s5, s5, 5
	s_wait_loadcnt 0x0
	v_lshl_add_u32 v0, v0, 1, v0
	s_delay_alu instid0(VALU_DEP_1) | instskip(NEXT) | instid1(VALU_DEP_1)
	v_ashrrev_i32_e32 v1, 31, v0
	v_lshrrev_b32_e32 v1, 27, v1
	s_delay_alu instid0(VALU_DEP_1) | instskip(NEXT) | instid1(VALU_DEP_1)
	v_add_nc_u32_e32 v0, v0, v1
	v_ashrrev_i32_e32 v0, 5, v0
	s_delay_alu instid0(VALU_DEP_1) | instskip(NEXT) | instid1(VALU_DEP_1)
	v_mad_u32 v0, s5, 3, v0
	v_ashrrev_i32_e32 v1, 31, v0
	s_delay_alu instid0(VALU_DEP_1) | instskip(SKIP_3) | instid1(VALU_DEP_1)
	v_lshl_add_u64 v[0:1], v[0:1], 2, s[12:13]
	global_load_b64 v[0:1], v[0:1], off
	s_wait_loadcnt 0x0
	v_perm_b32 v0, v0, v1, 0x2010007
	v_and_b32_e32 v1, 0xfff, v0
	v_mov_b32_e32 v0, s2
.LBB44_32:
	s_or_b32 exec_lo, exec_lo, s0
.LBB44_33:
	s_or_saveexec_b32 s0, s1
	scratch_load_b64 v[4:5], off, off offset:20 ; 8-byte Folded Reload
	s_wait_loadcnt 0x0
	v_mul_u32_u24_e32 v5, 3, v2
	scratch_store_b32 off, v5, off offset:32 ; 4-byte Folded Spill
	v_lshl_add_u32 v3, v4, 1, v4
	s_delay_alu instid0(VALU_DEP_1)
	v_ashrrev_i32_e32 v4, 31, v3
	s_wait_xcnt 0x0
	s_xor_b32 exec_lo, exec_lo, s0
	s_cbranch_execz .LBB44_35
; %bb.34:
	s_delay_alu instid0(VALU_DEP_1) | instskip(SKIP_3) | instid1(SALU_CYCLE_1)
	v_lshrrev_b32_e32 v0, 27, v4
	s_mul_i32 s1, s19, s4
	v_mul_u32_u24_e32 v1, 3, v2
	s_ashr_i32 s2, s1, 31
	s_lshr_b32 s2, s2, 27
	v_add_nc_u32_e32 v0, v3, v0
	s_add_co_i32 s2, s1, s2
	s_delay_alu instid0(SALU_CYCLE_1) | instskip(NEXT) | instid1(VALU_DEP_1)
	s_ashr_i32 s2, s2, 5
	v_ashrrev_i32_e32 v0, 5, v0
	s_delay_alu instid0(VALU_DEP_1)
	v_mad_u32 v0, s2, 3, v0
	global_load_b32 v0, v0, s[12:13] scale_offset
	s_wait_loadcnt 0x0
	v_dual_mov_b32 v0, s1 :: v_dual_lshrrev_b32 v1, v1, v0
.LBB44_35:
	s_or_b32 exec_lo, exec_lo, s0
	v_dual_mov_b32 v41, 0 :: v_dual_mov_b32 v40, 0
	v_dual_mov_b32 v39, 0 :: v_dual_mov_b32 v37, 0
	;; [unrolled: 1-line block ×8, first 2 shown]
	s_cmp_ge_i32 s17, s18
	s_mov_b32 s20, 0
	s_cbranch_scc1 .LBB44_56
; %bb.36:
	scratch_load_b64 v[6:7], off, off offset:20 th:TH_LOAD_LU ; 8-byte Folded Reload
	s_lshr_b32 s0, s17, 5
	s_add_co_i32 s21, s3, s17
	s_mul_i32 s0, s0, s4
	v_cmp_lt_u32_e64 s1, 16, v2
	s_mul_i32 s22, s0, 3
	v_cmp_ne_u32_e64 s2, 20, v2
	s_ashr_i32 s23, s22, 31
	s_bitcmp1_b32 s7, 0
	v_dual_mov_b32 v28, 0 :: v_dual_mov_b32 v29, 0
	s_cselect_b32 s0, -1, 0
	s_lshl_b64 s[6:7], s[22:23], 2
	s_xor_b32 s0, s0, -1
	s_wait_kmcnt 0x0
	s_add_nc_u64 s[6:7], s[14:15], s[6:7]
	v_dual_mov_b32 v30, 0 :: v_dual_mov_b32 v31, 0
	v_dual_mov_b32 v32, 0 :: v_dual_mov_b32 v33, 0
	;; [unrolled: 1-line block ×5, first 2 shown]
	v_mov_b32_e32 v41, 0
	s_ashr_i32 s5, s4, 31
	s_mov_b32 s22, 0x70007
	s_lshl_b64 s[14:15], s[4:5], 2
	s_mov_b32 s23, 0x380038
	s_mov_b32 s24, 0x1c001c0
	v_dual_mov_b32 v13, 0 :: v_dual_mov_b32 v26, 0
	s_wait_loadcnt 0x0
	v_dual_mov_b32 v27, 0 :: v_dual_mov_b32 v8, v6
	s_delay_alu instid0(VALU_DEP_1) | instskip(SKIP_3) | instid1(VALU_DEP_4)
	v_add_nc_u32_e32 v6, v0, v8
	v_lshrrev_b32_e32 v0, 27, v4
	v_cndmask_b32_e64 v4, 0, 1, s0
	v_cmp_ne_u32_e64 s0, 8, v2
	v_dual_ashrrev_i32 v7, 31, v6 :: v_dual_ashrrev_i32 v9, 31, v8
	s_delay_alu instid0(VALU_DEP_4)
	v_add_nc_u32_e32 v0, v3, v0
	scratch_store_b32 off, v4, off offset:16 ; 4-byte Folded Spill
	s_wait_xcnt 0x0
	v_bfe_u32 v4, v1, 9, 3
	v_lshl_add_u64 v[6:7], v[6:7], 1, s[8:9]
	v_lshl_add_u64 v[14:15], v[8:9], 2, s[6:7]
	v_ashrrev_i32_e32 v0, 5, v0
	s_mul_u64 s[6:7], s[4:5], 12
	scratch_store_b32 off, v4, off          ; 4-byte Folded Spill
	global_load_b64 v[16:17], v[6:7], off
	s_wait_xcnt 0x1
	v_bfe_u32 v4, v1, 6, 3
	scratch_store_b32 off, v0, off offset:28 ; 4-byte Folded Spill
	s_wait_xcnt 0x0
	v_mad_u32_u24 v0, v2, 3, 0xffffffc0
	s_mov_b32 s5, 0x10001
	scratch_store_b32 off, v0, off offset:40 ; 4-byte Folded Spill
	s_wait_xcnt 0x0
	v_mad_u32_u24 v0, v2, 3, 0xffffffe0
	scratch_store_b32 off, v4, off offset:4 ; 4-byte Folded Spill
	s_wait_xcnt 0x0
	v_bfe_u32 v4, v1, 3, 3
	v_and_b32_e32 v1, 7, v1
	scratch_store_b32 off, v0, off offset:36 ; 4-byte Folded Spill
	s_wait_xcnt 0x0
	v_mov_b32_e32 v0, v8
	s_clause 0x2
	scratch_store_b32 off, v4, off offset:8
	scratch_store_b32 off, v1, off offset:12
	scratch_store_b64 off, v[0:1], off offset:20
	s_branch .LBB44_39
.LBB44_37:                              ;   in Loop: Header=BB44_39 Depth=1
	s_wait_xcnt 0x0
	s_or_b32 exec_lo, exec_lo, s26
	scratch_load_b64 v[0:1], off, off offset:20 ; 8-byte Folded Reload
	s_add_co_i32 s21, s21, s3
	s_wait_loadcnt 0x0
	v_add_nc_u32_e32 v0, s25, v0
	s_delay_alu instid0(VALU_DEP_1) | instskip(NEXT) | instid1(VALU_DEP_1)
	v_ashrrev_i32_e32 v1, 31, v0
	v_lshl_add_u64 v[0:1], v[0:1], 1, s[8:9]
	global_load_b64 v[16:17], v[0:1], off
	s_wait_xcnt 0x0
	v_and_b32_e32 v0, 7, v2
	scratch_store_b32 off, v0, off offset:12 ; 4-byte Folded Spill
	s_wait_xcnt 0x0
	v_bfe_u32 v0, v2, 3, 3
	scratch_store_b32 off, v0, off offset:8 ; 4-byte Folded Spill
	s_wait_xcnt 0x0
	v_bfe_u32 v0, v2, 6, 3
	;; [unrolled: 3-line block ×3, first 2 shown]
	scratch_store_b32 off, v0, off          ; 4-byte Folded Spill
.LBB44_38:                              ;   in Loop: Header=BB44_39 Depth=1
	s_wait_xcnt 0x0
	v_add_nc_u64_e32 v[0:1], s[14:15], v[14:15]
	global_load_b128 v[8:11], v[14:15], off
	s_add_co_i32 s25, s20, 0x400
	s_add_co_i32 s17, s17, 32
	global_load_b128 v[4:7], v[0:1], off
	s_wait_xcnt 0x0
	v_add_nc_u64_e32 v[0:1], s[14:15], v[0:1]
	v_mov_b32_e32 v116, s20
	v_add_nc_u64_e32 v[14:15], s[6:7], v[14:15]
	global_load_b128 v[0:3], v[0:1], off
	s_clause 0x2
	scratch_load_b32 v12, off, off offset:16
	scratch_load_b32 v18, off, off offset:12
	scratch_load_b32 v21, off, off
	s_wait_loadcnt 0x5
	v_dual_lshrrev_b32 v60, 6, v8 :: v_dual_lshrrev_b32 v73, 15, v8
	v_dual_lshrrev_b32 v68, 6, v9 :: v_dual_lshrrev_b32 v74, 15, v9
	v_lshrrev_b32_e32 v75, 6, v10
	v_and_or_b32 v61, v10, s23, 0x64006400
	v_dual_lshrrev_b32 v77, 15, v10 :: v_dual_lshrrev_b32 v81, 6, v11
	v_and_or_b32 v63, v11, s23, 0x64006400
	s_wait_loadcnt 0x4
	v_dual_lshrrev_b32 v82, 15, v11 :: v_dual_lshrrev_b32 v96, 6, v4
	v_and_or_b32 v66, v60, s22, 0x64006400
	v_and_or_b32 v67, v60, s23, 0x64006400
	;; [unrolled: 1-line block ×3, first 2 shown]
	s_wait_loadcnt 0x1
	v_add_nc_u32_e32 v20, v18, v12
	scratch_load_b32 v18, off, off offset:8 ; 4-byte Folded Reload
	v_and_or_b32 v94, v4, s22, 0x64006400
	v_and_or_b32 v95, v4, s23, 0x64006400
	v_dual_lshrrev_b32 v99, 14, v4 :: v_dual_lshrrev_b32 v102, 6, v5
	v_and_or_b32 v101, v5, s23, 0x64006400
	v_dual_lshrrev_b32 v100, 14, v5 :: v_dual_lshrrev_b32 v110, 14, v7
	v_lshrrev_b32_e32 v115, 6, v0
	v_and_or_b32 v112, v0, s22, 0x64006400
	v_and_or_b32 v114, v0, s23, 0x64006400
	v_lshrrev_b32_e32 v119, 13, v0
	v_and_or_b32 v105, v6, s23, 0x64006400
	v_lshrrev_b32_e32 v106, 14, v6
	v_and_or_b32 v107, v7, s23, 0x64006400
	v_and_or_b32 v120, v1, s23, 0x64006400
	v_dual_lshrrev_b32 v121, 13, v1 :: v_dual_lshrrev_b32 v78, 6, v2
	v_and_or_b32 v122, v2, s23, 0x64006400
	v_lshrrev_b32_e32 v123, 13, v2
	v_and_or_b32 v124, v3, s23, 0x64006400
	v_lshrrev_b32_e32 v125, 13, v3
	v_and_or_b32 v83, v81, s23, 0x64006400
	s_wait_loadcnt 0x0
	v_add_nc_u32_e32 v19, v18, v12
	scratch_load_b32 v18, off, off offset:4 ; 4-byte Folded Reload
	v_cvt_f32_u32_e32 v38, v20
	v_mad_u32_u24 v76, v20, s5, 0xe400e400
	v_cvt_f32_u32_e32 v43, v19
	v_mad_u32_u24 v45, v19, s5, 0xe400e400
	s_delay_alu instid0(VALU_DEP_4) | instskip(NEXT) | instid1(VALU_DEP_4)
	v_cvt_f16_f32_e32 v51, v38
	v_pk_add_f16 v90, v76, v66
	s_delay_alu instid0(VALU_DEP_4) | instskip(NEXT) | instid1(VALU_DEP_1)
	v_cvt_f16_f32_e32 v50, v43
	v_sub_f16_e32 v43, 0xd800, v50
	v_sub_f16_e32 v50, 0xcc00, v50
	s_delay_alu instid0(VALU_DEP_2) | instskip(NEXT) | instid1(VALU_DEP_1)
	v_and_b32_e32 v43, 0xffff, v43
	v_mul_u32_u24_e32 v71, 0x10001, v43
	v_and_or_b32 v43, v8, s23, 0x64006400
	s_wait_loadcnt 0x0
	v_dual_add_nc_u32 v18, v18, v12 :: v_dual_add_nc_u32 v12, v21, v12
	s_delay_alu instid0(VALU_DEP_1) | instskip(NEXT) | instid1(VALU_DEP_2)
	v_cvt_f32_u32_e32 v47, v18
	v_cvt_f32_u32_e32 v52, v12
	v_mad_u32_u24 v46, v18, s5, 0xe400e400
	v_mad_u32_u24 v44, v12, s5, 0xe400e400
	ds_load_2addr_b32 v[24:25], v116 offset1:1
	ds_load_2addr_b32 v[22:23], v116 offset0:2 offset1:3
	ds_load_2addr_b32 v[20:21], v116 offset0:4 offset1:5
	ds_load_2addr_b32 v[18:19], v116 offset0:6 offset1:7
	v_cvt_f16_f32_e32 v38, v47
	v_cvt_f16_f32_e32 v47, v52
	ds_load_2addr_b32 v[52:53], v116 offset0:64 offset1:65
	ds_load_2addr_b32 v[54:55], v116 offset0:66 offset1:67
	v_sub_f16_e32 v12, 0xd800, v51
	v_sub_f16_e32 v56, 0xd800, v38
	;; [unrolled: 1-line block ×3, first 2 shown]
	s_delay_alu instid0(VALU_DEP_3) | instskip(NEXT) | instid1(VALU_DEP_3)
	v_and_b32_e32 v12, 0xffff, v12
	v_and_b32_e32 v58, 0xffff, v56
	s_delay_alu instid0(VALU_DEP_3)
	v_and_b32_e32 v59, 0xffff, v57
	ds_load_2addr_b32 v[56:57], v116 offset0:128 offset1:129
	v_mul_u32_u24_e32 v62, 0x10001, v12
	v_and_or_b32 v12, v8, s22, 0x64006400
	v_mul_u32_u24_e32 v80, 0x10001, v59
	v_and_or_b32 v8, v9, s22, 0x64006400
	v_and_or_b32 v59, v9, s23, 0x64006400
	;; [unrolled: 1-line block ×4, first 2 shown]
	v_mul_u32_u24_e32 v58, 0x10001, v58
	v_pk_add_f16 v87, v76, v12
	v_pk_add_f16 v84, v45, v8
	;; [unrolled: 1-line block ×4, first 2 shown]
	v_pk_fma_f16 v88, 0x3000, v43, v62 op_sel_hi:[0,1,1]
	v_and_or_b32 v12, v68, s22, 0x64006400
	v_and_or_b32 v43, v68, s23, 0x64006400
	v_pk_fma_f16 v85, 0x3000, v59, v71 op_sel_hi:[0,1,1]
	v_and_or_b32 v59, v75, s22, 0x64006400
	v_pk_fma_f16 v69, 0x3000, v61, v58 op_sel_hi:[0,1,1]
	v_pk_fma_f16 v64, 0x3000, v63, v80 op_sel_hi:[0,1,1]
	v_and_or_b32 v8, v5, s22, 0x64006400
	s_wait_dscnt 0x6
	v_pk_fma_f16 v4, v87, v24, 0
	v_pk_fma_f16 v5, v84, v24, 0
	;; [unrolled: 1-line block ×4, first 2 shown]
	s_wait_dscnt 0x2
	s_wait_xcnt 0x5
	v_pk_fma_f16 v0, v70, v52, 0
	v_and_or_b32 v61, v81, s22, 0x64006400
	v_and_or_b32 v9, v6, s22, 0x64006400
	v_lshrrev_b32_e32 v11, 6, v6
	v_and_or_b32 v6, v7, s22, 0x64006400
	v_lshrrev_b32_e32 v10, 6, v7
	v_pk_fma_f16 v91, 0x3000, v67, v62 op_sel_hi:[0,1,1]
	v_pk_add_f16 v89, v45, v12
	v_pk_fma_f16 v79, 0x3000, v43, v71 op_sel_hi:[0,1,1]
	v_pk_add_f16 v67, v46, v59
	v_pk_fma_f16 v66, 0x3000, v72, v58 op_sel_hi:[0,1,1]
	v_pk_fma_f16 v86, v87, v52, 0
	v_pk_fma_f16 v92, v84, v52, 0
	v_and_or_b32 v7, v1, s22, 0x64006400
	v_lshrrev_b32_e32 v72, 6, v1
	v_and_or_b32 v59, v2, s22, 0x64006400
	v_and_or_b32 v43, v3, s22, 0x64006400
	v_lshrrev_b32_e32 v12, 6, v3
	v_pk_fma_f16 v1, v65, v52, 0
	s_wait_dscnt 0x0
	v_pk_fma_f16 v2, v87, v56, 0
	v_pk_fma_f16 v3, v88, v25, v4
	;; [unrolled: 1-line block ×9, first 2 shown]
	v_pk_add_f16 v61, v44, v61
	v_pk_fma_f16 v86, v88, v53, v86
	v_pk_fma_f16 v92, v85, v53, v92
	;; [unrolled: 1-line block ×7, first 2 shown]
	ds_load_2addr_b32 v[0:1], v116 offset0:130 offset1:131
	v_pk_fma_f16 v63, 0x3000, v83, v80 op_sel_hi:[0,1,1]
	v_pk_fma_f16 v2, v90, v22, v3
	v_pk_fma_f16 v3, v89, v22, v4
	;; [unrolled: 1-line block ×4, first 2 shown]
	v_sub_f16_e32 v22, 0xcc00, v51
	v_pk_fma_f16 v103, v91, v23, v2
	v_pk_fma_f16 v104, v79, v23, v3
	;; [unrolled: 1-line block ×6, first 2 shown]
	v_and_b32_e32 v22, 0xffff, v22
	v_pk_fma_f16 v2, v90, v54, v86
	v_pk_fma_f16 v3, v89, v54, v92
	;; [unrolled: 1-line block ×3, first 2 shown]
	v_sub_f16_e32 v23, 0xcc00, v38
	v_pk_fma_f16 v118, v63, v55, v24
	v_sub_f16_e32 v24, 0xcc00, v47
	v_and_b32_e32 v38, 0xffff, v50
	s_wait_dscnt 0x0
	v_pk_fma_f16 v47, v90, v0, v56
	v_pk_fma_f16 v25, v89, v0, v25
	v_and_b32_e32 v23, 0xffff, v23
	v_pk_fma_f16 v50, v67, v0, v52
	v_and_b32_e32 v24, 0xffff, v24
	v_pk_fma_f16 v86, v91, v1, v47
	v_pk_fma_f16 v92, v79, v1, v25
	v_mul_u32_u24_e32 v25, 0x10001, v22
	v_mul_u32_u24_e32 v38, 0x10001, v38
	;; [unrolled: 1-line block ×3, first 2 shown]
	v_and_or_b32 v22, v60, s24, 0x64006400
	v_and_or_b32 v23, v68, s24, 0x64006400
	v_and_b32_e32 v52, 0x20002, v99
	v_pk_fma_f16 v93, v66, v1, v50
	v_mul_u32_u24_e32 v24, 0x10001, v24
	v_and_or_b32 v50, v75, s24, 0x64006400
	v_and_or_b32 v51, v81, s24, 0x64006400
	v_pk_fma_f16 v97, 0x2400, v22, v25 op_sel_hi:[0,1,1]
	v_pk_fma_f16 v22, 0x2400, v23, v38 op_sel_hi:[0,1,1]
	v_and_or_b32 v23, 0x10001, v73, v52
	v_and_b32_e32 v73, 0x40004, v119
	v_pk_fma_f16 v68, 0x2400, v50, v47 op_sel_hi:[0,1,1]
	v_pk_fma_f16 v60, 0x2400, v51, v24 op_sel_hi:[0,1,1]
	v_and_or_b32 v54, v96, s22, 0x64006400
	v_and_or_b32 v50, v96, s23, 0x64006400
	v_and_b32_e32 v51, 0x20002, v100
	v_and_or_b32 v52, v96, s24, 0x64006400
	v_or3_b32 v96, v23, v73, 0x64006400
	v_and_or_b32 v73, v115, s24, 0x64006400
	v_pk_fma_f16 v111, v91, v55, v2
	v_pk_fma_f16 v113, v79, v55, v3
	;; [unrolled: 1-line block ×3, first 2 shown]
	v_pk_add_f16 v100, v76, v94
	v_and_or_b32 v51, 0x10001, v74, v51
	v_and_or_b32 v94, v102, s22, 0x64006400
	;; [unrolled: 1-line block ×4, first 2 shown]
	v_and_b32_e32 v74, 0x40004, v121
	v_pk_fma_f16 v102, 0x2400, v52, v25 op_sel_hi:[0,1,1]
	v_pk_fma_f16 v73, 0x2400, v73, v25 op_sel_hi:[0,1,1]
	v_and_or_b32 v25, v72, s23, 0x64006400
	v_and_b32_e32 v53, 0x20002, v106
	v_pk_fma_f16 v99, 0x3000, v95, v62 op_sel_hi:[0,1,1]
	v_and_b32_e32 v56, 0x20002, v110
	v_or3_b32 v95, v51, v74, 0x64006400
	v_pk_fma_f16 v74, 0x3000, v25, v71 op_sel_hi:[0,1,1]
	v_and_or_b32 v25, v72, s24, 0x64006400
	v_and_or_b32 v53, 0x10001, v77, v53
	v_pk_fma_f16 v81, 0x3000, v101, v71 op_sel_hi:[0,1,1]
	v_pk_fma_f16 v101, 0x3000, v50, v62 op_sel_hi:[0,1,1]
	v_and_or_b32 v50, 0x10001, v82, v56
	v_and_or_b32 v56, v115, s23, 0x64006400
	v_pk_fma_f16 v83, 0x3000, v55, v71 op_sel_hi:[0,1,1]
	v_pk_fma_f16 v77, 0x3000, v120, v71 op_sel_hi:[0,1,1]
	v_and_b32_e32 v51, 0x40004, v123
	v_pk_fma_f16 v82, 0x2400, v57, v38 op_sel_hi:[0,1,1]
	v_pk_fma_f16 v71, 0x2400, v25, v38 op_sel_hi:[0,1,1]
	v_and_or_b32 v25, v78, s23, 0x64006400
	v_and_or_b32 v38, v78, s24, 0x64006400
	v_and_b32_e32 v55, 0x40004, v125
	ds_load_2addr_b32 v[120:121], v116 offset0:68 offset1:69
	v_pk_fma_f16 v23, 0x3000, v114, v62 op_sel_hi:[0,1,1]
	v_pk_fma_f16 v75, 0x3000, v56, v62 op_sel_hi:[0,1,1]
	v_and_or_b32 v56, v11, s23, 0x64006400
	v_and_or_b32 v52, v11, s24, 0x64006400
	v_pk_fma_f16 v62, 0x3000, v105, v58 op_sel_hi:[0,1,1]
	v_or3_b32 v119, v53, v51, 0x64006400
	v_pk_fma_f16 v53, 0x3000, v122, v58 op_sel_hi:[0,1,1]
	v_pk_fma_f16 v51, 0x3000, v25, v58 op_sel_hi:[0,1,1]
	v_and_or_b32 v105, v10, s23, 0x64006400
	v_pk_fma_f16 v25, 0x2400, v38, v47 op_sel_hi:[0,1,1]
	v_or3_b32 v38, v50, v55, 0x64006400
	v_and_or_b32 v50, v12, s23, 0x64006400
	v_and_or_b32 v106, v115, s22, 0x64006400
	ds_load_2addr_b32 v[122:123], v116 offset0:132 offset1:133
	v_pk_fma_f16 v56, 0x3000, v56, v58 op_sel_hi:[0,1,1]
	v_pk_fma_f16 v57, 0x2400, v52, v47 op_sel_hi:[0,1,1]
	v_and_or_b32 v47, v10, s24, 0x64006400
	v_pk_fma_f16 v58, 0x3000, v107, v80 op_sel_hi:[0,1,1]
	v_pk_fma_f16 v55, 0x3000, v105, v80 op_sel_hi:[0,1,1]
	v_pk_fma_f16 v52, 0x3000, v124, v80 op_sel_hi:[0,1,1]
	v_pk_fma_f16 v50, 0x3000, v50, v80 op_sel_hi:[0,1,1]
	v_and_or_b32 v110, v12, s24, 0x64006400
	v_pk_add_f16 v80, v76, v106
	v_pk_add_f16 v115, v45, v8
	v_and_or_b32 v8, v11, s22, 0x64006400
	v_pk_add_f16 v106, v46, v9
	v_and_or_b32 v9, v72, s22, 0x64006400
	v_pk_add_f16 v107, v76, v54
	v_pk_fma_f16 v54, 0x2400, v47, v24 op_sel_hi:[0,1,1]
	v_pk_add_f16 v105, v76, v112
	v_pk_fma_f16 v24, 0x2400, v110, v24 op_sel_hi:[0,1,1]
	v_pk_add_f16 v76, v76, v96
	v_pk_add_f16 v114, v45, v94
	v_and_or_b32 v11, v78, s22, 0x64006400
	v_pk_add_f16 v94, v46, v8
	v_pk_add_f16 v112, v45, v7
	v_pk_add_f16 v110, v45, v9
	v_pk_add_f16 v96, v45, v95
	v_pk_add_f16 v95, v44, v6
	v_pk_fma_f16 v6, v97, v20, v103
	v_pk_fma_f16 v7, v22, v20, v104
	;; [unrolled: 1-line block ×4, first 2 shown]
	v_pk_add_f16 v72, v46, v11
	v_pk_fma_f16 v103, v100, v21, v6
	v_pk_fma_f16 v104, v115, v21, v7
	;; [unrolled: 1-line block ×4, first 2 shown]
	ds_load_2addr_b32 v[8:9], v116 offset0:134 offset1:135
	ds_load_2addr_b32 v[6:7], v116 offset0:70 offset1:71
	s_wait_dscnt 0x3
	v_pk_fma_f16 v11, v97, v120, v111
	v_and_or_b32 v10, v10, s22, 0x64006400
	ds_load_2addr_b32 v[4:5], v116 offset0:8 offset1:9
	ds_load_2addr_b32 v[2:3], v116 offset0:10 offset1:11
	v_pk_fma_f16 v98, v63, v1, v0
	v_pk_fma_f16 v20, v100, v121, v11
	s_wait_dscnt 0x4
	v_pk_fma_f16 v11, v97, v122, v86
	v_pk_fma_f16 v86, v22, v122, v92
	;; [unrolled: 1-line block ×3, first 2 shown]
	v_pk_add_f16 v93, v44, v10
	v_pk_fma_f16 v103, v99, v18, v103
	v_pk_fma_f16 v104, v81, v18, v104
	;; [unrolled: 1-line block ×4, first 2 shown]
	v_pk_add_f16 v78, v46, v59
	v_pk_add_f16 v59, v46, v119
	v_pk_fma_f16 v45, v22, v120, v113
	v_pk_fma_f16 v46, v68, v120, v117
	;; [unrolled: 1-line block ×8, first 2 shown]
	ds_load_2addr_b32 v[18:19], v116 offset0:72 offset1:73
	v_pk_fma_f16 v21, v115, v121, v45
	v_pk_fma_f16 v45, v106, v121, v46
	;; [unrolled: 1-line block ×7, first 2 shown]
	s_wait_dscnt 0x3
	v_pk_fma_f16 v20, v99, v6, v20
	v_pk_fma_f16 v21, v81, v6, v21
	v_pk_fma_f16 v45, v62, v6, v45
	v_pk_fma_f16 v6, v58, v6, v46
	v_pk_fma_f16 v111, v99, v8, v47
	v_pk_fma_f16 v86, v81, v8, v86
	v_pk_fma_f16 v92, v62, v8, v92
	v_pk_fma_f16 v8, v58, v8, v98
	ds_load_2addr_b32 v[0:1], v116 offset0:12 offset1:13
	ds_load_2addr_b32 v[10:11], v116 offset0:14 offset1:15
	v_pk_fma_f16 v98, v107, v7, v20
	v_pk_fma_f16 v21, v114, v7, v21
	v_pk_fma_f16 v45, v94, v7, v45
	v_pk_fma_f16 v6, v93, v7, v6
	ds_load_2addr_b32 v[46:47], v116 offset0:74 offset1:75
	v_pk_fma_f16 v111, v107, v9, v111
	v_pk_fma_f16 v113, v114, v9, v86
	;; [unrolled: 1-line block ×4, first 2 shown]
	s_wait_dscnt 0x5
	v_pk_fma_f16 v7, v101, v4, v103
	v_pk_fma_f16 v8, v83, v4, v104
	;; [unrolled: 1-line block ×4, first 2 shown]
	ds_load_2addr_b32 v[108:109], v116 offset0:76 offset1:77
	v_pk_fma_f16 v7, v102, v5, v7
	v_pk_fma_f16 v8, v82, v5, v8
	;; [unrolled: 1-line block ×4, first 2 shown]
	ds_load_2addr_b32 v[4:5], v116 offset0:78 offset1:79
	s_wait_dscnt 0x5
	v_pk_fma_f16 v92, v101, v18, v98
	v_pk_fma_f16 v21, v83, v18, v21
	;; [unrolled: 1-line block ×4, first 2 shown]
	v_pk_add_f16 v98, v44, v43
	v_pk_fma_f16 v18, v102, v19, v92
	v_pk_fma_f16 v21, v82, v19, v21
	;; [unrolled: 1-line block ×8, first 2 shown]
	ds_load_2addr_b32 v[8:9], v116 offset0:136 offset1:137
	v_pk_fma_f16 v92, v23, v3, v6
	v_pk_fma_f16 v103, v77, v3, v7
	;; [unrolled: 1-line block ×4, first 2 shown]
	v_and_or_b32 v3, v12, s22, 0x64006400
	ds_load_2addr_b32 v[6:7], v116 offset0:138 offset1:139
	s_wait_dscnt 0x4
	v_pk_fma_f16 v12, v105, v46, v18
	v_pk_fma_f16 v18, v112, v46, v21
	;; [unrolled: 1-line block ×4, first 2 shown]
	v_pk_add_f16 v86, v44, v3
	v_pk_fma_f16 v3, v23, v47, v12
	v_pk_fma_f16 v12, v77, v47, v18
	;; [unrolled: 1-line block ×8, first 2 shown]
	ds_load_2addr_b32 v[18:19], v116 offset0:140 offset1:141
	v_pk_fma_f16 v46, v75, v1, v46
	v_pk_fma_f16 v47, v74, v1, v47
	;; [unrolled: 1-line block ×4, first 2 shown]
	ds_load_2addr_b32 v[0:1], v116 offset0:142 offset1:143
	s_wait_dscnt 0x3
	v_pk_fma_f16 v104, v101, v8, v111
	v_pk_fma_f16 v2, v80, v108, v3
	;; [unrolled: 1-line block ×6, first 2 shown]
	v_pk_add_f16 v92, v44, v38
	v_pk_fma_f16 v44, v102, v9, v104
	v_pk_fma_f16 v38, v56, v8, v117
	;; [unrolled: 1-line block ×5, first 2 shown]
	s_wait_dscnt 0x2
	v_pk_fma_f16 v44, v105, v6, v44
	v_pk_fma_f16 v111, v74, v109, v3
	;; [unrolled: 1-line block ×3, first 2 shown]
	ds_load_2addr_b32 v[2:3], v116 offset0:192 offset1:193
	v_pk_fma_f16 v20, v57, v9, v38
	v_pk_fma_f16 v38, v23, v7, v44
	;; [unrolled: 1-line block ×9, first 2 shown]
	s_wait_dscnt 0x2
	v_pk_fma_f16 v38, v80, v18, v38
	v_pk_fma_f16 v9, v77, v7, v43
	;; [unrolled: 1-line block ×9, first 2 shown]
	ds_load_2addr_b32 v[10:11], v116 offset0:194 offset1:195
	v_pk_fma_f16 v44, v73, v4, v108
	v_pk_fma_f16 v108, v59, v5, v12
	;; [unrolled: 1-line block ×8, first 2 shown]
	s_wait_dscnt 0x2
	v_pk_fma_f16 v7, v73, v0, v12
	v_pk_fma_f16 v8, v74, v19, v8
	;; [unrolled: 1-line block ×7, first 2 shown]
	ds_load_2addr_b32 v[4:5], v116 offset0:196 offset1:197
	v_pk_fma_f16 v119, v76, v1, v7
	v_pk_fma_f16 v8, v71, v0, v8
	;; [unrolled: 1-line block ×4, first 2 shown]
	ds_load_2addr_b32 v[6:7], v116 offset0:198 offset1:199
	s_wait_dscnt 0x3
	v_pk_fma_f16 v9, v87, v2, 0
	v_pk_fma_f16 v19, v84, v2, 0
	;; [unrolled: 1-line block ×10, first 2 shown]
	s_wait_dscnt 0x2
	v_pk_fma_f16 v9, v90, v10, v9
	v_pk_fma_f16 v8, v89, v10, v8
	;; [unrolled: 1-line block ×4, first 2 shown]
	ds_load_2addr_b32 v[2:3], v116 offset0:200 offset1:201
	v_pk_fma_f16 v9, v91, v11, v9
	v_pk_fma_f16 v8, v79, v11, v8
	;; [unrolled: 1-line block ×5, first 2 shown]
	s_wait_dscnt 0x2
	v_pk_fma_f16 v9, v97, v4, v9
	v_pk_fma_f16 v8, v22, v4, v8
	ds_load_2addr_b32 v[10:11], v116 offset0:202 offset1:203
	v_pk_fma_f16 v12, v68, v4, v12
	v_pk_fma_f16 v4, v60, v4, v19
	;; [unrolled: 1-line block ×7, first 2 shown]
	s_wait_dscnt 0x2
	v_pk_fma_f16 v9, v99, v6, v9
	v_pk_fma_f16 v8, v81, v6, v8
	;; [unrolled: 1-line block ×7, first 2 shown]
	ds_load_2addr_b32 v[4:5], v116 offset0:204 offset1:205
	v_pk_fma_f16 v8, v94, v7, v12
	v_pk_fma_f16 v6, v93, v7, v6
	s_wait_dscnt 0x2
	v_pk_fma_f16 v9, v101, v2, v9
	v_pk_fma_f16 v0, v83, v2, v0
	v_mov_b32_e32 v7, s25
	v_pk_fma_f16 v8, v56, v2, v8
	v_pk_fma_f16 v2, v55, v2, v6
	v_pk_fma_f16 v1, v102, v3, v9
	v_pk_fma_f16 v6, v82, v3, v0
	s_add_co_i32 s25, s20, 0x408
	v_pk_fma_f16 v8, v57, v3, v8
	v_pk_fma_f16 v2, v54, v3, v2
	s_wait_dscnt 0x1
	v_pk_fma_f16 v9, v105, v10, v1
	v_pk_fma_f16 v3, v112, v10, v6
	v_mov_b32_e32 v6, s25
	ds_load_2addr_b32 v[0:1], v7 offset1:1
	v_pk_fma_f16 v8, v78, v10, v8
	v_pk_fma_f16 v10, v98, v10, v2
	;; [unrolled: 1-line block ×3, first 2 shown]
	ds_load_2addr_b32 v[2:3], v6 offset1:1
	v_pk_fma_f16 v7, v23, v11, v9
	v_pk_fma_f16 v6, v53, v11, v8
	s_add_co_i32 s25, s20, 0x410
	s_wait_dscnt 0x2
	v_pk_fma_f16 v8, v110, v4, v12
	v_pk_fma_f16 v7, v80, v4, v7
	;; [unrolled: 1-line block ×3, first 2 shown]
	s_delay_alu instid0(VALU_DEP_2)
	v_pk_fma_f16 v9, v75, v5, v7
	v_pk_fma_f16 v7, v52, v11, v10
	v_mov_b32_e32 v11, s25
	v_pk_fma_f16 v10, v74, v5, v8
	s_add_co_i32 s25, s20, 0x418
	s_wait_dscnt 0x1
	v_pk_fma_f16 v18, v87, v0, 0
	v_pk_fma_f16 v4, v86, v4, v7
	ds_load_2addr_b32 v[6:7], v11 offset1:1
	v_pk_fma_f16 v11, v51, v5, v12
	v_pk_fma_f16 v12, v70, v0, 0
	;; [unrolled: 1-line block ×6, first 2 shown]
	v_mov_b32_e32 v18, s25
	v_pk_fma_f16 v12, v69, v1, v12
	v_pk_fma_f16 v20, v85, v1, v5
	;; [unrolled: 1-line block ×3, first 2 shown]
	s_wait_dscnt 0x1
	v_pk_fma_f16 v19, v90, v2, v4
	ds_load_2addr_b32 v[4:5], v18 offset1:1
	v_pk_fma_f16 v12, v67, v2, v12
	v_pk_fma_f16 v18, v89, v2, v20
	;; [unrolled: 1-line block ×3, first 2 shown]
	s_add_co_i32 s25, s20, 0x420
	v_pk_fma_f16 v1, v91, v3, v19
	v_mov_b32_e32 v2, s25
	v_pk_fma_f16 v18, v79, v3, v18
	v_pk_fma_f16 v12, v66, v3, v12
	;; [unrolled: 1-line block ×3, first 2 shown]
	s_wait_dscnt 0x1
	v_pk_fma_f16 v1, v97, v6, v1
	ds_load_2addr_b32 v[2:3], v2 offset1:1
	v_pk_fma_f16 v18, v22, v6, v18
	v_pk_fma_f16 v12, v68, v6, v12
	v_pk_fma_f16 v0, v60, v6, v0
	s_add_co_i32 s25, s20, 0x428
	v_pk_fma_f16 v1, v100, v7, v1
	v_mov_b32_e32 v6, s25
	v_pk_fma_f16 v18, v115, v7, v18
	v_pk_fma_f16 v12, v106, v7, v12
	;; [unrolled: 1-line block ×3, first 2 shown]
	s_wait_dscnt 0x1
	v_pk_fma_f16 v19, v99, v4, v1
	ds_load_2addr_b32 v[0:1], v6 offset1:1
	v_pk_fma_f16 v18, v81, v4, v18
	v_pk_fma_f16 v12, v62, v4, v12
	;; [unrolled: 1-line block ×4, first 2 shown]
	s_add_co_i32 s25, s20, 0x430
	v_pk_fma_f16 v18, v114, v5, v18
	v_pk_fma_f16 v12, v94, v5, v12
	;; [unrolled: 1-line block ×3, first 2 shown]
	s_wait_dscnt 0x1
	v_pk_fma_f16 v19, v101, v2, v6
	ds_load_2addr_b32 v[6:7], v116 offset0:206 offset1:207
	v_mov_b32_e32 v5, s25
	v_pk_fma_f16 v18, v83, v2, v18
	v_pk_fma_f16 v12, v56, v2, v12
	;; [unrolled: 1-line block ×4, first 2 shown]
	ds_load_2addr_b32 v[4:5], v5 offset1:1
	v_pk_fma_f16 v18, v82, v3, v18
	v_pk_fma_f16 v12, v57, v3, v12
	;; [unrolled: 1-line block ×3, first 2 shown]
	s_add_co_i32 s25, s20, 0x438
	s_wait_dscnt 0x2
	v_pk_fma_f16 v19, v105, v0, v19
	v_mov_b32_e32 v3, s25
	v_pk_fma_f16 v18, v112, v0, v18
	v_pk_fma_f16 v12, v78, v0, v12
	;; [unrolled: 1-line block ×3, first 2 shown]
	s_add_co_i32 s25, s20, 0x500
	v_pk_fma_f16 v19, v23, v1, v19
	v_pk_fma_f16 v18, v77, v1, v18
	;; [unrolled: 1-line block ×4, first 2 shown]
	v_mov_b32_e32 v0, s25
	ds_load_2addr_b32 v[2:3], v3 offset1:1
	s_wait_dscnt 0x2
	v_pk_fma_f16 v9, v73, v6, v9
	v_pk_fma_f16 v10, v71, v6, v10
	;; [unrolled: 1-line block ×3, first 2 shown]
	ds_load_2addr_b32 v[0:1], v0 offset1:1
	v_pk_fma_f16 v6, v24, v6, v8
	v_pk_fma_f16 v44, v76, v7, v9
	s_wait_dscnt 0x2
	v_pk_fma_f16 v9, v80, v4, v19
	v_pk_fma_f16 v45, v96, v7, v10
	;; [unrolled: 1-line block ×11, first 2 shown]
	s_add_co_i32 s25, s20, 0x508
	s_wait_dscnt 0x1
	v_pk_fma_f16 v9, v73, v2, v9
	v_pk_fma_f16 v5, v71, v2, v10
	;; [unrolled: 1-line block ×4, first 2 shown]
	s_delay_alu instid0(VALU_DEP_4) | instskip(NEXT) | instid1(VALU_DEP_4)
	v_pk_fma_f16 v38, v76, v3, v9
	v_pk_fma_f16 v43, v96, v3, v5
	s_delay_alu instid0(VALU_DEP_4) | instskip(NEXT) | instid1(VALU_DEP_4)
	v_pk_fma_f16 v122, v59, v3, v6
	v_pk_fma_f16 v124, v92, v3, v2
	v_mov_b32_e32 v2, s25
	s_add_co_i32 s25, s20, 0x510
	ds_load_2addr_b32 v[2:3], v2 offset1:1
	s_wait_dscnt 0x1
	v_pk_fma_f16 v4, v87, v0, 0
	v_pk_fma_f16 v5, v84, v0, 0
	;; [unrolled: 1-line block ×4, first 2 shown]
	s_delay_alu instid0(VALU_DEP_4) | instskip(NEXT) | instid1(VALU_DEP_4)
	v_pk_fma_f16 v4, v88, v1, v4
	v_pk_fma_f16 v5, v85, v1, v5
	s_delay_alu instid0(VALU_DEP_4) | instskip(NEXT) | instid1(VALU_DEP_4)
	v_pk_fma_f16 v6, v69, v1, v6
	v_pk_fma_f16 v7, v64, v1, v0
	v_mov_b32_e32 v0, s25
	s_add_co_i32 s25, s20, 0x518
	ds_load_2addr_b32 v[0:1], v0 offset1:1
	s_wait_dscnt 0x1
	v_pk_fma_f16 v4, v90, v2, v4
	v_pk_fma_f16 v5, v89, v2, v5
	;; [unrolled: 1-line block ×4, first 2 shown]
	s_delay_alu instid0(VALU_DEP_4) | instskip(NEXT) | instid1(VALU_DEP_4)
	v_pk_fma_f16 v4, v91, v3, v4
	v_pk_fma_f16 v5, v79, v3, v5
	s_delay_alu instid0(VALU_DEP_4) | instskip(NEXT) | instid1(VALU_DEP_4)
	v_pk_fma_f16 v6, v66, v3, v6
	v_pk_fma_f16 v2, v63, v3, v2
	v_mov_b32_e32 v3, s25
	s_add_co_i32 s25, s20, 0x520
	s_wait_dscnt 0x0
	v_pk_fma_f16 v4, v97, v0, v4
	v_pk_fma_f16 v5, v22, v0, v5
	;; [unrolled: 1-line block ×4, first 2 shown]
	s_delay_alu instid0(VALU_DEP_4) | instskip(NEXT) | instid1(VALU_DEP_4)
	v_pk_fma_f16 v4, v100, v1, v4
	v_pk_fma_f16 v5, v115, v1, v5
	s_delay_alu instid0(VALU_DEP_4) | instskip(NEXT) | instid1(VALU_DEP_4)
	v_pk_fma_f16 v6, v106, v1, v6
	v_pk_fma_f16 v7, v95, v1, v0
	v_mov_b32_e32 v0, s25
	ds_load_2addr_b32 v[2:3], v3 offset1:1
	s_add_co_i32 s25, s20, 0x528
	ds_load_2addr_b32 v[0:1], v0 offset1:1
	s_wait_dscnt 0x1
	v_pk_fma_f16 v4, v99, v2, v4
	v_pk_fma_f16 v5, v81, v2, v5
	;; [unrolled: 1-line block ×4, first 2 shown]
	s_delay_alu instid0(VALU_DEP_4) | instskip(NEXT) | instid1(VALU_DEP_4)
	v_pk_fma_f16 v4, v107, v3, v4
	v_pk_fma_f16 v5, v114, v3, v5
	s_delay_alu instid0(VALU_DEP_4) | instskip(NEXT) | instid1(VALU_DEP_4)
	v_pk_fma_f16 v6, v94, v3, v6
	v_pk_fma_f16 v2, v93, v3, v2
	v_mov_b32_e32 v3, s25
	s_wait_dscnt 0x0
	v_pk_fma_f16 v4, v101, v0, v4
	v_pk_fma_f16 v5, v83, v0, v5
	;; [unrolled: 1-line block ×4, first 2 shown]
	s_add_co_i32 s25, s20, 0x530
	v_pk_fma_f16 v4, v102, v1, v4
	v_pk_fma_f16 v5, v82, v1, v5
	v_pk_fma_f16 v6, v57, v1, v6
	v_pk_fma_f16 v7, v54, v1, v0
	v_mov_b32_e32 v0, s25
	ds_load_2addr_b32 v[2:3], v3 offset1:1
	s_add_co_i32 s25, s20, 0x538
	ds_load_2addr_b32 v[0:1], v0 offset1:1
	s_wait_dscnt 0x1
	v_pk_fma_f16 v4, v105, v2, v4
	v_pk_fma_f16 v5, v112, v2, v5
	;; [unrolled: 1-line block ×4, first 2 shown]
	s_delay_alu instid0(VALU_DEP_4) | instskip(NEXT) | instid1(VALU_DEP_4)
	v_pk_fma_f16 v4, v23, v3, v4
	v_pk_fma_f16 v5, v77, v3, v5
	s_delay_alu instid0(VALU_DEP_4) | instskip(NEXT) | instid1(VALU_DEP_4)
	v_pk_fma_f16 v6, v53, v3, v6
	v_pk_fma_f16 v2, v52, v3, v2
	v_mov_b32_e32 v3, s25
	s_wait_dscnt 0x0
	v_pk_fma_f16 v4, v80, v0, v4
	v_pk_fma_f16 v5, v110, v0, v5
	;; [unrolled: 1-line block ×4, first 2 shown]
	s_add_co_i32 s25, s20, 0x600
	v_pk_fma_f16 v4, v75, v1, v4
	v_pk_fma_f16 v5, v74, v1, v5
	;; [unrolled: 1-line block ×4, first 2 shown]
	v_mov_b32_e32 v0, s25
	ds_load_2addr_b32 v[2:3], v3 offset1:1
	s_add_co_i32 s25, s20, 0x608
	ds_load_2addr_b32 v[0:1], v0 offset1:1
	s_wait_dscnt 0x1
	v_pk_fma_f16 v4, v73, v2, v4
	v_pk_fma_f16 v5, v71, v2, v5
	;; [unrolled: 1-line block ×4, first 2 shown]
	s_delay_alu instid0(VALU_DEP_4) | instskip(NEXT) | instid1(VALU_DEP_4)
	v_pk_fma_f16 v12, v76, v3, v4
	v_pk_fma_f16 v46, v96, v3, v5
	s_delay_alu instid0(VALU_DEP_4) | instskip(NEXT) | instid1(VALU_DEP_4)
	v_pk_fma_f16 v126, v59, v3, v6
	v_pk_fma_f16 v127, v92, v3, v2
	s_wait_dscnt 0x0
	v_pk_fma_f16 v2, v87, v0, 0
	v_pk_fma_f16 v3, v84, v0, 0
	v_pk_fma_f16 v4, v70, v0, 0
	v_pk_fma_f16 v0, v65, v0, 0
	s_delay_alu instid0(VALU_DEP_4) | instskip(NEXT) | instid1(VALU_DEP_4)
	v_pk_fma_f16 v2, v88, v1, v2
	v_pk_fma_f16 v3, v85, v1, v3
	s_delay_alu instid0(VALU_DEP_4) | instskip(NEXT) | instid1(VALU_DEP_4)
	v_pk_fma_f16 v4, v69, v1, v4
	v_pk_fma_f16 v5, v64, v1, v0
	v_mov_b32_e32 v0, s25
	s_add_co_i32 s25, s20, 0x610
	ds_load_2addr_b32 v[0:1], v0 offset1:1
	s_wait_dscnt 0x0
	v_pk_fma_f16 v2, v90, v0, v2
	v_pk_fma_f16 v3, v89, v0, v3
	v_pk_fma_f16 v4, v67, v0, v4
	v_pk_fma_f16 v0, v61, v0, v5
	s_delay_alu instid0(VALU_DEP_4) | instskip(NEXT) | instid1(VALU_DEP_4)
	v_pk_fma_f16 v2, v91, v1, v2
	v_pk_fma_f16 v3, v79, v1, v3
	s_delay_alu instid0(VALU_DEP_4) | instskip(NEXT) | instid1(VALU_DEP_4)
	v_pk_fma_f16 v4, v66, v1, v4
	v_pk_fma_f16 v5, v63, v1, v0
	v_mov_b32_e32 v0, s25
	s_add_co_i32 s25, s20, 0x618
	ds_load_2addr_b32 v[0:1], v0 offset1:1
	;; [unrolled: 14-line block ×5, first 2 shown]
	s_wait_dscnt 0x0
	v_pk_fma_f16 v2, v105, v0, v2
	v_pk_fma_f16 v3, v112, v0, v3
	;; [unrolled: 1-line block ×4, first 2 shown]
	s_delay_alu instid0(VALU_DEP_4) | instskip(NEXT) | instid1(VALU_DEP_4)
	v_pk_fma_f16 v48, v23, v1, v2
	v_pk_fma_f16 v49, v77, v1, v3
	s_delay_alu instid0(VALU_DEP_4) | instskip(NEXT) | instid1(VALU_DEP_4)
	v_pk_fma_f16 v42, v53, v1, v4
	v_pk_fma_f16 v47, v52, v1, v0
	v_mov_b32_e32 v0, s25
	s_add_co_i32 s25, s20, 0x708
	s_delay_alu instid0(SALU_CYCLE_1)
	v_mov_b32_e32 v1, s25
	s_add_co_i32 s25, s20, 0x710
	ds_load_2addr_b32 v[20:21], v0 offset1:1
	ds_load_2addr_b32 v[18:19], v1 offset1:1
	v_mov_b32_e32 v1, s25
	s_add_co_i32 s25, s20, 0x718
	ds_load_2addr_b32 v[10:11], v1 offset1:1
	v_mov_b32_e32 v1, s25
	s_add_co_i32 s25, s20, 0x720
	;; [unrolled: 3-line block ×3, first 2 shown]
	s_delay_alu instid0(SALU_CYCLE_1)
	v_mov_b32_e32 v2, s25
	s_wait_dscnt 0x3
	v_pk_fma_f16 v0, v87, v20, 0
	ds_load_2addr_b32 v[6:7], v1 offset1:1
	s_add_co_i32 s25, s20, 0x630
	ds_load_2addr_b32 v[4:5], v2 offset1:1
	v_pk_fma_f16 v0, v88, v21, v0
	v_pk_fma_f16 v1, v84, v20, 0
	v_mov_b32_e32 v2, s25
	s_add_co_i32 s25, s20, 0x638
	s_wait_dscnt 0x4
	v_pk_fma_f16 v0, v90, v18, v0
	v_pk_fma_f16 v1, v85, v21, v1
	ds_load_2addr_b32 v[84:85], v2 offset1:1
	v_mov_b32_e32 v2, s25
	s_add_co_i32 s25, s20, 0x730
	v_pk_fma_f16 v0, v91, v19, v0
	v_pk_fma_f16 v1, v89, v18, v1
	s_wait_dscnt 0x4
	s_delay_alu instid0(VALU_DEP_2) | instskip(NEXT) | instid1(VALU_DEP_2)
	v_pk_fma_f16 v0, v97, v10, v0
	v_pk_fma_f16 v1, v79, v19, v1
	s_delay_alu instid0(VALU_DEP_2) | instskip(NEXT) | instid1(VALU_DEP_2)
	v_pk_fma_f16 v0, v100, v11, v0
	v_pk_fma_f16 v1, v22, v10, v1
	s_wait_dscnt 0x3
	s_delay_alu instid0(VALU_DEP_2) | instskip(NEXT) | instid1(VALU_DEP_2)
	v_pk_fma_f16 v0, v99, v8, v0
	v_pk_fma_f16 v1, v115, v11, v1
	s_wait_dscnt 0x0
	v_pk_fma_f16 v42, v72, v84, v42
	v_pk_fma_f16 v47, v86, v84, v47
	;; [unrolled: 1-line block ×3, first 2 shown]
	s_delay_alu instid0(VALU_DEP_3) | instskip(NEXT) | instid1(VALU_DEP_3)
	v_pk_fma_f16 v42, v51, v85, v42
	v_pk_fma_f16 v47, v50, v85, v47
	s_delay_alu instid0(VALU_DEP_3) | instskip(NEXT) | instid1(VALU_DEP_1)
	v_pk_fma_f16 v0, v101, v6, v0
	v_pk_fma_f16 v0, v102, v7, v0
	s_delay_alu instid0(VALU_DEP_1) | instskip(NEXT) | instid1(VALU_DEP_1)
	v_pk_fma_f16 v0, v105, v4, v0
	v_pk_fma_f16 v87, v23, v5, v0
	;; [unrolled: 1-line block ×3, first 2 shown]
	v_mov_b32_e32 v1, s25
	ds_load_2addr_b32 v[22:23], v2 offset1:1
	s_add_co_i32 s25, s20, 0x738
	s_add_co_i32 s20, s20, 64
	v_pk_fma_f16 v0, v114, v9, v0
	ds_load_2addr_b32 v[2:3], v1 offset1:1
	v_pk_fma_f16 v1, v80, v84, v48
	v_pk_fma_f16 v48, v110, v84, v49
	v_mov_b32_e32 v49, s25
	v_pk_fma_f16 v0, v83, v6, v0
	s_cmp_ge_i32 s17, s18
	v_pk_fma_f16 v79, v75, v85, v1
	v_pk_fma_f16 v48, v74, v85, v48
	s_delay_alu instid0(VALU_DEP_3)
	v_pk_fma_f16 v82, v82, v7, v0
	ds_load_2addr_b32 v[0:1], v49 offset1:1
	s_wait_dscnt 0x2
	v_pk_fma_f16 v49, v73, v22, v79
	v_pk_fma_f16 v48, v71, v22, v48
	;; [unrolled: 1-line block ×4, first 2 shown]
	s_delay_alu instid0(VALU_DEP_4) | instskip(NEXT) | instid1(VALU_DEP_4)
	v_pk_fma_f16 v79, v76, v23, v49
	v_pk_fma_f16 v81, v96, v23, v48
	s_wait_dscnt 0x1
	v_pk_fma_f16 v48, v80, v2, v87
	v_pk_fma_f16 v49, v112, v4, v82
	;; [unrolled: 1-line block ×4, first 2 shown]
	s_delay_alu instid0(VALU_DEP_4) | instskip(NEXT) | instid1(VALU_DEP_4)
	v_pk_fma_f16 v42, v75, v3, v48
	v_pk_fma_f16 v48, v77, v5, v49
	;; [unrolled: 1-line block ×5, first 2 shown]
	s_wait_dscnt 0x0
	v_pk_fma_f16 v42, v73, v0, v42
	v_pk_fma_f16 v48, v110, v2, v48
	;; [unrolled: 1-line block ×4, first 2 shown]
	v_pack_b32_f16 v47, v117, v118
	v_pk_fma_f16 v21, v76, v1, v42
	v_pk_fma_f16 v42, v74, v3, v48
	;; [unrolled: 1-line block ×4, first 2 shown]
	v_perm_b32 v23, v118, v117, 0x7060302
	v_pack_b32_f16 v48, v120, v121
	v_perm_b32 v49, v121, v120, 0x7060302
	v_pk_fma_f16 v18, v63, v19, v18
	v_pk_fma_f16 v22, v68, v10, v22
	;; [unrolled: 1-line block ×3, first 2 shown]
	v_pk_add_f16 v23, v47, v23
	v_pk_add_f16 v42, v48, v49
	v_pk_fma_f16 v18, v60, v10, v18
	v_pk_fma_f16 v22, v106, v11, v22
	;; [unrolled: 1-line block ×4, first 2 shown]
	v_pack_b32_f16 v23, v44, v45
	v_pk_fma_f16 v11, v95, v11, v18
	v_pk_fma_f16 v19, v62, v8, v22
	v_pack_b32_f16 v18, v119, v125
	v_perm_b32 v22, v125, v119, 0x7060302
	v_pk_fma_f16 v39, v42, v16, v39
	v_pk_fma_f16 v8, v58, v8, v11
	;; [unrolled: 1-line block ×3, first 2 shown]
	v_perm_b32 v11, v45, v44, 0x7060302
	v_pack_b32_f16 v42, v38, v43
	v_perm_b32 v38, v43, v38, 0x7060302
	v_pk_fma_f16 v8, v93, v9, v8
	v_pk_fma_f16 v19, v56, v6, v19
	v_pk_add_f16 v9, v18, v22
	v_pk_add_f16 v11, v23, v11
	;; [unrolled: 1-line block ×3, first 2 shown]
	v_pk_fma_f16 v6, v55, v6, v8
	v_pk_fma_f16 v19, v57, v7, v19
	;; [unrolled: 1-line block ×4, first 2 shown]
	v_perm_b32 v9, v46, v12, 0x7060302
	v_pk_fma_f16 v6, v54, v7, v6
	v_pk_fma_f16 v8, v78, v4, v19
	v_pack_b32_f16 v7, v12, v46
	v_pack_b32_f16 v11, v79, v81
	;; [unrolled: 1-line block ×3, first 2 shown]
	v_pk_fma_f16 v4, v98, v4, v6
	v_pk_fma_f16 v8, v53, v5, v8
	v_perm_b32 v6, v81, v79, 0x7060302
	v_perm_b32 v10, v10, v21, 0x7060302
	v_pk_fma_f16 v32, v18, v16, v32
	v_pk_fma_f16 v4, v52, v5, v4
	;; [unrolled: 1-line block ×3, first 2 shown]
	v_pk_add_f16 v5, v7, v9
	v_pk_add_f16 v6, v11, v6
	;; [unrolled: 1-line block ×3, first 2 shown]
	v_pk_fma_f16 v2, v86, v2, v4
	v_pk_fma_f16 v8, v51, v3, v8
	;; [unrolled: 1-line block ×7, first 2 shown]
	v_pack_b32_f16 v3, v103, v104
	v_perm_b32 v5, v104, v103, 0x7060302
	v_pack_b32_f16 v6, v108, v109
	v_perm_b32 v7, v109, v108, 0x7060302
	;; [unrolled: 2-line block ×3, first 2 shown]
	v_pk_fma_f16 v0, v24, v0, v2
	v_pk_fma_f16 v4, v59, v1, v4
	v_pk_add_f16 v2, v3, v5
	v_pk_add_f16 v3, v6, v7
	v_pk_add_f16 v5, v8, v9
	v_pack_b32_f16 v6, v116, v123
	v_perm_b32 v7, v123, v116, 0x7060302
	v_pk_fma_f16 v0, v92, v1, v0
	v_pk_fma_f16 v40, v2, v17, v40
	;; [unrolled: 1-line block ×4, first 2 shown]
	v_pk_add_f16 v1, v6, v7
	v_pack_b32_f16 v2, v122, v124
	v_perm_b32 v3, v124, v122, 0x7060302
	v_pack_b32_f16 v5, v126, v127
	v_perm_b32 v6, v127, v126, 0x7060302
	;; [unrolled: 2-line block ×4, first 2 shown]
	v_pk_add_f16 v2, v2, v3
	v_pk_add_f16 v3, v5, v6
	;; [unrolled: 1-line block ×3, first 2 shown]
	v_pk_fma_f16 v33, v1, v17, v33
	v_pk_add_f16 v0, v9, v0
	v_pk_fma_f16 v31, v2, v17, v31
	v_pk_fma_f16 v29, v3, v17, v29
	;; [unrolled: 1-line block ×3, first 2 shown]
	s_delay_alu instid0(VALU_DEP_4)
	v_pk_fma_f16 v13, v0, v17, v13
	s_cbranch_scc1 .LBB44_56
.LBB44_39:                              ; =>This Inner Loop Header: Depth=1
	s_cmp_lg_u32 s17, s21
	s_cbranch_scc1 .LBB44_38
; %bb.40:                               ;   in Loop: Header=BB44_39 Depth=1
	scratch_load_b32 v0, off, off offset:28 ; 4-byte Folded Reload
	s_add_co_i32 s19, s19, 1
                                        ; implicit-def: $vgpr2
	s_delay_alu instid0(SALU_CYCLE_1) | instskip(NEXT) | instid1(SALU_CYCLE_1)
	s_mul_i32 s25, s19, s4
	s_ashr_i32 s26, s25, 31
	s_delay_alu instid0(SALU_CYCLE_1) | instskip(NEXT) | instid1(SALU_CYCLE_1)
	s_lshr_b32 s26, s26, 27
	s_add_co_i32 s26, s25, s26
	s_delay_alu instid0(SALU_CYCLE_1)
	s_ashr_i32 s26, s26, 5
	s_wait_loadcnt 0x0
	v_mad_u32 v0, s26, 3, v0
	global_load_b32 v3, v0, s[12:13] scale_offset
	s_wait_xcnt 0x0
	s_and_saveexec_b32 s26, vcc_lo
	s_delay_alu instid0(SALU_CYCLE_1)
	s_xor_b32 s26, exec_lo, s26
	s_cbranch_execz .LBB44_54
; %bb.41:                               ;   in Loop: Header=BB44_39 Depth=1
	v_ashrrev_i32_e32 v1, 31, v0
                                        ; implicit-def: $vgpr2
	s_delay_alu instid0(VALU_DEP_1) | instskip(SKIP_1) | instid1(SALU_CYCLE_1)
	v_lshl_add_u64 v[0:1], v[0:1], 2, s[12:13]
	s_and_saveexec_b32 s27, s0
	s_xor_b32 s27, exec_lo, s27
	s_cbranch_execz .LBB44_51
; %bb.42:                               ;   in Loop: Header=BB44_39 Depth=1
                                        ; implicit-def: $vgpr2
	s_and_saveexec_b32 s28, s1
	s_delay_alu instid0(SALU_CYCLE_1)
	s_xor_b32 s28, exec_lo, s28
	s_cbranch_execz .LBB44_48
; %bb.43:                               ;   in Loop: Header=BB44_39 Depth=1
                                        ; implicit-def: $vgpr2
	s_and_saveexec_b32 s29, s2
	s_delay_alu instid0(SALU_CYCLE_1)
	s_xor_b32 s29, exec_lo, s29
	s_cbranch_execz .LBB44_45
; %bb.44:                               ;   in Loop: Header=BB44_39 Depth=1
	scratch_load_b32 v0, off, off offset:40 ; 4-byte Folded Reload
	s_wait_loadcnt 0x0
	v_lshrrev_b32_e32 v2, v0, v3
                                        ; implicit-def: $vgpr0_vgpr1
                                        ; implicit-def: $vgpr3
.LBB44_45:                              ;   in Loop: Header=BB44_39 Depth=1
	s_wait_xcnt 0x0
	s_and_not1_saveexec_b32 s29, s29
	s_cbranch_execz .LBB44_47
; %bb.46:                               ;   in Loop: Header=BB44_39 Depth=1
	global_load_b32 v0, v[0:1], off offset:4
	s_wait_loadcnt 0x0
	v_alignbit_b32 v0, v0, v3, 28
	s_delay_alu instid0(VALU_DEP_1)
	v_and_b32_e32 v2, 0xfff, v0
.LBB44_47:                              ;   in Loop: Header=BB44_39 Depth=1
	s_or_b32 exec_lo, exec_lo, s29
                                        ; implicit-def: $vgpr3
.LBB44_48:                              ;   in Loop: Header=BB44_39 Depth=1
	s_and_not1_saveexec_b32 s28, s28
	s_cbranch_execz .LBB44_50
; %bb.49:                               ;   in Loop: Header=BB44_39 Depth=1
	scratch_load_b32 v0, off, off offset:36 ; 4-byte Folded Reload
	s_wait_loadcnt 0x0
	v_lshrrev_b32_e32 v2, v0, v3
.LBB44_50:                              ;   in Loop: Header=BB44_39 Depth=1
	s_wait_xcnt 0x0
	s_or_b32 exec_lo, exec_lo, s28
                                        ; implicit-def: $vgpr0_vgpr1
                                        ; implicit-def: $vgpr3
.LBB44_51:                              ;   in Loop: Header=BB44_39 Depth=1
	s_and_not1_saveexec_b32 s27, s27
	s_cbranch_execz .LBB44_53
; %bb.52:                               ;   in Loop: Header=BB44_39 Depth=1
	global_load_b32 v0, v[0:1], off offset:4
	s_wait_loadcnt 0x0
	v_perm_b32 v0, v3, v0, 0x2010007
	s_delay_alu instid0(VALU_DEP_1)
	v_and_b32_e32 v2, 0xfff, v0
.LBB44_53:                              ;   in Loop: Header=BB44_39 Depth=1
	s_or_b32 exec_lo, exec_lo, s27
                                        ; implicit-def: $vgpr3
.LBB44_54:                              ;   in Loop: Header=BB44_39 Depth=1
	s_and_not1_saveexec_b32 s26, s26
	s_cbranch_execz .LBB44_37
; %bb.55:                               ;   in Loop: Header=BB44_39 Depth=1
	scratch_load_b32 v0, off, off offset:32 ; 4-byte Folded Reload
	s_wait_loadcnt 0x0
	v_lshrrev_b32_e32 v2, v0, v3
	s_branch .LBB44_37
.LBB44_56:
	scratch_load_b64 v[0:1], off, off offset:20 th:TH_LOAD_LU ; 8-byte Folded Reload
	s_mov_b32 s0, 0
	s_wait_loadcnt 0x0
	v_mad_u32 v0, s16, s4, v0
	s_delay_alu instid0(VALU_DEP_1) | instskip(SKIP_1) | instid1(VALU_DEP_1)
	v_ashrrev_i32_e32 v1, 31, v0
	s_wait_kmcnt 0x0
	v_lshl_add_u64 v[2:3], v[0:1], 1, s[10:11]
	global_load_b32 v5, v[2:3], off
.LBB44_57:                              ; =>This Inner Loop Header: Depth=1
	s_wait_loadcnt 0x0
	v_pk_add_f16 v4, v41, v5
	s_wait_xcnt 0x0
	global_atomic_cmpswap_b32 v1, v[2:3], v[4:5], off th:TH_ATOMIC_RETURN scope:SCOPE_DEV
	s_wait_loadcnt 0x0
	v_cmp_eq_u32_e32 vcc_lo, v5, v1
	s_wait_xcnt 0x0
	v_mov_b32_e32 v5, v1
	s_or_b32 s0, vcc_lo, s0
	s_delay_alu instid0(SALU_CYCLE_1)
	s_and_not1_b32 exec_lo, exec_lo, s0
	s_cbranch_execnz .LBB44_57
; %bb.58:
	s_or_b32 exec_lo, exec_lo, s0
	global_load_b32 v5, v[2:3], off offset:4
	s_mov_b32 s0, 0
.LBB44_59:                              ; =>This Inner Loop Header: Depth=1
	s_wait_loadcnt 0x0
	v_pk_add_f16 v4, v40, v5
	s_wait_xcnt 0x0
	global_atomic_cmpswap_b32 v1, v[2:3], v[4:5], off offset:4 th:TH_ATOMIC_RETURN scope:SCOPE_DEV
	s_wait_loadcnt 0x0
	v_cmp_eq_u32_e32 vcc_lo, v5, v1
	s_wait_xcnt 0x0
	v_mov_b32_e32 v5, v1
	s_or_b32 s0, vcc_lo, s0
	s_delay_alu instid0(SALU_CYCLE_1)
	s_and_not1_b32 exec_lo, exec_lo, s0
	s_cbranch_execnz .LBB44_59
; %bb.60:
	s_or_b32 exec_lo, exec_lo, s0
	v_add_nc_u32_e32 v0, s4, v0
	s_mov_b32 s0, 0
	s_delay_alu instid0(VALU_DEP_1) | instskip(NEXT) | instid1(VALU_DEP_1)
	v_ashrrev_i32_e32 v1, 31, v0
	v_lshl_add_u64 v[2:3], v[0:1], 1, s[10:11]
	global_load_b32 v5, v[2:3], off
.LBB44_61:                              ; =>This Inner Loop Header: Depth=1
	s_wait_loadcnt 0x0
	v_pk_add_f16 v4, v39, v5
	s_wait_xcnt 0x0
	global_atomic_cmpswap_b32 v1, v[2:3], v[4:5], off th:TH_ATOMIC_RETURN scope:SCOPE_DEV
	s_wait_loadcnt 0x0
	v_cmp_eq_u32_e32 vcc_lo, v5, v1
	s_wait_xcnt 0x0
	v_mov_b32_e32 v5, v1
	s_or_b32 s0, vcc_lo, s0
	s_delay_alu instid0(SALU_CYCLE_1)
	s_and_not1_b32 exec_lo, exec_lo, s0
	s_cbranch_execnz .LBB44_61
; %bb.62:
	s_or_b32 exec_lo, exec_lo, s0
	global_load_b32 v5, v[2:3], off offset:4
	s_mov_b32 s0, 0
.LBB44_63:                              ; =>This Inner Loop Header: Depth=1
	s_wait_loadcnt 0x0
	v_pk_add_f16 v4, v37, v5
	s_wait_xcnt 0x0
	global_atomic_cmpswap_b32 v1, v[2:3], v[4:5], off offset:4 th:TH_ATOMIC_RETURN scope:SCOPE_DEV
	s_wait_loadcnt 0x0
	v_cmp_eq_u32_e32 vcc_lo, v5, v1
	s_wait_xcnt 0x0
	v_mov_b32_e32 v5, v1
	s_or_b32 s0, vcc_lo, s0
	s_delay_alu instid0(SALU_CYCLE_1)
	s_and_not1_b32 exec_lo, exec_lo, s0
	s_cbranch_execnz .LBB44_63
; %bb.64:
	s_or_b32 exec_lo, exec_lo, s0
	v_add_nc_u32_e32 v0, s4, v0
	s_mov_b32 s0, 0
	s_delay_alu instid0(VALU_DEP_1) | instskip(NEXT) | instid1(VALU_DEP_1)
	v_ashrrev_i32_e32 v1, 31, v0
	;; [unrolled: 38-line block ×7, first 2 shown]
	v_lshl_add_u64 v[0:1], v[0:1], 1, s[10:11]
	global_load_b32 v3, v[0:1], off
.LBB44_85:                              ; =>This Inner Loop Header: Depth=1
	s_wait_loadcnt 0x0
	v_pk_add_f16 v2, v26, v3
	s_wait_xcnt 0x0
	global_atomic_cmpswap_b32 v2, v[0:1], v[2:3], off th:TH_ATOMIC_RETURN scope:SCOPE_DEV
	s_wait_loadcnt 0x0
	v_cmp_eq_u32_e32 vcc_lo, v3, v2
	s_wait_xcnt 0x0
	v_mov_b32_e32 v3, v2
	s_or_b32 s0, vcc_lo, s0
	s_delay_alu instid0(SALU_CYCLE_1)
	s_and_not1_b32 exec_lo, exec_lo, s0
	s_cbranch_execnz .LBB44_85
; %bb.86:
	s_or_b32 exec_lo, exec_lo, s0
	global_load_b32 v3, v[0:1], off offset:4
	s_mov_b32 s0, 0
.LBB44_87:                              ; =>This Inner Loop Header: Depth=1
	s_wait_loadcnt 0x0
	v_pk_add_f16 v2, v13, v3
	s_wait_xcnt 0x0
	global_atomic_cmpswap_b32 v2, v[0:1], v[2:3], off offset:4 th:TH_ATOMIC_RETURN scope:SCOPE_DEV
	s_wait_loadcnt 0x0
	v_cmp_eq_u32_e32 vcc_lo, v3, v2
	s_wait_xcnt 0x0
	v_mov_b32_e32 v3, v2
	s_or_b32 s0, vcc_lo, s0
	s_delay_alu instid0(SALU_CYCLE_1)
	s_and_not1_b32 exec_lo, exec_lo, s0
	s_cbranch_execnz .LBB44_87
.LBB44_88:
	s_sendmsg sendmsg(MSG_DEALLOC_VGPRS)
	s_endpgm
	.section	.rodata,"a",@progbits
	.p2align	6, 0x0
	.amdhsa_kernel _ZN4vllm4gptq33gemm_half_q_half_gptq_3bit_kernelILb1ELi8EEEvPK6__halfPKjS6_S4_PS2_iiiibPKi
		.amdhsa_group_segment_fixed_size 2048
		.amdhsa_private_segment_fixed_size 48
		.amdhsa_kernarg_size 72
		.amdhsa_user_sgpr_count 2
		.amdhsa_user_sgpr_dispatch_ptr 0
		.amdhsa_user_sgpr_queue_ptr 0
		.amdhsa_user_sgpr_kernarg_segment_ptr 1
		.amdhsa_user_sgpr_dispatch_id 0
		.amdhsa_user_sgpr_kernarg_preload_length 0
		.amdhsa_user_sgpr_kernarg_preload_offset 0
		.amdhsa_user_sgpr_private_segment_size 0
		.amdhsa_wavefront_size32 1
		.amdhsa_uses_dynamic_stack 0
		.amdhsa_enable_private_segment 1
		.amdhsa_system_sgpr_workgroup_id_x 1
		.amdhsa_system_sgpr_workgroup_id_y 1
		.amdhsa_system_sgpr_workgroup_id_z 1
		.amdhsa_system_sgpr_workgroup_info 0
		.amdhsa_system_vgpr_workitem_id 0
		.amdhsa_next_free_vgpr 128
		.amdhsa_next_free_sgpr 30
		.amdhsa_named_barrier_count 0
		.amdhsa_reserve_vcc 1
		.amdhsa_float_round_mode_32 0
		.amdhsa_float_round_mode_16_64 0
		.amdhsa_float_denorm_mode_32 3
		.amdhsa_float_denorm_mode_16_64 3
		.amdhsa_fp16_overflow 0
		.amdhsa_memory_ordered 1
		.amdhsa_forward_progress 1
		.amdhsa_inst_pref_size 99
		.amdhsa_round_robin_scheduling 0
		.amdhsa_exception_fp_ieee_invalid_op 0
		.amdhsa_exception_fp_denorm_src 0
		.amdhsa_exception_fp_ieee_div_zero 0
		.amdhsa_exception_fp_ieee_overflow 0
		.amdhsa_exception_fp_ieee_underflow 0
		.amdhsa_exception_fp_ieee_inexact 0
		.amdhsa_exception_int_div_zero 0
	.end_amdhsa_kernel
	.section	.text._ZN4vllm4gptq33gemm_half_q_half_gptq_3bit_kernelILb1ELi8EEEvPK6__halfPKjS6_S4_PS2_iiiibPKi,"axG",@progbits,_ZN4vllm4gptq33gemm_half_q_half_gptq_3bit_kernelILb1ELi8EEEvPK6__halfPKjS6_S4_PS2_iiiibPKi,comdat
.Lfunc_end44:
	.size	_ZN4vllm4gptq33gemm_half_q_half_gptq_3bit_kernelILb1ELi8EEEvPK6__halfPKjS6_S4_PS2_iiiibPKi, .Lfunc_end44-_ZN4vllm4gptq33gemm_half_q_half_gptq_3bit_kernelILb1ELi8EEEvPK6__halfPKjS6_S4_PS2_iiiibPKi
                                        ; -- End function
	.set _ZN4vllm4gptq33gemm_half_q_half_gptq_3bit_kernelILb1ELi8EEEvPK6__halfPKjS6_S4_PS2_iiiibPKi.num_vgpr, 128
	.set _ZN4vllm4gptq33gemm_half_q_half_gptq_3bit_kernelILb1ELi8EEEvPK6__halfPKjS6_S4_PS2_iiiibPKi.num_agpr, 0
	.set _ZN4vllm4gptq33gemm_half_q_half_gptq_3bit_kernelILb1ELi8EEEvPK6__halfPKjS6_S4_PS2_iiiibPKi.numbered_sgpr, 30
	.set _ZN4vllm4gptq33gemm_half_q_half_gptq_3bit_kernelILb1ELi8EEEvPK6__halfPKjS6_S4_PS2_iiiibPKi.num_named_barrier, 0
	.set _ZN4vllm4gptq33gemm_half_q_half_gptq_3bit_kernelILb1ELi8EEEvPK6__halfPKjS6_S4_PS2_iiiibPKi.private_seg_size, 48
	.set _ZN4vllm4gptq33gemm_half_q_half_gptq_3bit_kernelILb1ELi8EEEvPK6__halfPKjS6_S4_PS2_iiiibPKi.uses_vcc, 1
	.set _ZN4vllm4gptq33gemm_half_q_half_gptq_3bit_kernelILb1ELi8EEEvPK6__halfPKjS6_S4_PS2_iiiibPKi.uses_flat_scratch, 1
	.set _ZN4vllm4gptq33gemm_half_q_half_gptq_3bit_kernelILb1ELi8EEEvPK6__halfPKjS6_S4_PS2_iiiibPKi.has_dyn_sized_stack, 0
	.set _ZN4vllm4gptq33gemm_half_q_half_gptq_3bit_kernelILb1ELi8EEEvPK6__halfPKjS6_S4_PS2_iiiibPKi.has_recursion, 0
	.set _ZN4vllm4gptq33gemm_half_q_half_gptq_3bit_kernelILb1ELi8EEEvPK6__halfPKjS6_S4_PS2_iiiibPKi.has_indirect_call, 0
	.section	.AMDGPU.csdata,"",@progbits
; Kernel info:
; codeLenInByte = 12608
; TotalNumSgprs: 32
; NumVgprs: 128
; ScratchSize: 48
; MemoryBound: 0
; FloatMode: 240
; IeeeMode: 1
; LDSByteSize: 2048 bytes/workgroup (compile time only)
; SGPRBlocks: 0
; VGPRBlocks: 7
; NumSGPRsForWavesPerEU: 32
; NumVGPRsForWavesPerEU: 128
; NamedBarCnt: 0
; Occupancy: 8
; WaveLimiterHint : 0
; COMPUTE_PGM_RSRC2:SCRATCH_EN: 1
; COMPUTE_PGM_RSRC2:USER_SGPR: 2
; COMPUTE_PGM_RSRC2:TRAP_HANDLER: 0
; COMPUTE_PGM_RSRC2:TGID_X_EN: 1
; COMPUTE_PGM_RSRC2:TGID_Y_EN: 1
; COMPUTE_PGM_RSRC2:TGID_Z_EN: 1
; COMPUTE_PGM_RSRC2:TIDIG_COMP_CNT: 0
	.section	.text._ZN4vllm4gptq33gemm_half_q_half_gptq_4bit_kernelILb1ELi8EEEvPK6__halfPKjS6_S4_PS2_iiiibPKi,"axG",@progbits,_ZN4vllm4gptq33gemm_half_q_half_gptq_4bit_kernelILb1ELi8EEEvPK6__halfPKjS6_S4_PS2_iiiibPKi,comdat
	.protected	_ZN4vllm4gptq33gemm_half_q_half_gptq_4bit_kernelILb1ELi8EEEvPK6__halfPKjS6_S4_PS2_iiiibPKi ; -- Begin function _ZN4vllm4gptq33gemm_half_q_half_gptq_4bit_kernelILb1ELi8EEEvPK6__halfPKjS6_S4_PS2_iiiibPKi
	.globl	_ZN4vllm4gptq33gemm_half_q_half_gptq_4bit_kernelILb1ELi8EEEvPK6__halfPKjS6_S4_PS2_iiiibPKi
	.p2align	8
	.type	_ZN4vllm4gptq33gemm_half_q_half_gptq_4bit_kernelILb1ELi8EEEvPK6__halfPKjS6_S4_PS2_iiiibPKi,@function
_ZN4vllm4gptq33gemm_half_q_half_gptq_4bit_kernelILb1ELi8EEEvPK6__halfPKjS6_S4_PS2_iiiibPKi: ; @_ZN4vllm4gptq33gemm_half_q_half_gptq_4bit_kernelILb1ELi8EEEvPK6__halfPKjS6_S4_PS2_iiiibPKi
; %bb.0:
	s_load_b128 s[4:7], s[0:1], 0x2c
	s_bfe_u32 s2, ttmp6, 0x40010
	s_and_b32 s3, ttmp7, 0xffff
	s_add_co_i32 s2, s2, 1
	s_bfe_u32 s9, ttmp6, 0x40014
	s_mul_i32 s2, s3, s2
	s_bfe_u32 s8, ttmp6, 0x40004
	s_lshr_b32 s10, ttmp7, 16
	s_add_co_i32 s9, s9, 1
	s_add_co_i32 s8, s8, s2
	s_mul_i32 s2, s10, s9
	s_bfe_u32 s9, ttmp6, 0x40008
	s_getreg_b32 s17, hwreg(HW_REG_IB_STS2, 6, 4)
	s_add_co_i32 s9, s9, s2
	s_cmp_eq_u32 s17, 0
	s_mov_b32 s12, exec_lo
	s_cselect_b32 s2, s10, s9
	s_cselect_b32 s8, s3, s8
	s_lshl_b32 s15, s2, 7
	s_lshl_b32 s14, s8, 3
	s_add_co_i32 s2, s15, 0x80
	s_delay_alu instid0(SALU_CYCLE_1) | instskip(SKIP_3) | instid1(VALU_DEP_1)
	v_cvt_f64_u32_e32 v[2:3], s2
	s_load_b64 s[2:3], s[0:1], 0x10
	s_wait_kmcnt 0x0
	v_cvt_f64_i32_e32 v[4:5], s5
	v_min_num_f64_e32 v[2:3], v[2:3], v[4:5]
	s_delay_alu instid0(VALU_DEP_1) | instskip(SKIP_1) | instid1(VALU_DEP_2)
	v_cvt_i32_f64_e32 v1, v[2:3]
	v_add_nc_u32_e32 v2, s15, v0
	v_readfirstlane_b32 s16, v1
	s_delay_alu instid0(VALU_DEP_2)
	v_cmpx_lt_u32_e64 v2, v1
	s_cbranch_execz .LBB45_18
; %bb.1:
	s_clause 0x1
	s_load_b64 s[10:11], s[0:1], 0x40
	s_load_b64 s[8:9], s[0:1], 0x0
	v_mov_b32_e32 v3, 0
	s_delay_alu instid0(VALU_DEP_1)
	v_mov_b64_e32 v[6:7], v[2:3]
	s_wait_kmcnt 0x0
	v_lshl_add_u64 v[4:5], v[2:3], 2, s[10:11]
	s_cmp_lg_u64 s[10:11], 0
	s_cselect_b32 s13, -1, 0
	s_cmp_eq_u64 s[10:11], 0
	s_cbranch_scc1 .LBB45_3
; %bb.2:
	global_load_b32 v6, v[4:5], off
	s_wait_loadcnt 0x0
	v_ashrrev_i32_e32 v7, 31, v6
.LBB45_3:
	s_mul_i32 s10, s14, s5
	v_cndmask_b32_e64 v8, 0, 1, s13
	s_ashr_i32 s11, s10, 31
	v_lshlrev_b32_e32 v1, 1, v0
	s_lshl_b64 s[18:19], s[10:11], 1
	s_and_not1_b32 vcc_lo, exec_lo, s13
	s_add_nc_u64 s[18:19], s[8:9], s[18:19]
	s_delay_alu instid0(SALU_CYCLE_1)
	v_lshl_add_u64 v[6:7], v[6:7], 1, s[18:19]
	global_load_u16 v9, v[6:7], off
	s_wait_xcnt 0x0
	v_mov_b64_e32 v[6:7], v[2:3]
	s_wait_loadcnt 0x0
	ds_store_b16 v1, v9
	s_cbranch_vccnz .LBB45_5
; %bb.4:
	global_load_b32 v6, v[4:5], off
	s_wait_loadcnt 0x0
	v_ashrrev_i32_e32 v7, 31, v6
.LBB45_5:
	s_add_co_i32 s10, s10, s5
	v_cmp_ne_u32_e32 vcc_lo, 1, v8
	s_ashr_i32 s11, s10, 31
	s_delay_alu instid0(SALU_CYCLE_1) | instskip(SKIP_2) | instid1(SALU_CYCLE_1)
	s_lshl_b64 s[18:19], s[10:11], 1
	s_and_b32 vcc_lo, exec_lo, vcc_lo
	s_add_nc_u64 s[18:19], s[8:9], s[18:19]
	v_lshl_add_u64 v[6:7], v[6:7], 1, s[18:19]
	global_load_u16 v9, v[6:7], off
	s_wait_xcnt 0x0
	v_mov_b64_e32 v[6:7], v[2:3]
	s_wait_loadcnt 0x0
	ds_store_b16 v1, v9 offset:256
	s_cbranch_vccnz .LBB45_7
; %bb.6:
	global_load_b32 v6, v[4:5], off
	s_wait_loadcnt 0x0
	v_ashrrev_i32_e32 v7, 31, v6
.LBB45_7:
	s_add_co_i32 s10, s10, s5
	v_cmp_ne_u32_e32 vcc_lo, 1, v8
	s_ashr_i32 s11, s10, 31
	s_delay_alu instid0(SALU_CYCLE_1) | instskip(SKIP_2) | instid1(SALU_CYCLE_1)
	s_lshl_b64 s[18:19], s[10:11], 1
	s_and_b32 vcc_lo, exec_lo, vcc_lo
	s_add_nc_u64 s[18:19], s[8:9], s[18:19]
	v_lshl_add_u64 v[6:7], v[6:7], 1, s[18:19]
	global_load_u16 v9, v[6:7], off
	s_wait_xcnt 0x0
	v_mov_b64_e32 v[6:7], v[2:3]
	s_wait_loadcnt 0x0
	ds_store_b16 v1, v9 offset:512
	s_cbranch_vccnz .LBB45_9
; %bb.8:
	global_load_b32 v6, v[4:5], off
	s_wait_loadcnt 0x0
	v_ashrrev_i32_e32 v7, 31, v6
.LBB45_9:
	s_add_co_i32 s10, s10, s5
	v_cmp_ne_u32_e32 vcc_lo, 1, v8
	s_ashr_i32 s11, s10, 31
	s_delay_alu instid0(SALU_CYCLE_1) | instskip(SKIP_2) | instid1(SALU_CYCLE_1)
	s_lshl_b64 s[18:19], s[10:11], 1
	s_and_b32 vcc_lo, exec_lo, vcc_lo
	s_add_nc_u64 s[18:19], s[8:9], s[18:19]
	v_lshl_add_u64 v[6:7], v[6:7], 1, s[18:19]
	global_load_u16 v9, v[6:7], off
	s_wait_xcnt 0x0
	v_mov_b64_e32 v[6:7], v[2:3]
	s_wait_loadcnt 0x0
	ds_store_b16 v1, v9 offset:768
	s_cbranch_vccnz .LBB45_11
; %bb.10:
	global_load_b32 v6, v[4:5], off
	s_wait_loadcnt 0x0
	v_ashrrev_i32_e32 v7, 31, v6
.LBB45_11:
	s_add_co_i32 s10, s10, s5
	v_cmp_ne_u32_e32 vcc_lo, 1, v8
	s_ashr_i32 s11, s10, 31
	s_delay_alu instid0(SALU_CYCLE_1) | instskip(SKIP_2) | instid1(SALU_CYCLE_1)
	s_lshl_b64 s[18:19], s[10:11], 1
	s_and_b32 vcc_lo, exec_lo, vcc_lo
	s_add_nc_u64 s[18:19], s[8:9], s[18:19]
	v_lshl_add_u64 v[6:7], v[6:7], 1, s[18:19]
	global_load_u16 v9, v[6:7], off
	s_wait_xcnt 0x0
	v_mov_b64_e32 v[6:7], v[2:3]
	s_wait_loadcnt 0x0
	ds_store_b16 v1, v9 offset:1024
	s_cbranch_vccnz .LBB45_13
; %bb.12:
	global_load_b32 v6, v[4:5], off
	s_wait_loadcnt 0x0
	v_ashrrev_i32_e32 v7, 31, v6
.LBB45_13:
	s_add_co_i32 s10, s10, s5
	v_cmp_ne_u32_e32 vcc_lo, 1, v8
	s_ashr_i32 s11, s10, 31
	s_delay_alu instid0(SALU_CYCLE_1) | instskip(SKIP_2) | instid1(SALU_CYCLE_1)
	s_lshl_b64 s[18:19], s[10:11], 1
	s_and_b32 vcc_lo, exec_lo, vcc_lo
	s_add_nc_u64 s[18:19], s[8:9], s[18:19]
	v_lshl_add_u64 v[6:7], v[6:7], 1, s[18:19]
	global_load_u16 v9, v[6:7], off
	s_wait_xcnt 0x0
	v_mov_b64_e32 v[6:7], v[2:3]
	s_wait_loadcnt 0x0
	ds_store_b16 v1, v9 offset:1280
	s_cbranch_vccnz .LBB45_15
; %bb.14:
	global_load_b32 v6, v[4:5], off
	s_wait_loadcnt 0x0
	v_ashrrev_i32_e32 v7, 31, v6
.LBB45_15:
	s_add_co_i32 s10, s10, s5
	v_cmp_ne_u32_e32 vcc_lo, 1, v8
	s_ashr_i32 s11, s10, 31
	s_delay_alu instid0(SALU_CYCLE_1) | instskip(SKIP_2) | instid1(SALU_CYCLE_1)
	s_lshl_b64 s[18:19], s[10:11], 1
	s_and_b32 vcc_lo, exec_lo, vcc_lo
	s_add_nc_u64 s[18:19], s[8:9], s[18:19]
	v_lshl_add_u64 v[6:7], v[6:7], 1, s[18:19]
	global_load_u16 v6, v[6:7], off
	s_wait_loadcnt 0x0
	ds_store_b16 v1, v6 offset:1536
	s_cbranch_vccnz .LBB45_17
; %bb.16:
	global_load_b32 v2, v[4:5], off
	s_wait_loadcnt 0x0
	v_ashrrev_i32_e32 v3, 31, v2
.LBB45_17:
	s_add_co_i32 s10, s10, s5
	s_delay_alu instid0(SALU_CYCLE_1) | instskip(NEXT) | instid1(SALU_CYCLE_1)
	s_ashr_i32 s11, s10, 31
	s_lshl_b64 s[10:11], s[10:11], 1
	s_delay_alu instid0(SALU_CYCLE_1) | instskip(NEXT) | instid1(SALU_CYCLE_1)
	s_add_nc_u64 s[8:9], s[8:9], s[10:11]
	v_lshl_add_u64 v[2:3], v[2:3], 1, s[8:9]
	global_load_u16 v2, v[2:3], off
	s_wait_loadcnt 0x0
	ds_store_b16 v1, v2 offset:1792
.LBB45_18:
	s_or_b32 exec_lo, exec_lo, s12
	s_clause 0x1
	s_load_b64 s[12:13], s[0:1], 0x8
	s_load_b128 s[8:11], s[0:1], 0x18
	s_wait_xcnt 0x0
	s_bfe_u32 s0, ttmp6, 0x4000c
	s_and_b32 s1, ttmp6, 15
	s_add_co_i32 s0, s0, 1
	v_lshlrev_b32_e32 v1, 2, v0
	s_mul_i32 s0, ttmp9, s0
	s_delay_alu instid0(SALU_CYCLE_1)
	s_add_co_i32 s1, s1, s0
	s_cmp_eq_u32 s17, 0
	s_cselect_b32 s0, ttmp9, s1
	s_mov_b32 s1, 0
	v_lshl_add_u32 v2, s0, 9, v1
	s_mov_b32 s0, exec_lo
	s_delay_alu instid0(VALU_DEP_1)
	v_cmpx_gt_i32_e64 s4, v2
	s_cbranch_execz .LBB45_56
; %bb.19:
	s_abs_i32 s17, s6
	v_mov_b32_e32 v9, 0
	s_cvt_f32_u32 s0, s17
	s_cmp_ge_i32 s15, s16
	s_wait_dscnt 0x0
	s_barrier_signal -1
	v_rcp_iflag_f32_e32 v1, s0
	v_dual_mov_b32 v8, v9 :: v_dual_mov_b32 v36, v9
	v_dual_mov_b32 v13, v9 :: v_dual_mov_b32 v35, v9
	;; [unrolled: 1-line block ×4, first 2 shown]
	s_delay_alu instid0(TRANS32_DEP_1)
	v_readfirstlane_b32 s0, v1
	v_dual_mov_b32 v40, v9 :: v_dual_mov_b32 v42, v9
	v_dual_mov_b32 v41, v9 :: v_dual_mov_b32 v44, v9
	;; [unrolled: 1-line block ×11, first 2 shown]
	v_mov_b32_e32 v62, v9
	s_barrier_wait -1
	s_cbranch_scc1 .LBB45_24
; %bb.20:
	s_mul_f32 s0, s0, 0x4f7ffffe
	v_dual_ashrrev_i32 v3, 31, v2 :: v_dual_lshlrev_b32 v0, 4, v0
	v_mov_b32_e32 v8, 0
	s_delay_alu instid0(SALU_CYCLE_1) | instskip(SKIP_1) | instid1(VALU_DEP_2)
	s_cvt_u32_f32 s18, s0
	s_sub_co_i32 s0, 0, s17
	v_and_b32_e32 v64, 16, v0
	s_delay_alu instid0(SALU_CYCLE_1)
	s_mul_i32 s19, s0, s18
	s_abs_i32 s0, s5
	s_mul_hi_u32 s20, s18, s19
	s_mov_b32 s19, s1
	s_add_co_i32 s18, s18, s20
	s_ashr_i32 s5, s5, 31
	s_mul_u64 s[18:19], s[0:1], s[18:19]
	s_ashr_i32 s1, s6, 31
	s_mul_i32 s6, s19, s17
	s_xor_b32 s1, s5, s1
	s_sub_co_i32 s0, s0, s6
	s_add_co_i32 s5, s19, 1
	s_sub_co_i32 s6, s0, s17
	s_cmp_ge_u32 s0, s17
	s_mov_b32 s20, 0x10001
	s_cselect_b32 s5, s5, s19
	s_cselect_b32 s0, s6, s0
	s_add_co_i32 s6, s5, 1
	s_cmp_ge_u32 s0, s17
	v_dual_mov_b32 v9, v8 :: v_dual_mov_b32 v62, v8
	s_cselect_b32 s0, s6, s5
	v_dual_mov_b32 v63, v8 :: v_dual_mov_b32 v59, v8
	s_xor_b32 s0, s0, s1
	v_dual_mov_b32 v60, v8 :: v_dual_mov_b32 v57, v8
	s_sub_co_i32 s17, s0, s1
	s_bitcmp1_b32 s7, 0
	s_cvt_f32_u32 s0, s17
	s_cselect_b32 s1, -1, 0
	s_sub_co_i32 s5, 0, s17
	s_xor_b32 s1, s1, -1
	v_rcp_iflag_f32_e32 v1, s0
	v_cndmask_b32_e64 v65, 0, 1, s1
	v_dual_mov_b32 v58, v8 :: v_dual_mov_b32 v55, v8
	v_dual_mov_b32 v56, v8 :: v_dual_mov_b32 v53, v8
	;; [unrolled: 1-line block ×3, first 2 shown]
	s_delay_alu instid0(TRANS32_DEP_1)
	v_readfirstlane_b32 s0, v1
	v_dual_mov_b32 v52, v8 :: v_dual_mov_b32 v49, v8
	v_dual_mov_b32 v50, v8 :: v_dual_mov_b32 v47, v8
	s_mul_f32 s0, s0, 0x4f7ffffe
	v_dual_mov_b32 v48, v8 :: v_dual_mov_b32 v45, v8
	v_dual_mov_b32 v46, v8 :: v_dual_mov_b32 v43, v8
	s_delay_alu instid0(SALU_CYCLE_1) | instskip(SKIP_2) | instid1(SALU_CYCLE_1)
	s_cvt_u32_f32 s0, s0
	v_dual_mov_b32 v44, v8 :: v_dual_mov_b32 v41, v8
	v_dual_mov_b32 v42, v8 :: v_dual_mov_b32 v40, v8
	s_mul_i32 s5, s5, s0
	v_dual_mov_b32 v39, v8 :: v_dual_mov_b32 v37, v8
	s_mul_hi_u32 s5, s0, s5
	v_dual_mov_b32 v38, v8 :: v_dual_mov_b32 v34, v8
	s_add_co_i32 s0, s0, s5
	v_dual_mov_b32 v35, v8 :: v_dual_mov_b32 v13, v8
	s_mul_hi_u32 s0, s15, s0
	s_mov_b32 s19, 0
	s_mul_i32 s5, s0, s17
	s_add_co_i32 s6, s0, 1
	s_sub_co_i32 s5, s15, s5
	v_mov_b32_e32 v36, v8
	s_sub_co_i32 s7, s5, s17
	s_cmp_ge_u32 s5, s17
	s_cselect_b32 s0, s6, s0
	s_cselect_b32 s5, s7, s5
	s_add_co_i32 s6, s0, 1
	s_cmp_ge_u32 s5, s17
	s_cselect_b32 s18, s6, s0
	s_add_co_i32 s21, s17, s15
	s_mul_i32 s0, s18, s4
	s_delay_alu instid0(SALU_CYCLE_1) | instskip(SKIP_1) | instid1(SALU_CYCLE_1)
	v_dual_lshrrev_b32 v1, 29, v3 :: v_dual_add_nc_u32 v4, s0, v2
	s_ashr_i32 s5, s0, 31
	s_lshr_b32 s5, s5, 29
	s_delay_alu instid0(VALU_DEP_1)
	v_add_nc_u32_e32 v1, v2, v1
	s_add_co_i32 s5, s0, s5
	v_ashrrev_i32_e32 v5, 31, v4
	s_ashr_i32 s5, s5, 3
	s_lshr_b32 s0, s15, 3
	v_ashrrev_i32_e32 v61, 3, v1
	s_mul_i32 s6, s4, s0
	s_wait_kmcnt 0x0
	v_lshl_add_u64 v[4:5], v[4:5], 1, s[8:9]
	s_ashr_i32 s7, s6, 31
	v_add_nc_u32_e32 v1, s5, v61
	s_lshl_b64 s[6:7], s[6:7], 2
	global_load_b64 v[4:5], v[4:5], off
	s_add_nc_u64 s[6:7], s[12:13], s[6:7]
	s_ashr_i32 s5, s4, 31
	global_load_b32 v1, v1, s[2:3] scale_offset
	s_lshl_b64 s[0:1], s[4:5], 4
	s_mov_b32 s12, 0xf000f0
	s_wait_loadcnt 0x1
	v_lshrrev_b32_e32 v17, 16, v4
	v_cvt_f32_f16_e32 v4, v4
	s_wait_loadcnt 0x0
	v_lshrrev_b32_e32 v0, v0, v1
	s_delay_alu instid0(VALU_DEP_1) | instskip(NEXT) | instid1(VALU_DEP_1)
	v_lshrrev_b32_e32 v1, 12, v0
	v_dual_lshrrev_b32 v6, 8, v0 :: v_dual_bitop2_b32 v10, 15, v1 bitop3:0x40
	v_dual_lshrrev_b32 v7, 4, v0 :: v_dual_bitop2_b32 v11, 15, v0 bitop3:0x40
	v_lshl_add_u64 v[0:1], v[2:3], 2, s[6:7]
	s_delay_alu instid0(VALU_DEP_3) | instskip(NEXT) | instid1(VALU_DEP_3)
	v_dual_add_nc_u32 v10, v10, v65 :: v_dual_bitop2_b32 v6, 15, v6 bitop3:0x40
	v_dual_add_nc_u32 v11, v11, v65 :: v_dual_bitop2_b32 v7, 15, v7 bitop3:0x40
	s_lshl_b64 s[6:7], s[4:5], 2
	s_delay_alu instid0(VALU_DEP_2) | instskip(NEXT) | instid1(VALU_DEP_2)
	v_cvt_f32_ubyte0_e32 v3, v10
	v_dual_add_nc_u32 v12, v6, v65 :: v_dual_add_nc_u32 v14, v7, v65
	s_delay_alu instid0(VALU_DEP_3) | instskip(SKIP_2) | instid1(VALU_DEP_4)
	v_cvt_f32_ubyte0_e32 v15, v11
	v_cvt_f32_f16_e32 v6, v5
	v_lshrrev_b32_e32 v5, 16, v5
	v_cvt_f32_ubyte0_e32 v7, v12
	v_cvt_f32_ubyte0_e32 v16, v14
	v_mad_u32_u24 v66, v11, s20, 0xe400e400
	v_mad_u32_u24 v69, v10, s20, 0xe400e400
	;; [unrolled: 1-line block ×3, first 2 shown]
	v_cvt_pk_f16_f32 v18, v7, v3
	v_cvt_pk_f16_f32 v15, v15, v16
	v_cvt_f32_f16_e32 v7, v5
	v_cvt_f32_f16_e32 v3, v17
	s_mov_b32 s5, 0xf000f
	v_pk_add_f16 v5, 0xd400, v18 op_sel_hi:[0,1] neg_lo:[0,1] neg_hi:[0,1]
	v_pk_add_f16 v11, 0xd400, v15 op_sel_hi:[0,1] neg_lo:[0,1] neg_hi:[0,1]
	s_delay_alu instid0(VALU_DEP_2) | instskip(SKIP_1) | instid1(VALU_DEP_3)
	v_and_b32_e32 v10, 0xffff, v5
	v_lshrrev_b32_e32 v5, 16, v5
	v_and_b32_e32 v15, 0xffff, v11
	v_lshrrev_b32_e32 v16, 16, v11
	v_mad_u32_u24 v68, v14, s20, 0xe400e400
	v_mul_u32_u24_e32 v12, 0x10001, v10
	v_mul_u32_u24_e32 v11, 0x10001, v5
	;; [unrolled: 1-line block ×4, first 2 shown]
	s_branch .LBB45_22
.LBB45_21:                              ;   in Loop: Header=BB45_22 Depth=1
	global_load_b128 v[24:27], v[0:1], off
	s_add_co_i32 s13, s19, 0x400
	s_add_co_i32 s15, s15, 32
	s_wait_loadcnt 0x0
	v_dual_lshrrev_b32 v16, 8, v24 :: v_dual_lshrrev_b32 v18, 8, v25
	v_and_or_b32 v14, v24, s5, 0x64006400
	v_and_or_b32 v15, v24, s12, 0x64006400
	v_lshrrev_b32_e32 v22, 8, v26
	s_delay_alu instid0(VALU_DEP_4)
	v_and_or_b32 v17, v16, s5, 0x64006400
	v_and_or_b32 v16, v16, s12, 0x64006400
	v_pk_add_f16 v29, v66, v14
	v_pk_fma_f16 v24, 0x2c00, v15, v10 op_sel_hi:[0,1,1]
	v_and_or_b32 v19, v18, s5, 0x64006400
	v_pk_add_f16 v14, v66, v17
	v_pk_fma_f16 v15, 0x2c00, v16, v10 op_sel_hi:[0,1,1]
	v_and_or_b32 v16, v25, s5, 0x64006400
	v_and_or_b32 v17, v25, s12, 0x64006400
	;; [unrolled: 1-line block ×5, first 2 shown]
	v_pk_add_f16 v18, v68, v19
	v_and_or_b32 v21, v26, s12, 0x64006400
	v_pk_fma_f16 v19, 0x2c00, v20, v5 op_sel_hi:[0,1,1]
	v_and_or_b32 v20, v26, s5, 0x64006400
	v_pk_add_f16 v22, v67, v23
	v_pk_fma_f16 v23, 0x2c00, v25, v12 op_sel_hi:[0,1,1]
	v_and_or_b32 v25, v27, s5, 0x64006400
	v_and_or_b32 v26, v27, s12, 0x64006400
	v_lshrrev_b32_e32 v27, 8, v27
	v_pk_add_f16 v16, v68, v16
	v_pk_fma_f16 v17, 0x2c00, v17, v5 op_sel_hi:[0,1,1]
	v_pk_add_f16 v20, v67, v20
	v_pk_fma_f16 v21, 0x2c00, v21, v12 op_sel_hi:[0,1,1]
	v_and_or_b32 v28, v27, s5, 0x64006400
	v_and_or_b32 v30, v27, s12, 0x64006400
	v_pk_add_f16 v25, v69, v25
	v_pk_fma_f16 v26, 0x2c00, v26, v11 op_sel_hi:[0,1,1]
	s_delay_alu instid0(VALU_DEP_4) | instskip(NEXT) | instid1(VALU_DEP_4)
	v_pk_add_f16 v27, v69, v28
	v_pk_fma_f16 v28, 0x2c00, v30, v11 op_sel_hi:[0,1,1]
	v_mov_b32_e32 v30, s19
	ds_load_2addr_b32 v[32:33], v30 offset1:1
	ds_load_2addr_b32 v[70:71], v30 offset0:2 offset1:3
	s_wait_dscnt 0x1
	v_pk_fma_f16 v31, v29, v32, 0
	s_delay_alu instid0(VALU_DEP_1) | instskip(SKIP_1) | instid1(VALU_DEP_1)
	v_pk_fma_f16 v31, v24, v33, v31
	s_wait_dscnt 0x0
	v_pk_fma_f16 v31, v14, v70, v31
	s_delay_alu instid0(VALU_DEP_1) | instskip(NEXT) | instid1(VALU_DEP_1)
	v_pk_fma_f16 v31, v15, v71, v31
	v_cvt_f32_f16_e32 v72, v31
	v_lshrrev_b32_e32 v31, 16, v31
	ds_load_2addr_b32 v[80:81], v30 offset0:10 offset1:11
	v_cvt_f32_f16_e32 v31, v31
	s_delay_alu instid0(VALU_DEP_1) | instskip(NEXT) | instid1(VALU_DEP_1)
	v_add_f32_e32 v31, v31, v72
	v_fmac_f32_e32 v62, v31, v4
	v_pk_fma_f16 v31, v16, v32, 0
	s_delay_alu instid0(VALU_DEP_1) | instskip(NEXT) | instid1(VALU_DEP_1)
	v_pk_fma_f16 v31, v17, v33, v31
	v_pk_fma_f16 v31, v18, v70, v31
	s_delay_alu instid0(VALU_DEP_1) | instskip(NEXT) | instid1(VALU_DEP_1)
	v_pk_fma_f16 v31, v19, v71, v31
	v_cvt_f32_f16_e32 v72, v31
	v_lshrrev_b32_e32 v31, 16, v31
	s_delay_alu instid0(VALU_DEP_1) | instskip(NEXT) | instid1(VALU_DEP_1)
	v_cvt_f32_f16_e32 v31, v31
	v_add_f32_e32 v31, v31, v72
	s_delay_alu instid0(VALU_DEP_1) | instskip(SKIP_1) | instid1(VALU_DEP_1)
	v_fmac_f32_e32 v63, v31, v3
	v_pk_fma_f16 v31, v20, v32, 0
	v_pk_fma_f16 v31, v21, v33, v31
	s_delay_alu instid0(VALU_DEP_1) | instskip(NEXT) | instid1(VALU_DEP_1)
	v_pk_fma_f16 v31, v22, v70, v31
	v_pk_fma_f16 v31, v23, v71, v31
	s_delay_alu instid0(VALU_DEP_1) | instskip(SKIP_1) | instid1(VALU_DEP_1)
	v_cvt_f32_f16_e32 v72, v31
	v_lshrrev_b32_e32 v31, 16, v31
	v_cvt_f32_f16_e32 v31, v31
	s_delay_alu instid0(VALU_DEP_1) | instskip(NEXT) | instid1(VALU_DEP_1)
	v_add_f32_e32 v31, v31, v72
	v_fmac_f32_e32 v59, v31, v6
	v_pk_fma_f16 v31, v25, v32, 0
	s_delay_alu instid0(VALU_DEP_1) | instskip(NEXT) | instid1(VALU_DEP_1)
	v_pk_fma_f16 v31, v26, v33, v31
	v_pk_fma_f16 v31, v27, v70, v31
	s_delay_alu instid0(VALU_DEP_1) | instskip(SKIP_3) | instid1(VALU_DEP_1)
	v_pk_fma_f16 v31, v28, v71, v31
	ds_load_2addr_b32 v[70:71], v30 offset0:66 offset1:67
	v_cvt_f32_f16_e32 v32, v31
	v_lshrrev_b32_e32 v31, 16, v31
	v_cvt_f32_f16_e32 v31, v31
	s_delay_alu instid0(VALU_DEP_1) | instskip(SKIP_4) | instid1(VALU_DEP_1)
	v_add_f32_e32 v31, v31, v32
	ds_load_2addr_b32 v[32:33], v30 offset0:64 offset1:65
	v_fmac_f32_e32 v60, v31, v7
	s_wait_dscnt 0x0
	v_pk_fma_f16 v31, v29, v32, 0
	v_pk_fma_f16 v31, v24, v33, v31
	s_delay_alu instid0(VALU_DEP_1) | instskip(NEXT) | instid1(VALU_DEP_1)
	v_pk_fma_f16 v31, v14, v70, v31
	v_pk_fma_f16 v31, v15, v71, v31
	s_delay_alu instid0(VALU_DEP_1) | instskip(SKIP_1) | instid1(VALU_DEP_1)
	v_cvt_f32_f16_e32 v72, v31
	v_lshrrev_b32_e32 v31, 16, v31
	v_cvt_f32_f16_e32 v31, v31
	s_delay_alu instid0(VALU_DEP_1) | instskip(NEXT) | instid1(VALU_DEP_1)
	v_add_f32_e32 v31, v31, v72
	v_fmac_f32_e32 v57, v31, v4
	v_pk_fma_f16 v31, v16, v32, 0
	s_delay_alu instid0(VALU_DEP_1) | instskip(NEXT) | instid1(VALU_DEP_1)
	v_pk_fma_f16 v31, v17, v33, v31
	v_pk_fma_f16 v31, v18, v70, v31
	s_delay_alu instid0(VALU_DEP_1) | instskip(NEXT) | instid1(VALU_DEP_1)
	v_pk_fma_f16 v31, v19, v71, v31
	v_cvt_f32_f16_e32 v72, v31
	v_lshrrev_b32_e32 v31, 16, v31
	s_delay_alu instid0(VALU_DEP_1) | instskip(NEXT) | instid1(VALU_DEP_1)
	v_cvt_f32_f16_e32 v31, v31
	v_add_f32_e32 v31, v31, v72
	s_delay_alu instid0(VALU_DEP_1) | instskip(SKIP_1) | instid1(VALU_DEP_1)
	v_fmac_f32_e32 v58, v31, v3
	v_pk_fma_f16 v31, v20, v32, 0
	v_pk_fma_f16 v31, v21, v33, v31
	s_delay_alu instid0(VALU_DEP_1) | instskip(NEXT) | instid1(VALU_DEP_1)
	v_pk_fma_f16 v31, v22, v70, v31
	v_pk_fma_f16 v31, v23, v71, v31
	s_delay_alu instid0(VALU_DEP_1) | instskip(SKIP_1) | instid1(VALU_DEP_1)
	v_cvt_f32_f16_e32 v72, v31
	v_lshrrev_b32_e32 v31, 16, v31
	v_cvt_f32_f16_e32 v31, v31
	s_delay_alu instid0(VALU_DEP_1) | instskip(NEXT) | instid1(VALU_DEP_1)
	v_add_f32_e32 v31, v31, v72
	v_fmac_f32_e32 v55, v31, v6
	v_pk_fma_f16 v31, v25, v32, 0
	s_delay_alu instid0(VALU_DEP_1) | instskip(NEXT) | instid1(VALU_DEP_1)
	v_pk_fma_f16 v31, v26, v33, v31
	v_pk_fma_f16 v31, v27, v70, v31
	s_delay_alu instid0(VALU_DEP_1) | instskip(SKIP_3) | instid1(VALU_DEP_1)
	v_pk_fma_f16 v31, v28, v71, v31
	ds_load_2addr_b32 v[70:71], v30 offset0:130 offset1:131
	v_cvt_f32_f16_e32 v32, v31
	v_lshrrev_b32_e32 v31, 16, v31
	v_cvt_f32_f16_e32 v31, v31
	s_delay_alu instid0(VALU_DEP_1) | instskip(SKIP_4) | instid1(VALU_DEP_1)
	v_add_f32_e32 v31, v31, v32
	ds_load_2addr_b32 v[32:33], v30 offset0:128 offset1:129
	v_fmac_f32_e32 v56, v31, v7
	s_wait_dscnt 0x0
	v_pk_fma_f16 v31, v29, v32, 0
	v_pk_fma_f16 v31, v24, v33, v31
	s_delay_alu instid0(VALU_DEP_1) | instskip(NEXT) | instid1(VALU_DEP_1)
	v_pk_fma_f16 v31, v14, v70, v31
	v_pk_fma_f16 v31, v15, v71, v31
	s_delay_alu instid0(VALU_DEP_1) | instskip(SKIP_1) | instid1(VALU_DEP_1)
	v_cvt_f32_f16_e32 v72, v31
	v_lshrrev_b32_e32 v31, 16, v31
	;; [unrolled: 52-line block ×3, first 2 shown]
	v_cvt_f32_f16_e32 v31, v31
	s_delay_alu instid0(VALU_DEP_1) | instskip(NEXT) | instid1(VALU_DEP_1)
	v_add_f32_e32 v31, v31, v72
	v_fmac_f32_e32 v49, v31, v4
	v_pk_fma_f16 v31, v16, v32, 0
	s_delay_alu instid0(VALU_DEP_1) | instskip(NEXT) | instid1(VALU_DEP_1)
	v_pk_fma_f16 v31, v17, v33, v31
	v_pk_fma_f16 v31, v18, v70, v31
	s_delay_alu instid0(VALU_DEP_1) | instskip(NEXT) | instid1(VALU_DEP_1)
	v_pk_fma_f16 v31, v19, v71, v31
	v_cvt_f32_f16_e32 v72, v31
	v_lshrrev_b32_e32 v31, 16, v31
	s_delay_alu instid0(VALU_DEP_1) | instskip(NEXT) | instid1(VALU_DEP_1)
	v_cvt_f32_f16_e32 v31, v31
	v_add_f32_e32 v31, v31, v72
	s_delay_alu instid0(VALU_DEP_1) | instskip(SKIP_1) | instid1(VALU_DEP_1)
	v_fmac_f32_e32 v50, v31, v3
	v_pk_fma_f16 v31, v20, v32, 0
	v_pk_fma_f16 v31, v21, v33, v31
	s_delay_alu instid0(VALU_DEP_1) | instskip(NEXT) | instid1(VALU_DEP_1)
	v_pk_fma_f16 v31, v22, v70, v31
	v_pk_fma_f16 v31, v23, v71, v31
	s_delay_alu instid0(VALU_DEP_1) | instskip(SKIP_1) | instid1(VALU_DEP_1)
	v_cvt_f32_f16_e32 v72, v31
	v_lshrrev_b32_e32 v31, 16, v31
	v_cvt_f32_f16_e32 v31, v31
	s_delay_alu instid0(VALU_DEP_1) | instskip(NEXT) | instid1(VALU_DEP_1)
	v_add_f32_e32 v31, v31, v72
	v_fmac_f32_e32 v47, v31, v6
	v_pk_fma_f16 v31, v25, v32, 0
	s_delay_alu instid0(VALU_DEP_1) | instskip(NEXT) | instid1(VALU_DEP_1)
	v_pk_fma_f16 v31, v26, v33, v31
	v_pk_fma_f16 v31, v27, v70, v31
	s_delay_alu instid0(VALU_DEP_1) | instskip(NEXT) | instid1(VALU_DEP_1)
	v_pk_fma_f16 v31, v28, v71, v31
	v_cvt_f32_f16_e32 v32, v31
	v_lshrrev_b32_e32 v31, 16, v31
	s_delay_alu instid0(VALU_DEP_1) | instskip(NEXT) | instid1(VALU_DEP_1)
	v_cvt_f32_f16_e32 v31, v31
	v_add_f32_e32 v31, v31, v32
	s_delay_alu instid0(VALU_DEP_1) | instskip(SKIP_1) | instid1(SALU_CYCLE_1)
	v_dual_fmac_f32 v48, v31, v7 :: v_dual_mov_b32 v31, s13
	s_add_co_i32 s13, s19, 0x408
	v_mov_b32_e32 v70, s13
	s_add_co_i32 s13, s19, 0x500
	ds_load_2addr_b32 v[32:33], v31 offset1:1
	ds_load_2addr_b32 v[70:71], v70 offset1:1
	s_wait_dscnt 0x1
	v_pk_fma_f16 v31, v29, v32, 0
	s_delay_alu instid0(VALU_DEP_1) | instskip(SKIP_1) | instid1(VALU_DEP_1)
	v_pk_fma_f16 v31, v24, v33, v31
	s_wait_dscnt 0x0
	v_pk_fma_f16 v31, v14, v70, v31
	s_delay_alu instid0(VALU_DEP_1) | instskip(NEXT) | instid1(VALU_DEP_1)
	v_pk_fma_f16 v31, v15, v71, v31
	v_cvt_f32_f16_e32 v72, v31
	v_lshrrev_b32_e32 v31, 16, v31
	s_delay_alu instid0(VALU_DEP_1) | instskip(NEXT) | instid1(VALU_DEP_1)
	v_cvt_f32_f16_e32 v31, v31
	v_add_f32_e32 v31, v31, v72
	s_delay_alu instid0(VALU_DEP_1) | instskip(SKIP_1) | instid1(VALU_DEP_1)
	v_fmac_f32_e32 v45, v31, v4
	v_pk_fma_f16 v31, v16, v32, 0
	v_pk_fma_f16 v31, v17, v33, v31
	s_delay_alu instid0(VALU_DEP_1) | instskip(NEXT) | instid1(VALU_DEP_1)
	v_pk_fma_f16 v31, v18, v70, v31
	v_pk_fma_f16 v31, v19, v71, v31
	s_delay_alu instid0(VALU_DEP_1) | instskip(SKIP_1) | instid1(VALU_DEP_1)
	v_cvt_f32_f16_e32 v72, v31
	v_lshrrev_b32_e32 v31, 16, v31
	v_cvt_f32_f16_e32 v31, v31
	s_delay_alu instid0(VALU_DEP_1) | instskip(NEXT) | instid1(VALU_DEP_1)
	v_add_f32_e32 v31, v31, v72
	v_fmac_f32_e32 v46, v31, v3
	v_pk_fma_f16 v31, v20, v32, 0
	s_delay_alu instid0(VALU_DEP_1) | instskip(NEXT) | instid1(VALU_DEP_1)
	v_pk_fma_f16 v31, v21, v33, v31
	v_pk_fma_f16 v31, v22, v70, v31
	s_delay_alu instid0(VALU_DEP_1) | instskip(NEXT) | instid1(VALU_DEP_1)
	v_pk_fma_f16 v31, v23, v71, v31
	v_cvt_f32_f16_e32 v72, v31
	v_lshrrev_b32_e32 v31, 16, v31
	s_delay_alu instid0(VALU_DEP_1) | instskip(NEXT) | instid1(VALU_DEP_1)
	v_cvt_f32_f16_e32 v31, v31
	v_add_f32_e32 v31, v31, v72
	s_delay_alu instid0(VALU_DEP_1) | instskip(SKIP_1) | instid1(VALU_DEP_1)
	v_fmac_f32_e32 v43, v31, v6
	v_pk_fma_f16 v31, v25, v32, 0
	v_pk_fma_f16 v31, v26, v33, v31
	s_delay_alu instid0(VALU_DEP_1) | instskip(NEXT) | instid1(VALU_DEP_1)
	v_pk_fma_f16 v31, v27, v70, v31
	v_pk_fma_f16 v31, v28, v71, v31
	s_delay_alu instid0(VALU_DEP_1) | instskip(SKIP_1) | instid1(VALU_DEP_1)
	v_cvt_f32_f16_e32 v32, v31
	v_lshrrev_b32_e32 v31, 16, v31
	v_cvt_f32_f16_e32 v31, v31
	s_delay_alu instid0(VALU_DEP_1) | instskip(NEXT) | instid1(VALU_DEP_1)
	v_add_f32_e32 v31, v31, v32
	v_dual_fmac_f32 v44, v31, v7 :: v_dual_mov_b32 v31, s13
	s_add_co_i32 s13, s19, 0x508
	s_delay_alu instid0(SALU_CYCLE_1)
	v_mov_b32_e32 v70, s13
	s_add_co_i32 s13, s19, 0x600
	ds_load_2addr_b32 v[32:33], v31 offset1:1
	ds_load_2addr_b32 v[70:71], v70 offset1:1
	s_wait_dscnt 0x1
	v_pk_fma_f16 v31, v29, v32, 0
	s_delay_alu instid0(VALU_DEP_1) | instskip(SKIP_1) | instid1(VALU_DEP_1)
	v_pk_fma_f16 v31, v24, v33, v31
	s_wait_dscnt 0x0
	v_pk_fma_f16 v31, v14, v70, v31
	s_delay_alu instid0(VALU_DEP_1) | instskip(NEXT) | instid1(VALU_DEP_1)
	v_pk_fma_f16 v31, v15, v71, v31
	v_cvt_f32_f16_e32 v72, v31
	v_lshrrev_b32_e32 v31, 16, v31
	s_delay_alu instid0(VALU_DEP_1) | instskip(NEXT) | instid1(VALU_DEP_1)
	v_cvt_f32_f16_e32 v31, v31
	v_add_f32_e32 v31, v31, v72
	s_delay_alu instid0(VALU_DEP_1) | instskip(SKIP_1) | instid1(VALU_DEP_1)
	v_fmac_f32_e32 v41, v31, v4
	v_pk_fma_f16 v31, v16, v32, 0
	v_pk_fma_f16 v31, v17, v33, v31
	s_delay_alu instid0(VALU_DEP_1) | instskip(NEXT) | instid1(VALU_DEP_1)
	v_pk_fma_f16 v31, v18, v70, v31
	v_pk_fma_f16 v31, v19, v71, v31
	s_delay_alu instid0(VALU_DEP_1) | instskip(SKIP_1) | instid1(VALU_DEP_1)
	v_cvt_f32_f16_e32 v72, v31
	v_lshrrev_b32_e32 v31, 16, v31
	v_cvt_f32_f16_e32 v31, v31
	s_delay_alu instid0(VALU_DEP_1) | instskip(NEXT) | instid1(VALU_DEP_1)
	v_add_f32_e32 v31, v31, v72
	v_fmac_f32_e32 v42, v31, v3
	v_pk_fma_f16 v31, v20, v32, 0
	s_delay_alu instid0(VALU_DEP_1) | instskip(NEXT) | instid1(VALU_DEP_1)
	v_pk_fma_f16 v31, v21, v33, v31
	v_pk_fma_f16 v31, v22, v70, v31
	s_delay_alu instid0(VALU_DEP_1) | instskip(NEXT) | instid1(VALU_DEP_1)
	v_pk_fma_f16 v31, v23, v71, v31
	v_cvt_f32_f16_e32 v72, v31
	v_lshrrev_b32_e32 v31, 16, v31
	s_delay_alu instid0(VALU_DEP_1) | instskip(NEXT) | instid1(VALU_DEP_1)
	v_cvt_f32_f16_e32 v31, v31
	v_add_f32_e32 v31, v31, v72
	s_delay_alu instid0(VALU_DEP_1) | instskip(SKIP_1) | instid1(VALU_DEP_1)
	v_fmac_f32_e32 v40, v31, v6
	v_pk_fma_f16 v31, v25, v32, 0
	v_pk_fma_f16 v31, v26, v33, v31
	s_delay_alu instid0(VALU_DEP_1) | instskip(NEXT) | instid1(VALU_DEP_1)
	v_pk_fma_f16 v31, v27, v70, v31
	v_pk_fma_f16 v31, v28, v71, v31
	s_delay_alu instid0(VALU_DEP_1) | instskip(SKIP_1) | instid1(VALU_DEP_1)
	v_cvt_f32_f16_e32 v32, v31
	v_lshrrev_b32_e32 v31, 16, v31
	v_cvt_f32_f16_e32 v31, v31
	s_delay_alu instid0(VALU_DEP_1) | instskip(NEXT) | instid1(VALU_DEP_1)
	v_add_f32_e32 v31, v31, v32
	v_dual_fmac_f32 v39, v31, v7 :: v_dual_mov_b32 v31, s13
	s_add_co_i32 s13, s19, 0x608
	s_delay_alu instid0(SALU_CYCLE_1)
	v_mov_b32_e32 v70, s13
	s_add_co_i32 s13, s19, 0x700
	ds_load_2addr_b32 v[32:33], v31 offset1:1
	ds_load_2addr_b32 v[70:71], v70 offset1:1
	s_wait_dscnt 0x1
	v_pk_fma_f16 v31, v29, v32, 0
	s_delay_alu instid0(VALU_DEP_1) | instskip(SKIP_1) | instid1(VALU_DEP_1)
	v_pk_fma_f16 v31, v24, v33, v31
	s_wait_dscnt 0x0
	v_pk_fma_f16 v31, v14, v70, v31
	s_delay_alu instid0(VALU_DEP_1) | instskip(NEXT) | instid1(VALU_DEP_1)
	v_pk_fma_f16 v31, v15, v71, v31
	v_cvt_f32_f16_e32 v72, v31
	v_lshrrev_b32_e32 v31, 16, v31
	s_delay_alu instid0(VALU_DEP_1) | instskip(NEXT) | instid1(VALU_DEP_1)
	v_cvt_f32_f16_e32 v31, v31
	v_add_f32_e32 v31, v31, v72
	s_delay_alu instid0(VALU_DEP_1) | instskip(SKIP_1) | instid1(VALU_DEP_1)
	v_fmac_f32_e32 v37, v31, v4
	v_pk_fma_f16 v31, v16, v32, 0
	v_pk_fma_f16 v31, v17, v33, v31
	s_delay_alu instid0(VALU_DEP_1) | instskip(NEXT) | instid1(VALU_DEP_1)
	v_pk_fma_f16 v31, v18, v70, v31
	v_pk_fma_f16 v31, v19, v71, v31
	s_delay_alu instid0(VALU_DEP_1) | instskip(SKIP_1) | instid1(VALU_DEP_1)
	v_cvt_f32_f16_e32 v72, v31
	v_lshrrev_b32_e32 v31, 16, v31
	v_cvt_f32_f16_e32 v31, v31
	s_delay_alu instid0(VALU_DEP_1) | instskip(NEXT) | instid1(VALU_DEP_1)
	v_add_f32_e32 v31, v31, v72
	v_fmac_f32_e32 v38, v31, v3
	v_pk_fma_f16 v31, v20, v32, 0
	s_delay_alu instid0(VALU_DEP_1) | instskip(NEXT) | instid1(VALU_DEP_1)
	v_pk_fma_f16 v31, v21, v33, v31
	v_pk_fma_f16 v31, v22, v70, v31
	s_delay_alu instid0(VALU_DEP_1) | instskip(NEXT) | instid1(VALU_DEP_1)
	v_pk_fma_f16 v31, v23, v71, v31
	v_cvt_f32_f16_e32 v72, v31
	v_lshrrev_b32_e32 v31, 16, v31
	s_delay_alu instid0(VALU_DEP_1) | instskip(NEXT) | instid1(VALU_DEP_1)
	v_cvt_f32_f16_e32 v31, v31
	v_add_f32_e32 v31, v31, v72
	s_delay_alu instid0(VALU_DEP_1) | instskip(SKIP_1) | instid1(VALU_DEP_1)
	v_fmac_f32_e32 v34, v31, v6
	v_pk_fma_f16 v31, v25, v32, 0
	v_pk_fma_f16 v31, v26, v33, v31
	s_delay_alu instid0(VALU_DEP_1) | instskip(NEXT) | instid1(VALU_DEP_1)
	v_pk_fma_f16 v31, v27, v70, v31
	v_pk_fma_f16 v31, v28, v71, v31
	s_delay_alu instid0(VALU_DEP_1) | instskip(SKIP_1) | instid1(VALU_DEP_1)
	v_cvt_f32_f16_e32 v32, v31
	v_lshrrev_b32_e32 v31, 16, v31
	v_cvt_f32_f16_e32 v31, v31
	s_delay_alu instid0(VALU_DEP_1) | instskip(NEXT) | instid1(VALU_DEP_1)
	v_add_f32_e32 v31, v31, v32
	v_dual_fmac_f32 v35, v31, v7 :: v_dual_mov_b32 v31, s13
	s_add_co_i32 s13, s19, 0x708
	ds_load_2addr_b32 v[32:33], v31 offset1:1
	s_wait_dscnt 0x0
	v_pk_fma_f16 v29, v29, v32, 0
	s_delay_alu instid0(VALU_DEP_1)
	v_pk_fma_f16 v24, v24, v33, v29
	v_mov_b32_e32 v29, s13
	s_add_co_i32 s13, s19, 0x410
	ds_load_2addr_b32 v[70:71], v29 offset1:1
	s_wait_dscnt 0x0
	v_pk_fma_f16 v14, v14, v70, v24
	s_delay_alu instid0(VALU_DEP_1) | instskip(NEXT) | instid1(VALU_DEP_1)
	v_pk_fma_f16 v14, v15, v71, v14
	v_cvt_f32_f16_e32 v15, v14
	v_lshrrev_b32_e32 v14, 16, v14
	s_delay_alu instid0(VALU_DEP_1) | instskip(NEXT) | instid1(VALU_DEP_1)
	v_cvt_f32_f16_e32 v14, v14
	v_add_f32_e32 v14, v14, v15
	s_delay_alu instid0(VALU_DEP_1) | instskip(SKIP_1) | instid1(VALU_DEP_1)
	v_fmac_f32_e32 v13, v14, v4
	v_pk_fma_f16 v14, v16, v32, 0
	v_pk_fma_f16 v14, v17, v33, v14
	s_delay_alu instid0(VALU_DEP_1) | instskip(NEXT) | instid1(VALU_DEP_1)
	v_pk_fma_f16 v14, v18, v70, v14
	v_pk_fma_f16 v14, v19, v71, v14
	s_delay_alu instid0(VALU_DEP_1) | instskip(SKIP_1) | instid1(VALU_DEP_1)
	v_cvt_f32_f16_e32 v15, v14
	v_lshrrev_b32_e32 v14, 16, v14
	v_cvt_f32_f16_e32 v14, v14
	s_delay_alu instid0(VALU_DEP_1) | instskip(NEXT) | instid1(VALU_DEP_1)
	v_add_f32_e32 v14, v14, v15
	v_fmac_f32_e32 v36, v14, v3
	v_pk_fma_f16 v14, v20, v32, 0
	s_delay_alu instid0(VALU_DEP_1) | instskip(NEXT) | instid1(VALU_DEP_1)
	v_pk_fma_f16 v14, v21, v33, v14
	v_pk_fma_f16 v14, v22, v70, v14
	s_delay_alu instid0(VALU_DEP_1) | instskip(SKIP_2) | instid1(VALU_DEP_3)
	v_pk_fma_f16 v15, v23, v71, v14
	v_add_nc_u64_e32 v[22:23], s[6:7], v[0:1]
	v_add_nc_u64_e32 v[0:1], s[0:1], v[0:1]
	v_cvt_f32_f16_e32 v14, v15
	v_lshrrev_b32_e32 v15, 16, v15
	global_load_b128 v[18:21], v[22:23], off
	v_cvt_f32_f16_e32 v16, v15
	v_pk_fma_f16 v15, v25, v32, 0
	s_delay_alu instid0(VALU_DEP_1) | instskip(NEXT) | instid1(VALU_DEP_1)
	v_pk_fma_f16 v15, v26, v33, v15
	v_pk_fma_f16 v15, v27, v70, v15
	s_delay_alu instid0(VALU_DEP_1) | instskip(NEXT) | instid1(VALU_DEP_1)
	v_pk_fma_f16 v15, v28, v71, v15
	v_lshrrev_b32_e32 v17, 16, v15
	v_cvt_f32_f16_e32 v15, v15
	s_delay_alu instid0(VALU_DEP_2) | instskip(NEXT) | instid1(VALU_DEP_1)
	v_cvt_f32_f16_e32 v17, v17
	v_pk_add_f32 v[14:15], v[14:15], v[16:17]
	s_delay_alu instid0(VALU_DEP_1) | instskip(SKIP_4) | instid1(VALU_DEP_3)
	v_pk_fma_f32 v[8:9], v[14:15], v[6:7], v[8:9]
	s_wait_loadcnt 0x0
	v_and_or_b32 v24, v18, s5, 0x64006400
	v_and_or_b32 v26, v18, s12, 0x64006400
	v_lshrrev_b32_e32 v18, 8, v18
	v_pk_add_f16 v25, v66, v24
	s_delay_alu instid0(VALU_DEP_3) | instskip(NEXT) | instid1(VALU_DEP_3)
	v_pk_fma_f16 v24, 0x2c00, v26, v10 op_sel_hi:[0,1,1]
	v_and_or_b32 v27, v18, s5, 0x64006400
	v_and_or_b32 v18, v18, s12, 0x64006400
	;; [unrolled: 1-line block ×3, first 2 shown]
	s_delay_alu instid0(VALU_DEP_3) | instskip(NEXT) | instid1(VALU_DEP_3)
	v_pk_add_f16 v77, v66, v27
	v_pk_fma_f16 v78, 0x2c00, v18, v10 op_sel_hi:[0,1,1]
	v_and_or_b32 v18, v19, s5, 0x64006400
	v_lshrrev_b32_e32 v19, 8, v19
	v_pk_fma_f16 v74, 0x2c00, v26, v5 op_sel_hi:[0,1,1]
	s_delay_alu instid0(VALU_DEP_3) | instskip(NEXT) | instid1(VALU_DEP_3)
	v_pk_add_f16 v73, v68, v18
	v_and_or_b32 v27, v19, s5, 0x64006400
	v_and_or_b32 v19, v19, s12, 0x64006400
	;; [unrolled: 1-line block ×3, first 2 shown]
	s_delay_alu instid0(VALU_DEP_3) | instskip(NEXT) | instid1(VALU_DEP_3)
	v_pk_add_f16 v75, v68, v27
	v_pk_fma_f16 v76, 0x2c00, v19, v5 op_sel_hi:[0,1,1]
	v_and_or_b32 v19, v20, s12, 0x64006400
	s_delay_alu instid0(VALU_DEP_4) | instskip(SKIP_2) | instid1(VALU_DEP_4)
	v_pk_add_f16 v33, v67, v18
	v_and_or_b32 v18, v21, s5, 0x64006400
	v_lshrrev_b32_e32 v20, 8, v20
	v_pk_fma_f16 v70, 0x2c00, v19, v12 op_sel_hi:[0,1,1]
	v_and_or_b32 v19, v21, s12, 0x64006400
	s_delay_alu instid0(VALU_DEP_4) | instskip(NEXT) | instid1(VALU_DEP_4)
	v_pk_add_f16 v31, v69, v18
	v_and_or_b32 v26, v20, s5, 0x64006400
	v_and_or_b32 v20, v20, s12, 0x64006400
	s_delay_alu instid0(VALU_DEP_4) | instskip(SKIP_4) | instid1(VALU_DEP_1)
	v_pk_fma_f16 v32, 0x2c00, v19, v11 op_sel_hi:[0,1,1]
	ds_load_2addr_b32 v[18:19], v30 offset0:4 offset1:5
	v_pk_add_f16 v71, v67, v26
	v_pk_fma_f16 v72, 0x2c00, v20, v12 op_sel_hi:[0,1,1]
	v_lshrrev_b32_e32 v20, 8, v21
	v_and_or_b32 v21, v20, s5, 0x64006400
	v_and_or_b32 v20, v20, s12, 0x64006400
	s_delay_alu instid0(VALU_DEP_2) | instskip(NEXT) | instid1(VALU_DEP_2)
	v_pk_add_f16 v29, v69, v21
	v_pk_fma_f16 v28, 0x2c00, v20, v11 op_sel_hi:[0,1,1]
	s_wait_dscnt 0x0
	v_pk_fma_f16 v20, v25, v18, 0
	s_delay_alu instid0(VALU_DEP_1) | instskip(SKIP_3) | instid1(VALU_DEP_1)
	v_pk_fma_f16 v26, v24, v19, v20
	ds_load_2addr_b32 v[20:21], v30 offset0:6 offset1:7
	s_wait_dscnt 0x0
	v_pk_fma_f16 v26, v77, v20, v26
	v_pk_fma_f16 v26, v78, v21, v26
	s_delay_alu instid0(VALU_DEP_1) | instskip(SKIP_1) | instid1(VALU_DEP_1)
	v_cvt_f32_f16_e32 v27, v26
	v_lshrrev_b32_e32 v26, 16, v26
	v_cvt_f32_f16_e32 v26, v26
	s_delay_alu instid0(VALU_DEP_1) | instskip(NEXT) | instid1(VALU_DEP_1)
	v_add_f32_e32 v26, v26, v27
	v_fmac_f32_e32 v62, v26, v4
	v_pk_fma_f16 v26, v73, v18, 0
	s_delay_alu instid0(VALU_DEP_1) | instskip(NEXT) | instid1(VALU_DEP_1)
	v_pk_fma_f16 v26, v74, v19, v26
	v_pk_fma_f16 v26, v75, v20, v26
	s_delay_alu instid0(VALU_DEP_1) | instskip(NEXT) | instid1(VALU_DEP_1)
	v_pk_fma_f16 v26, v76, v21, v26
	v_cvt_f32_f16_e32 v27, v26
	v_lshrrev_b32_e32 v26, 16, v26
	s_delay_alu instid0(VALU_DEP_1) | instskip(NEXT) | instid1(VALU_DEP_1)
	v_cvt_f32_f16_e32 v26, v26
	v_add_f32_e32 v26, v26, v27
	s_delay_alu instid0(VALU_DEP_1) | instskip(SKIP_2) | instid1(VALU_DEP_2)
	v_fmac_f32_e32 v63, v26, v3
	v_pk_fma_f16 v26, v33, v18, 0
	v_pk_fma_f16 v18, v31, v18, 0
	v_pk_fma_f16 v26, v70, v19, v26
	s_delay_alu instid0(VALU_DEP_2) | instskip(NEXT) | instid1(VALU_DEP_2)
	v_pk_fma_f16 v18, v32, v19, v18
	v_pk_fma_f16 v26, v71, v20, v26
	s_delay_alu instid0(VALU_DEP_2) | instskip(NEXT) | instid1(VALU_DEP_2)
	v_pk_fma_f16 v18, v29, v20, v18
	v_pk_fma_f16 v26, v72, v21, v26
	s_delay_alu instid0(VALU_DEP_2) | instskip(NEXT) | instid1(VALU_DEP_2)
	v_pk_fma_f16 v18, v28, v21, v18
	v_cvt_f32_f16_e32 v27, v26
	s_delay_alu instid0(VALU_DEP_2) | instskip(SKIP_2) | instid1(VALU_DEP_2)
	v_cvt_f32_f16_e32 v19, v18
	v_lshrrev_b32_e32 v18, 16, v18
	v_lshrrev_b32_e32 v26, 16, v26
	v_cvt_f32_f16_e32 v18, v18
	s_delay_alu instid0(VALU_DEP_2) | instskip(NEXT) | instid1(VALU_DEP_2)
	v_cvt_f32_f16_e32 v26, v26
	v_add_f32_e32 v18, v18, v19
	s_delay_alu instid0(VALU_DEP_2) | instskip(NEXT) | instid1(VALU_DEP_2)
	v_add_f32_e32 v26, v26, v27
	v_fmac_f32_e32 v60, v18, v7
	ds_load_2addr_b32 v[18:19], v30 offset0:68 offset1:69
	v_fmac_f32_e32 v59, v26, v6
	s_wait_dscnt 0x0
	v_pk_fma_f16 v20, v25, v18, 0
	s_delay_alu instid0(VALU_DEP_1) | instskip(SKIP_3) | instid1(VALU_DEP_1)
	v_pk_fma_f16 v26, v24, v19, v20
	ds_load_2addr_b32 v[20:21], v30 offset0:70 offset1:71
	s_wait_dscnt 0x0
	v_pk_fma_f16 v26, v77, v20, v26
	v_pk_fma_f16 v26, v78, v21, v26
	s_delay_alu instid0(VALU_DEP_1) | instskip(SKIP_1) | instid1(VALU_DEP_1)
	v_cvt_f32_f16_e32 v27, v26
	v_lshrrev_b32_e32 v26, 16, v26
	v_cvt_f32_f16_e32 v26, v26
	s_delay_alu instid0(VALU_DEP_1) | instskip(NEXT) | instid1(VALU_DEP_1)
	v_add_f32_e32 v26, v26, v27
	v_fmac_f32_e32 v57, v26, v4
	v_pk_fma_f16 v26, v73, v18, 0
	s_delay_alu instid0(VALU_DEP_1) | instskip(NEXT) | instid1(VALU_DEP_1)
	v_pk_fma_f16 v26, v74, v19, v26
	v_pk_fma_f16 v26, v75, v20, v26
	s_delay_alu instid0(VALU_DEP_1) | instskip(NEXT) | instid1(VALU_DEP_1)
	v_pk_fma_f16 v26, v76, v21, v26
	v_cvt_f32_f16_e32 v27, v26
	v_lshrrev_b32_e32 v26, 16, v26
	s_delay_alu instid0(VALU_DEP_1) | instskip(NEXT) | instid1(VALU_DEP_1)
	v_cvt_f32_f16_e32 v26, v26
	v_add_f32_e32 v26, v26, v27
	s_delay_alu instid0(VALU_DEP_1) | instskip(SKIP_2) | instid1(VALU_DEP_2)
	v_fmac_f32_e32 v58, v26, v3
	v_pk_fma_f16 v26, v33, v18, 0
	v_pk_fma_f16 v18, v31, v18, 0
	v_pk_fma_f16 v26, v70, v19, v26
	s_delay_alu instid0(VALU_DEP_2) | instskip(NEXT) | instid1(VALU_DEP_2)
	v_pk_fma_f16 v18, v32, v19, v18
	v_pk_fma_f16 v26, v71, v20, v26
	s_delay_alu instid0(VALU_DEP_2) | instskip(NEXT) | instid1(VALU_DEP_2)
	v_pk_fma_f16 v18, v29, v20, v18
	v_pk_fma_f16 v26, v72, v21, v26
	s_delay_alu instid0(VALU_DEP_2) | instskip(NEXT) | instid1(VALU_DEP_2)
	v_pk_fma_f16 v18, v28, v21, v18
	v_cvt_f32_f16_e32 v27, v26
	s_delay_alu instid0(VALU_DEP_2) | instskip(SKIP_2) | instid1(VALU_DEP_2)
	v_cvt_f32_f16_e32 v19, v18
	v_lshrrev_b32_e32 v18, 16, v18
	v_lshrrev_b32_e32 v26, 16, v26
	v_cvt_f32_f16_e32 v18, v18
	s_delay_alu instid0(VALU_DEP_2) | instskip(NEXT) | instid1(VALU_DEP_2)
	v_cvt_f32_f16_e32 v26, v26
	v_add_f32_e32 v18, v18, v19
	s_delay_alu instid0(VALU_DEP_2) | instskip(NEXT) | instid1(VALU_DEP_2)
	v_add_f32_e32 v26, v26, v27
	v_fmac_f32_e32 v56, v18, v7
	ds_load_2addr_b32 v[18:19], v30 offset0:132 offset1:133
	v_fmac_f32_e32 v55, v26, v6
	;; [unrolled: 53-line block ×3, first 2 shown]
	s_wait_dscnt 0x0
	v_pk_fma_f16 v20, v25, v18, 0
	s_delay_alu instid0(VALU_DEP_1) | instskip(SKIP_3) | instid1(VALU_DEP_1)
	v_pk_fma_f16 v26, v24, v19, v20
	ds_load_2addr_b32 v[20:21], v30 offset0:198 offset1:199
	s_wait_dscnt 0x0
	v_pk_fma_f16 v26, v77, v20, v26
	v_pk_fma_f16 v26, v78, v21, v26
	s_delay_alu instid0(VALU_DEP_1) | instskip(SKIP_1) | instid1(VALU_DEP_1)
	v_cvt_f32_f16_e32 v27, v26
	v_lshrrev_b32_e32 v26, 16, v26
	v_cvt_f32_f16_e32 v26, v26
	s_delay_alu instid0(VALU_DEP_1) | instskip(NEXT) | instid1(VALU_DEP_1)
	v_add_f32_e32 v26, v26, v27
	v_fmac_f32_e32 v49, v26, v4
	v_pk_fma_f16 v26, v73, v18, 0
	s_delay_alu instid0(VALU_DEP_1) | instskip(NEXT) | instid1(VALU_DEP_1)
	v_pk_fma_f16 v26, v74, v19, v26
	v_pk_fma_f16 v26, v75, v20, v26
	s_delay_alu instid0(VALU_DEP_1) | instskip(NEXT) | instid1(VALU_DEP_1)
	v_pk_fma_f16 v26, v76, v21, v26
	v_cvt_f32_f16_e32 v27, v26
	v_lshrrev_b32_e32 v26, 16, v26
	s_delay_alu instid0(VALU_DEP_1) | instskip(NEXT) | instid1(VALU_DEP_1)
	v_cvt_f32_f16_e32 v26, v26
	v_add_f32_e32 v26, v26, v27
	s_delay_alu instid0(VALU_DEP_1) | instskip(SKIP_2) | instid1(VALU_DEP_2)
	v_fmac_f32_e32 v50, v26, v3
	v_pk_fma_f16 v26, v33, v18, 0
	v_pk_fma_f16 v18, v31, v18, 0
	v_pk_fma_f16 v26, v70, v19, v26
	s_delay_alu instid0(VALU_DEP_2) | instskip(NEXT) | instid1(VALU_DEP_2)
	v_pk_fma_f16 v18, v32, v19, v18
	v_pk_fma_f16 v26, v71, v20, v26
	s_delay_alu instid0(VALU_DEP_2) | instskip(NEXT) | instid1(VALU_DEP_2)
	v_pk_fma_f16 v18, v29, v20, v18
	v_pk_fma_f16 v26, v72, v21, v26
	s_delay_alu instid0(VALU_DEP_2) | instskip(NEXT) | instid1(VALU_DEP_2)
	v_pk_fma_f16 v18, v28, v21, v18
	v_cvt_f32_f16_e32 v27, v26
	s_delay_alu instid0(VALU_DEP_2) | instskip(SKIP_2) | instid1(VALU_DEP_2)
	v_cvt_f32_f16_e32 v19, v18
	v_lshrrev_b32_e32 v18, 16, v18
	v_lshrrev_b32_e32 v26, 16, v26
	v_cvt_f32_f16_e32 v18, v18
	s_delay_alu instid0(VALU_DEP_2) | instskip(NEXT) | instid1(VALU_DEP_2)
	v_cvt_f32_f16_e32 v26, v26
	v_add_f32_e32 v18, v18, v19
	s_delay_alu instid0(VALU_DEP_1) | instskip(SKIP_1) | instid1(VALU_DEP_3)
	v_dual_fmac_f32 v48, v18, v7 :: v_dual_mov_b32 v18, s13
	s_add_co_i32 s13, s19, 0x418
	v_add_f32_e32 v26, v26, v27
	ds_load_2addr_b32 v[18:19], v18 offset1:1
	v_fmac_f32_e32 v47, v26, v6
	s_wait_dscnt 0x0
	v_pk_fma_f16 v20, v25, v18, 0
	s_delay_alu instid0(VALU_DEP_1)
	v_pk_fma_f16 v26, v24, v19, v20
	v_mov_b32_e32 v20, s13
	s_add_co_i32 s13, s19, 0x510
	ds_load_2addr_b32 v[20:21], v20 offset1:1
	s_wait_dscnt 0x0
	v_pk_fma_f16 v26, v77, v20, v26
	s_delay_alu instid0(VALU_DEP_1) | instskip(NEXT) | instid1(VALU_DEP_1)
	v_pk_fma_f16 v26, v78, v21, v26
	v_cvt_f32_f16_e32 v27, v26
	v_lshrrev_b32_e32 v26, 16, v26
	s_delay_alu instid0(VALU_DEP_1) | instskip(NEXT) | instid1(VALU_DEP_1)
	v_cvt_f32_f16_e32 v26, v26
	v_add_f32_e32 v26, v26, v27
	s_delay_alu instid0(VALU_DEP_1) | instskip(SKIP_1) | instid1(VALU_DEP_1)
	v_fmac_f32_e32 v45, v26, v4
	v_pk_fma_f16 v26, v73, v18, 0
	v_pk_fma_f16 v26, v74, v19, v26
	s_delay_alu instid0(VALU_DEP_1) | instskip(NEXT) | instid1(VALU_DEP_1)
	v_pk_fma_f16 v26, v75, v20, v26
	v_pk_fma_f16 v26, v76, v21, v26
	s_delay_alu instid0(VALU_DEP_1) | instskip(SKIP_1) | instid1(VALU_DEP_1)
	v_cvt_f32_f16_e32 v27, v26
	v_lshrrev_b32_e32 v26, 16, v26
	v_cvt_f32_f16_e32 v26, v26
	s_delay_alu instid0(VALU_DEP_1) | instskip(NEXT) | instid1(VALU_DEP_1)
	v_add_f32_e32 v26, v26, v27
	v_fmac_f32_e32 v46, v26, v3
	v_pk_fma_f16 v26, v33, v18, 0
	v_pk_fma_f16 v18, v31, v18, 0
	s_delay_alu instid0(VALU_DEP_2) | instskip(NEXT) | instid1(VALU_DEP_2)
	v_pk_fma_f16 v26, v70, v19, v26
	v_pk_fma_f16 v18, v32, v19, v18
	s_delay_alu instid0(VALU_DEP_2) | instskip(NEXT) | instid1(VALU_DEP_2)
	;; [unrolled: 3-line block ×3, first 2 shown]
	v_pk_fma_f16 v26, v72, v21, v26
	v_pk_fma_f16 v18, v28, v21, v18
	s_delay_alu instid0(VALU_DEP_2) | instskip(SKIP_1) | instid1(VALU_DEP_3)
	v_cvt_f32_f16_e32 v27, v26
	v_lshrrev_b32_e32 v26, 16, v26
	v_cvt_f32_f16_e32 v19, v18
	v_lshrrev_b32_e32 v18, 16, v18
	s_delay_alu instid0(VALU_DEP_3) | instskip(NEXT) | instid1(VALU_DEP_2)
	v_cvt_f32_f16_e32 v26, v26
	v_cvt_f32_f16_e32 v18, v18
	s_delay_alu instid0(VALU_DEP_2) | instskip(NEXT) | instid1(VALU_DEP_2)
	v_add_f32_e32 v26, v26, v27
	v_add_f32_e32 v18, v18, v19
	s_delay_alu instid0(VALU_DEP_2) | instskip(NEXT) | instid1(VALU_DEP_2)
	v_fmac_f32_e32 v43, v26, v6
	v_dual_fmac_f32 v44, v18, v7 :: v_dual_mov_b32 v18, s13
	s_add_co_i32 s13, s19, 0x518
	ds_load_2addr_b32 v[18:19], v18 offset1:1
	s_wait_dscnt 0x0
	v_pk_fma_f16 v20, v25, v18, 0
	s_delay_alu instid0(VALU_DEP_1)
	v_pk_fma_f16 v26, v24, v19, v20
	v_mov_b32_e32 v20, s13
	s_add_co_i32 s13, s19, 0x610
	ds_load_2addr_b32 v[20:21], v20 offset1:1
	s_wait_dscnt 0x0
	v_pk_fma_f16 v26, v77, v20, v26
	s_delay_alu instid0(VALU_DEP_1) | instskip(NEXT) | instid1(VALU_DEP_1)
	v_pk_fma_f16 v26, v78, v21, v26
	v_cvt_f32_f16_e32 v27, v26
	v_lshrrev_b32_e32 v26, 16, v26
	s_delay_alu instid0(VALU_DEP_1) | instskip(NEXT) | instid1(VALU_DEP_1)
	v_cvt_f32_f16_e32 v26, v26
	v_add_f32_e32 v26, v26, v27
	s_delay_alu instid0(VALU_DEP_1) | instskip(SKIP_1) | instid1(VALU_DEP_1)
	v_fmac_f32_e32 v41, v26, v4
	v_pk_fma_f16 v26, v73, v18, 0
	v_pk_fma_f16 v26, v74, v19, v26
	s_delay_alu instid0(VALU_DEP_1) | instskip(NEXT) | instid1(VALU_DEP_1)
	v_pk_fma_f16 v26, v75, v20, v26
	v_pk_fma_f16 v26, v76, v21, v26
	s_delay_alu instid0(VALU_DEP_1) | instskip(SKIP_1) | instid1(VALU_DEP_1)
	v_cvt_f32_f16_e32 v27, v26
	v_lshrrev_b32_e32 v26, 16, v26
	v_cvt_f32_f16_e32 v26, v26
	s_delay_alu instid0(VALU_DEP_1) | instskip(NEXT) | instid1(VALU_DEP_1)
	v_add_f32_e32 v26, v26, v27
	v_fmac_f32_e32 v42, v26, v3
	v_pk_fma_f16 v26, v33, v18, 0
	v_pk_fma_f16 v18, v31, v18, 0
	s_delay_alu instid0(VALU_DEP_2) | instskip(NEXT) | instid1(VALU_DEP_2)
	v_pk_fma_f16 v26, v70, v19, v26
	v_pk_fma_f16 v18, v32, v19, v18
	s_delay_alu instid0(VALU_DEP_2) | instskip(NEXT) | instid1(VALU_DEP_2)
	;; [unrolled: 3-line block ×4, first 2 shown]
	v_cvt_f32_f16_e32 v27, v26
	v_cvt_f32_f16_e32 v19, v18
	v_lshrrev_b32_e32 v18, 16, v18
	v_lshrrev_b32_e32 v26, 16, v26
	s_delay_alu instid0(VALU_DEP_2) | instskip(NEXT) | instid1(VALU_DEP_2)
	v_cvt_f32_f16_e32 v18, v18
	v_cvt_f32_f16_e32 v26, v26
	s_delay_alu instid0(VALU_DEP_2) | instskip(NEXT) | instid1(VALU_DEP_1)
	v_add_f32_e32 v18, v18, v19
	v_dual_fmac_f32 v39, v18, v7 :: v_dual_mov_b32 v18, s13
	s_add_co_i32 s13, s19, 0x618
	s_delay_alu instid0(VALU_DEP_3) | instskip(SKIP_4) | instid1(VALU_DEP_1)
	v_add_f32_e32 v26, v26, v27
	ds_load_2addr_b32 v[18:19], v18 offset1:1
	v_fmac_f32_e32 v40, v26, v6
	s_wait_dscnt 0x0
	v_pk_fma_f16 v20, v25, v18, 0
	v_pk_fma_f16 v26, v24, v19, v20
	v_mov_b32_e32 v20, s13
	s_add_co_i32 s13, s19, 0x710
	ds_load_2addr_b32 v[20:21], v20 offset1:1
	s_wait_dscnt 0x0
	v_pk_fma_f16 v26, v77, v20, v26
	s_delay_alu instid0(VALU_DEP_1) | instskip(NEXT) | instid1(VALU_DEP_1)
	v_pk_fma_f16 v26, v78, v21, v26
	v_cvt_f32_f16_e32 v27, v26
	v_lshrrev_b32_e32 v26, 16, v26
	s_delay_alu instid0(VALU_DEP_1) | instskip(NEXT) | instid1(VALU_DEP_1)
	v_cvt_f32_f16_e32 v26, v26
	v_add_f32_e32 v26, v26, v27
	s_delay_alu instid0(VALU_DEP_1) | instskip(SKIP_1) | instid1(VALU_DEP_1)
	v_fmac_f32_e32 v37, v26, v4
	v_pk_fma_f16 v26, v73, v18, 0
	v_pk_fma_f16 v26, v74, v19, v26
	s_delay_alu instid0(VALU_DEP_1) | instskip(NEXT) | instid1(VALU_DEP_1)
	v_pk_fma_f16 v26, v75, v20, v26
	v_pk_fma_f16 v26, v76, v21, v26
	s_delay_alu instid0(VALU_DEP_1) | instskip(SKIP_1) | instid1(VALU_DEP_1)
	v_cvt_f32_f16_e32 v27, v26
	v_lshrrev_b32_e32 v26, 16, v26
	v_cvt_f32_f16_e32 v26, v26
	s_delay_alu instid0(VALU_DEP_1) | instskip(NEXT) | instid1(VALU_DEP_1)
	v_add_f32_e32 v26, v26, v27
	v_fmac_f32_e32 v38, v26, v3
	v_pk_fma_f16 v26, v33, v18, 0
	v_pk_fma_f16 v18, v31, v18, 0
	s_delay_alu instid0(VALU_DEP_2) | instskip(NEXT) | instid1(VALU_DEP_2)
	v_pk_fma_f16 v26, v70, v19, v26
	v_pk_fma_f16 v18, v32, v19, v18
	s_delay_alu instid0(VALU_DEP_2) | instskip(NEXT) | instid1(VALU_DEP_2)
	;; [unrolled: 3-line block ×3, first 2 shown]
	v_pk_fma_f16 v26, v72, v21, v26
	v_pk_fma_f16 v18, v28, v21, v18
	s_delay_alu instid0(VALU_DEP_2) | instskip(SKIP_1) | instid1(VALU_DEP_3)
	v_cvt_f32_f16_e32 v27, v26
	v_lshrrev_b32_e32 v26, 16, v26
	v_cvt_f32_f16_e32 v19, v18
	v_lshrrev_b32_e32 v18, 16, v18
	s_delay_alu instid0(VALU_DEP_3) | instskip(NEXT) | instid1(VALU_DEP_2)
	v_cvt_f32_f16_e32 v26, v26
	v_cvt_f32_f16_e32 v18, v18
	s_delay_alu instid0(VALU_DEP_2) | instskip(NEXT) | instid1(VALU_DEP_2)
	v_add_f32_e32 v26, v26, v27
	v_add_f32_e32 v18, v18, v19
	s_delay_alu instid0(VALU_DEP_2) | instskip(NEXT) | instid1(VALU_DEP_2)
	v_fmac_f32_e32 v34, v26, v6
	v_dual_fmac_f32 v35, v18, v7 :: v_dual_mov_b32 v18, s13
	s_add_co_i32 s13, s19, 0x718
	s_delay_alu instid0(SALU_CYCLE_1) | instskip(SKIP_4) | instid1(VALU_DEP_1)
	v_mov_b32_e32 v19, s13
	s_add_co_i32 s13, s19, 0x420
	ds_load_2addr_b32 v[26:27], v18 offset1:1
	s_wait_dscnt 0x0
	v_pk_fma_f16 v18, v25, v26, 0
	v_pk_fma_f16 v18, v24, v27, v18
	ds_load_2addr_b32 v[24:25], v19 offset1:1
	s_wait_dscnt 0x0
	v_pk_fma_f16 v18, v77, v24, v18
	s_delay_alu instid0(VALU_DEP_1) | instskip(SKIP_3) | instid1(VALU_DEP_1)
	v_pk_fma_f16 v18, v78, v25, v18
	ds_load_2addr_b32 v[78:79], v30 offset0:8 offset1:9
	v_cvt_f32_f16_e32 v19, v18
	v_lshrrev_b32_e32 v18, 16, v18
	v_cvt_f32_f16_e32 v18, v18
	s_delay_alu instid0(VALU_DEP_1) | instskip(NEXT) | instid1(VALU_DEP_1)
	v_add_f32_e32 v18, v18, v19
	v_fmac_f32_e32 v13, v18, v4
	v_pk_fma_f16 v18, v73, v26, 0
	s_delay_alu instid0(VALU_DEP_1) | instskip(NEXT) | instid1(VALU_DEP_1)
	v_pk_fma_f16 v18, v74, v27, v18
	v_pk_fma_f16 v18, v75, v24, v18
	s_delay_alu instid0(VALU_DEP_1) | instskip(NEXT) | instid1(VALU_DEP_1)
	v_pk_fma_f16 v18, v76, v25, v18
	v_cvt_f32_f16_e32 v19, v18
	v_lshrrev_b32_e32 v18, 16, v18
	s_delay_alu instid0(VALU_DEP_1) | instskip(NEXT) | instid1(VALU_DEP_1)
	v_cvt_f32_f16_e32 v18, v18
	v_add_f32_e32 v18, v18, v19
	s_delay_alu instid0(VALU_DEP_1) | instskip(SKIP_1) | instid1(VALU_DEP_1)
	v_fmac_f32_e32 v36, v18, v3
	v_pk_fma_f16 v18, v33, v26, 0
	v_pk_fma_f16 v18, v70, v27, v18
	s_delay_alu instid0(VALU_DEP_1) | instskip(NEXT) | instid1(VALU_DEP_1)
	v_pk_fma_f16 v18, v71, v24, v18
	v_pk_fma_f16 v19, v72, v25, v18
	s_delay_alu instid0(VALU_DEP_1) | instskip(SKIP_1) | instid1(VALU_DEP_1)
	v_cvt_f32_f16_e32 v18, v19
	v_lshrrev_b32_e32 v19, 16, v19
	v_cvt_f32_f16_e32 v20, v19
	v_pk_fma_f16 v19, v31, v26, 0
	s_delay_alu instid0(VALU_DEP_1) | instskip(SKIP_1) | instid1(VALU_DEP_2)
	v_pk_fma_f16 v19, v32, v27, v19
	v_add_nc_u64_e32 v[26:27], s[6:7], v[22:23]
	v_pk_fma_f16 v19, v29, v24, v19
	global_load_b128 v[70:73], v[26:27], off
	s_wait_xcnt 0x0
	v_add_nc_u64_e32 v[26:27], s[6:7], v[26:27]
	v_pk_fma_f16 v19, v28, v25, v19
	s_delay_alu instid0(VALU_DEP_1) | instskip(SKIP_1) | instid1(VALU_DEP_2)
	v_lshrrev_b32_e32 v21, 16, v19
	v_cvt_f32_f16_e32 v19, v19
	v_cvt_f32_f16_e32 v21, v21
	s_delay_alu instid0(VALU_DEP_1) | instskip(NEXT) | instid1(VALU_DEP_1)
	v_pk_add_f32 v[14:15], v[18:19], v[20:21]
	v_pk_fma_f32 v[8:9], v[14:15], v[6:7], v[8:9]
	s_wait_loadcnt 0x0
	v_lshrrev_b32_e32 v24, 8, v70
	v_and_or_b32 v22, v70, s5, 0x64006400
	v_and_or_b32 v23, v70, s12, 0x64006400
	v_lshrrev_b32_e32 v31, 8, v71
	v_and_or_b32 v70, v72, s12, 0x64006400
	v_and_or_b32 v28, v24, s5, 0x64006400
	;; [unrolled: 1-line block ×3, first 2 shown]
	v_pk_add_f16 v25, v66, v22
	v_pk_fma_f16 v24, 0x2c00, v23, v10 op_sel_hi:[0,1,1]
	v_and_or_b32 v75, v73, s12, 0x64006400
	v_pk_add_f16 v22, v66, v28
	v_pk_fma_f16 v23, 0x2c00, v29, v10 op_sel_hi:[0,1,1]
	v_and_or_b32 v28, v71, s5, 0x64006400
	v_and_or_b32 v29, v71, s12, 0x64006400
	v_lshrrev_b32_e32 v71, 8, v72
	v_and_or_b32 v32, v31, s5, 0x64006400
	v_and_or_b32 v33, v31, s12, 0x64006400
	v_pk_add_f16 v28, v68, v28
	v_pk_fma_f16 v29, 0x2c00, v29, v5 op_sel_hi:[0,1,1]
	v_and_or_b32 v74, v71, s12, 0x64006400
	v_pk_add_f16 v31, v68, v32
	v_pk_fma_f16 v32, 0x2c00, v33, v5 op_sel_hi:[0,1,1]
	v_and_or_b32 v33, v72, s5, 0x64006400
	v_and_or_b32 v72, v71, s5, 0x64006400
	v_pk_fma_f16 v70, 0x2c00, v70, v12 op_sel_hi:[0,1,1]
	s_delay_alu instid0(VALU_DEP_3) | instskip(NEXT) | instid1(VALU_DEP_3)
	v_pk_add_f16 v33, v67, v33
	v_pk_add_f16 v71, v67, v72
	v_pk_fma_f16 v72, 0x2c00, v74, v12 op_sel_hi:[0,1,1]
	v_and_or_b32 v74, v73, s5, 0x64006400
	v_lshrrev_b32_e32 v73, 8, v73
	s_delay_alu instid0(VALU_DEP_1) | instskip(SKIP_1) | instid1(VALU_DEP_4)
	v_and_or_b32 v76, v73, s5, 0x64006400
	v_and_or_b32 v77, v73, s12, 0x64006400
	v_pk_add_f16 v73, v69, v74
	v_pk_fma_f16 v74, 0x2c00, v75, v11 op_sel_hi:[0,1,1]
	s_delay_alu instid0(VALU_DEP_4) | instskip(NEXT) | instid1(VALU_DEP_4)
	v_pk_add_f16 v75, v69, v76
	v_pk_fma_f16 v76, 0x2c00, v77, v11 op_sel_hi:[0,1,1]
	s_wait_dscnt 0x0
	v_pk_fma_f16 v77, v25, v78, 0
	s_delay_alu instid0(VALU_DEP_1) | instskip(NEXT) | instid1(VALU_DEP_1)
	v_pk_fma_f16 v77, v24, v79, v77
	v_pk_fma_f16 v77, v22, v80, v77
	s_delay_alu instid0(VALU_DEP_1) | instskip(NEXT) | instid1(VALU_DEP_1)
	v_pk_fma_f16 v77, v23, v81, v77
	v_cvt_f32_f16_e32 v82, v77
	v_lshrrev_b32_e32 v77, 16, v77
	s_delay_alu instid0(VALU_DEP_1) | instskip(NEXT) | instid1(VALU_DEP_1)
	v_cvt_f32_f16_e32 v77, v77
	v_add_f32_e32 v77, v77, v82
	s_delay_alu instid0(VALU_DEP_1) | instskip(SKIP_1) | instid1(VALU_DEP_1)
	v_fmac_f32_e32 v62, v77, v4
	v_pk_fma_f16 v77, v28, v78, 0
	v_pk_fma_f16 v77, v29, v79, v77
	s_delay_alu instid0(VALU_DEP_1) | instskip(NEXT) | instid1(VALU_DEP_1)
	v_pk_fma_f16 v77, v31, v80, v77
	v_pk_fma_f16 v77, v32, v81, v77
	s_delay_alu instid0(VALU_DEP_1) | instskip(SKIP_1) | instid1(VALU_DEP_1)
	v_cvt_f32_f16_e32 v82, v77
	v_lshrrev_b32_e32 v77, 16, v77
	v_cvt_f32_f16_e32 v77, v77
	s_delay_alu instid0(VALU_DEP_1) | instskip(NEXT) | instid1(VALU_DEP_1)
	v_add_f32_e32 v77, v77, v82
	v_fmac_f32_e32 v63, v77, v3
	v_pk_fma_f16 v77, v33, v78, 0
	s_delay_alu instid0(VALU_DEP_1) | instskip(NEXT) | instid1(VALU_DEP_1)
	v_pk_fma_f16 v77, v70, v79, v77
	v_pk_fma_f16 v77, v71, v80, v77
	s_delay_alu instid0(VALU_DEP_1) | instskip(NEXT) | instid1(VALU_DEP_1)
	v_pk_fma_f16 v77, v72, v81, v77
	v_cvt_f32_f16_e32 v82, v77
	v_lshrrev_b32_e32 v77, 16, v77
	s_delay_alu instid0(VALU_DEP_1) | instskip(NEXT) | instid1(VALU_DEP_1)
	v_cvt_f32_f16_e32 v77, v77
	v_add_f32_e32 v77, v77, v82
	s_delay_alu instid0(VALU_DEP_1) | instskip(SKIP_1) | instid1(VALU_DEP_1)
	v_fmac_f32_e32 v59, v77, v6
	v_pk_fma_f16 v77, v73, v78, 0
	v_pk_fma_f16 v77, v74, v79, v77
	s_delay_alu instid0(VALU_DEP_1) | instskip(NEXT) | instid1(VALU_DEP_1)
	v_pk_fma_f16 v77, v75, v80, v77
	v_pk_fma_f16 v77, v76, v81, v77
	ds_load_2addr_b32 v[80:81], v30 offset0:74 offset1:75
	v_cvt_f32_f16_e32 v78, v77
	v_lshrrev_b32_e32 v77, 16, v77
	s_delay_alu instid0(VALU_DEP_1) | instskip(NEXT) | instid1(VALU_DEP_1)
	v_cvt_f32_f16_e32 v77, v77
	v_add_f32_e32 v77, v77, v78
	ds_load_2addr_b32 v[78:79], v30 offset0:72 offset1:73
	v_fmac_f32_e32 v60, v77, v7
	s_wait_dscnt 0x0
	v_pk_fma_f16 v77, v25, v78, 0
	s_delay_alu instid0(VALU_DEP_1) | instskip(NEXT) | instid1(VALU_DEP_1)
	v_pk_fma_f16 v77, v24, v79, v77
	v_pk_fma_f16 v77, v22, v80, v77
	s_delay_alu instid0(VALU_DEP_1) | instskip(NEXT) | instid1(VALU_DEP_1)
	v_pk_fma_f16 v77, v23, v81, v77
	v_cvt_f32_f16_e32 v82, v77
	v_lshrrev_b32_e32 v77, 16, v77
	s_delay_alu instid0(VALU_DEP_1) | instskip(NEXT) | instid1(VALU_DEP_1)
	v_cvt_f32_f16_e32 v77, v77
	v_add_f32_e32 v77, v77, v82
	s_delay_alu instid0(VALU_DEP_1) | instskip(SKIP_1) | instid1(VALU_DEP_1)
	v_fmac_f32_e32 v57, v77, v4
	v_pk_fma_f16 v77, v28, v78, 0
	v_pk_fma_f16 v77, v29, v79, v77
	s_delay_alu instid0(VALU_DEP_1) | instskip(NEXT) | instid1(VALU_DEP_1)
	v_pk_fma_f16 v77, v31, v80, v77
	v_pk_fma_f16 v77, v32, v81, v77
	s_delay_alu instid0(VALU_DEP_1) | instskip(SKIP_1) | instid1(VALU_DEP_1)
	v_cvt_f32_f16_e32 v82, v77
	v_lshrrev_b32_e32 v77, 16, v77
	v_cvt_f32_f16_e32 v77, v77
	s_delay_alu instid0(VALU_DEP_1) | instskip(NEXT) | instid1(VALU_DEP_1)
	v_add_f32_e32 v77, v77, v82
	v_fmac_f32_e32 v58, v77, v3
	v_pk_fma_f16 v77, v33, v78, 0
	s_delay_alu instid0(VALU_DEP_1) | instskip(NEXT) | instid1(VALU_DEP_1)
	v_pk_fma_f16 v77, v70, v79, v77
	v_pk_fma_f16 v77, v71, v80, v77
	s_delay_alu instid0(VALU_DEP_1) | instskip(NEXT) | instid1(VALU_DEP_1)
	v_pk_fma_f16 v77, v72, v81, v77
	v_cvt_f32_f16_e32 v82, v77
	v_lshrrev_b32_e32 v77, 16, v77
	s_delay_alu instid0(VALU_DEP_1) | instskip(NEXT) | instid1(VALU_DEP_1)
	v_cvt_f32_f16_e32 v77, v77
	v_add_f32_e32 v77, v77, v82
	s_delay_alu instid0(VALU_DEP_1) | instskip(SKIP_1) | instid1(VALU_DEP_1)
	v_fmac_f32_e32 v55, v77, v6
	v_pk_fma_f16 v77, v73, v78, 0
	v_pk_fma_f16 v77, v74, v79, v77
	s_delay_alu instid0(VALU_DEP_1) | instskip(NEXT) | instid1(VALU_DEP_1)
	v_pk_fma_f16 v77, v75, v80, v77
	v_pk_fma_f16 v77, v76, v81, v77
	ds_load_2addr_b32 v[80:81], v30 offset0:138 offset1:139
	v_cvt_f32_f16_e32 v78, v77
	v_lshrrev_b32_e32 v77, 16, v77
	s_delay_alu instid0(VALU_DEP_1) | instskip(NEXT) | instid1(VALU_DEP_1)
	v_cvt_f32_f16_e32 v77, v77
	v_add_f32_e32 v77, v77, v78
	ds_load_2addr_b32 v[78:79], v30 offset0:136 offset1:137
	v_fmac_f32_e32 v56, v77, v7
	;; [unrolled: 52-line block ×3, first 2 shown]
	s_wait_dscnt 0x0
	v_pk_fma_f16 v77, v25, v78, 0
	s_delay_alu instid0(VALU_DEP_1) | instskip(NEXT) | instid1(VALU_DEP_1)
	v_pk_fma_f16 v77, v24, v79, v77
	v_pk_fma_f16 v77, v22, v80, v77
	s_delay_alu instid0(VALU_DEP_1) | instskip(NEXT) | instid1(VALU_DEP_1)
	v_pk_fma_f16 v77, v23, v81, v77
	v_cvt_f32_f16_e32 v82, v77
	v_lshrrev_b32_e32 v77, 16, v77
	s_delay_alu instid0(VALU_DEP_1) | instskip(NEXT) | instid1(VALU_DEP_1)
	v_cvt_f32_f16_e32 v77, v77
	v_add_f32_e32 v77, v77, v82
	s_delay_alu instid0(VALU_DEP_1) | instskip(SKIP_1) | instid1(VALU_DEP_1)
	v_fmac_f32_e32 v49, v77, v4
	v_pk_fma_f16 v77, v28, v78, 0
	v_pk_fma_f16 v77, v29, v79, v77
	s_delay_alu instid0(VALU_DEP_1) | instskip(NEXT) | instid1(VALU_DEP_1)
	v_pk_fma_f16 v77, v31, v80, v77
	v_pk_fma_f16 v77, v32, v81, v77
	s_delay_alu instid0(VALU_DEP_1) | instskip(SKIP_1) | instid1(VALU_DEP_1)
	v_cvt_f32_f16_e32 v82, v77
	v_lshrrev_b32_e32 v77, 16, v77
	v_cvt_f32_f16_e32 v77, v77
	s_delay_alu instid0(VALU_DEP_1) | instskip(NEXT) | instid1(VALU_DEP_1)
	v_add_f32_e32 v77, v77, v82
	v_fmac_f32_e32 v50, v77, v3
	v_pk_fma_f16 v77, v33, v78, 0
	s_delay_alu instid0(VALU_DEP_1) | instskip(NEXT) | instid1(VALU_DEP_1)
	v_pk_fma_f16 v77, v70, v79, v77
	v_pk_fma_f16 v77, v71, v80, v77
	s_delay_alu instid0(VALU_DEP_1) | instskip(NEXT) | instid1(VALU_DEP_1)
	v_pk_fma_f16 v77, v72, v81, v77
	v_cvt_f32_f16_e32 v82, v77
	v_lshrrev_b32_e32 v77, 16, v77
	s_delay_alu instid0(VALU_DEP_1) | instskip(NEXT) | instid1(VALU_DEP_1)
	v_cvt_f32_f16_e32 v77, v77
	v_add_f32_e32 v77, v77, v82
	s_delay_alu instid0(VALU_DEP_1) | instskip(SKIP_1) | instid1(VALU_DEP_1)
	v_fmac_f32_e32 v47, v77, v6
	v_pk_fma_f16 v77, v73, v78, 0
	v_pk_fma_f16 v77, v74, v79, v77
	s_delay_alu instid0(VALU_DEP_1) | instskip(NEXT) | instid1(VALU_DEP_1)
	v_pk_fma_f16 v77, v75, v80, v77
	v_pk_fma_f16 v77, v76, v81, v77
	s_delay_alu instid0(VALU_DEP_1) | instskip(SKIP_1) | instid1(VALU_DEP_1)
	v_cvt_f32_f16_e32 v78, v77
	v_lshrrev_b32_e32 v77, 16, v77
	v_cvt_f32_f16_e32 v77, v77
	s_delay_alu instid0(VALU_DEP_1) | instskip(NEXT) | instid1(VALU_DEP_1)
	v_add_f32_e32 v77, v77, v78
	v_dual_fmac_f32 v48, v77, v7 :: v_dual_mov_b32 v77, s13
	s_add_co_i32 s13, s19, 0x428
	s_delay_alu instid0(SALU_CYCLE_1)
	v_mov_b32_e32 v80, s13
	s_add_co_i32 s13, s19, 0x520
	ds_load_2addr_b32 v[78:79], v77 offset1:1
	ds_load_2addr_b32 v[80:81], v80 offset1:1
	s_wait_dscnt 0x1
	v_pk_fma_f16 v77, v25, v78, 0
	s_delay_alu instid0(VALU_DEP_1) | instskip(SKIP_1) | instid1(VALU_DEP_1)
	v_pk_fma_f16 v77, v24, v79, v77
	s_wait_dscnt 0x0
	v_pk_fma_f16 v77, v22, v80, v77
	s_delay_alu instid0(VALU_DEP_1) | instskip(NEXT) | instid1(VALU_DEP_1)
	v_pk_fma_f16 v77, v23, v81, v77
	v_cvt_f32_f16_e32 v82, v77
	v_lshrrev_b32_e32 v77, 16, v77
	s_delay_alu instid0(VALU_DEP_1) | instskip(NEXT) | instid1(VALU_DEP_1)
	v_cvt_f32_f16_e32 v77, v77
	v_add_f32_e32 v77, v77, v82
	s_delay_alu instid0(VALU_DEP_1) | instskip(SKIP_1) | instid1(VALU_DEP_1)
	v_fmac_f32_e32 v45, v77, v4
	v_pk_fma_f16 v77, v28, v78, 0
	v_pk_fma_f16 v77, v29, v79, v77
	s_delay_alu instid0(VALU_DEP_1) | instskip(NEXT) | instid1(VALU_DEP_1)
	v_pk_fma_f16 v77, v31, v80, v77
	v_pk_fma_f16 v77, v32, v81, v77
	s_delay_alu instid0(VALU_DEP_1) | instskip(SKIP_1) | instid1(VALU_DEP_1)
	v_cvt_f32_f16_e32 v82, v77
	v_lshrrev_b32_e32 v77, 16, v77
	v_cvt_f32_f16_e32 v77, v77
	s_delay_alu instid0(VALU_DEP_1) | instskip(NEXT) | instid1(VALU_DEP_1)
	v_add_f32_e32 v77, v77, v82
	v_fmac_f32_e32 v46, v77, v3
	v_pk_fma_f16 v77, v33, v78, 0
	s_delay_alu instid0(VALU_DEP_1) | instskip(NEXT) | instid1(VALU_DEP_1)
	v_pk_fma_f16 v77, v70, v79, v77
	v_pk_fma_f16 v77, v71, v80, v77
	s_delay_alu instid0(VALU_DEP_1) | instskip(NEXT) | instid1(VALU_DEP_1)
	v_pk_fma_f16 v77, v72, v81, v77
	v_cvt_f32_f16_e32 v82, v77
	v_lshrrev_b32_e32 v77, 16, v77
	s_delay_alu instid0(VALU_DEP_1) | instskip(NEXT) | instid1(VALU_DEP_1)
	v_cvt_f32_f16_e32 v77, v77
	v_add_f32_e32 v77, v77, v82
	s_delay_alu instid0(VALU_DEP_1) | instskip(SKIP_1) | instid1(VALU_DEP_1)
	v_fmac_f32_e32 v43, v77, v6
	v_pk_fma_f16 v77, v73, v78, 0
	v_pk_fma_f16 v77, v74, v79, v77
	s_delay_alu instid0(VALU_DEP_1) | instskip(NEXT) | instid1(VALU_DEP_1)
	v_pk_fma_f16 v77, v75, v80, v77
	v_pk_fma_f16 v77, v76, v81, v77
	s_delay_alu instid0(VALU_DEP_1) | instskip(SKIP_1) | instid1(VALU_DEP_1)
	v_cvt_f32_f16_e32 v78, v77
	v_lshrrev_b32_e32 v77, 16, v77
	v_cvt_f32_f16_e32 v77, v77
	s_delay_alu instid0(VALU_DEP_1) | instskip(NEXT) | instid1(VALU_DEP_1)
	v_add_f32_e32 v77, v77, v78
	v_dual_fmac_f32 v44, v77, v7 :: v_dual_mov_b32 v77, s13
	s_add_co_i32 s13, s19, 0x528
	s_delay_alu instid0(SALU_CYCLE_1)
	v_mov_b32_e32 v80, s13
	s_add_co_i32 s13, s19, 0x620
	ds_load_2addr_b32 v[78:79], v77 offset1:1
	ds_load_2addr_b32 v[80:81], v80 offset1:1
	s_wait_dscnt 0x1
	v_pk_fma_f16 v77, v25, v78, 0
	s_delay_alu instid0(VALU_DEP_1) | instskip(SKIP_1) | instid1(VALU_DEP_1)
	v_pk_fma_f16 v77, v24, v79, v77
	s_wait_dscnt 0x0
	;; [unrolled: 58-line block ×3, first 2 shown]
	v_pk_fma_f16 v77, v22, v80, v77
	s_delay_alu instid0(VALU_DEP_1) | instskip(NEXT) | instid1(VALU_DEP_1)
	v_pk_fma_f16 v77, v23, v81, v77
	v_cvt_f32_f16_e32 v82, v77
	v_lshrrev_b32_e32 v77, 16, v77
	s_delay_alu instid0(VALU_DEP_1) | instskip(NEXT) | instid1(VALU_DEP_1)
	v_cvt_f32_f16_e32 v77, v77
	v_add_f32_e32 v77, v77, v82
	s_delay_alu instid0(VALU_DEP_1) | instskip(SKIP_1) | instid1(VALU_DEP_1)
	v_fmac_f32_e32 v37, v77, v4
	v_pk_fma_f16 v77, v28, v78, 0
	v_pk_fma_f16 v77, v29, v79, v77
	s_delay_alu instid0(VALU_DEP_1) | instskip(NEXT) | instid1(VALU_DEP_1)
	v_pk_fma_f16 v77, v31, v80, v77
	v_pk_fma_f16 v77, v32, v81, v77
	s_delay_alu instid0(VALU_DEP_1) | instskip(SKIP_1) | instid1(VALU_DEP_1)
	v_cvt_f32_f16_e32 v82, v77
	v_lshrrev_b32_e32 v77, 16, v77
	v_cvt_f32_f16_e32 v77, v77
	s_delay_alu instid0(VALU_DEP_1) | instskip(NEXT) | instid1(VALU_DEP_1)
	v_add_f32_e32 v77, v77, v82
	v_fmac_f32_e32 v38, v77, v3
	v_pk_fma_f16 v77, v33, v78, 0
	s_delay_alu instid0(VALU_DEP_1) | instskip(NEXT) | instid1(VALU_DEP_1)
	v_pk_fma_f16 v77, v70, v79, v77
	v_pk_fma_f16 v77, v71, v80, v77
	s_delay_alu instid0(VALU_DEP_1) | instskip(NEXT) | instid1(VALU_DEP_1)
	v_pk_fma_f16 v77, v72, v81, v77
	v_cvt_f32_f16_e32 v82, v77
	v_lshrrev_b32_e32 v77, 16, v77
	s_delay_alu instid0(VALU_DEP_1) | instskip(NEXT) | instid1(VALU_DEP_1)
	v_cvt_f32_f16_e32 v77, v77
	v_add_f32_e32 v77, v77, v82
	s_delay_alu instid0(VALU_DEP_1) | instskip(SKIP_1) | instid1(VALU_DEP_1)
	v_fmac_f32_e32 v34, v77, v6
	v_pk_fma_f16 v77, v73, v78, 0
	v_pk_fma_f16 v77, v74, v79, v77
	s_delay_alu instid0(VALU_DEP_1) | instskip(NEXT) | instid1(VALU_DEP_1)
	v_pk_fma_f16 v77, v75, v80, v77
	v_pk_fma_f16 v77, v76, v81, v77
	s_delay_alu instid0(VALU_DEP_1) | instskip(SKIP_1) | instid1(VALU_DEP_1)
	v_cvt_f32_f16_e32 v78, v77
	v_lshrrev_b32_e32 v77, 16, v77
	v_cvt_f32_f16_e32 v77, v77
	s_delay_alu instid0(VALU_DEP_1) | instskip(NEXT) | instid1(VALU_DEP_1)
	v_add_f32_e32 v77, v77, v78
	v_dual_fmac_f32 v35, v77, v7 :: v_dual_mov_b32 v77, s13
	s_add_co_i32 s13, s19, 0x728
	ds_load_2addr_b32 v[78:79], v77 offset1:1
	s_wait_dscnt 0x0
	v_pk_fma_f16 v25, v25, v78, 0
	s_delay_alu instid0(VALU_DEP_1)
	v_pk_fma_f16 v24, v24, v79, v25
	v_mov_b32_e32 v25, s13
	s_add_co_i32 s13, s19, 0x430
	ds_load_2addr_b32 v[80:81], v25 offset1:1
	s_wait_dscnt 0x0
	v_pk_fma_f16 v22, v22, v80, v24
	s_delay_alu instid0(VALU_DEP_1) | instskip(NEXT) | instid1(VALU_DEP_1)
	v_pk_fma_f16 v22, v23, v81, v22
	v_cvt_f32_f16_e32 v23, v22
	v_lshrrev_b32_e32 v22, 16, v22
	s_delay_alu instid0(VALU_DEP_1) | instskip(NEXT) | instid1(VALU_DEP_1)
	v_cvt_f32_f16_e32 v22, v22
	v_add_f32_e32 v22, v22, v23
	s_delay_alu instid0(VALU_DEP_1) | instskip(SKIP_1) | instid1(VALU_DEP_1)
	v_fmac_f32_e32 v13, v22, v4
	v_pk_fma_f16 v22, v28, v78, 0
	v_pk_fma_f16 v22, v29, v79, v22
	global_load_b128 v[26:29], v[26:27], off
	v_pk_fma_f16 v22, v31, v80, v22
	s_delay_alu instid0(VALU_DEP_1) | instskip(NEXT) | instid1(VALU_DEP_1)
	v_pk_fma_f16 v22, v32, v81, v22
	v_cvt_f32_f16_e32 v23, v22
	v_lshrrev_b32_e32 v22, 16, v22
	s_delay_alu instid0(VALU_DEP_1) | instskip(NEXT) | instid1(VALU_DEP_1)
	v_cvt_f32_f16_e32 v22, v22
	v_add_f32_e32 v22, v22, v23
	s_delay_alu instid0(VALU_DEP_1) | instskip(SKIP_1) | instid1(VALU_DEP_1)
	v_fmac_f32_e32 v36, v22, v3
	v_pk_fma_f16 v22, v33, v78, 0
	v_pk_fma_f16 v22, v70, v79, v22
	s_delay_alu instid0(VALU_DEP_1) | instskip(NEXT) | instid1(VALU_DEP_1)
	v_pk_fma_f16 v22, v71, v80, v22
	v_pk_fma_f16 v23, v72, v81, v22
	s_delay_alu instid0(VALU_DEP_1) | instskip(SKIP_1) | instid1(VALU_DEP_1)
	v_cvt_f32_f16_e32 v22, v23
	v_lshrrev_b32_e32 v23, 16, v23
	v_cvt_f32_f16_e32 v24, v23
	v_pk_fma_f16 v23, v73, v78, 0
	s_delay_alu instid0(VALU_DEP_1) | instskip(NEXT) | instid1(VALU_DEP_1)
	v_pk_fma_f16 v23, v74, v79, v23
	v_pk_fma_f16 v23, v75, v80, v23
	s_delay_alu instid0(VALU_DEP_1) | instskip(NEXT) | instid1(VALU_DEP_1)
	v_pk_fma_f16 v23, v76, v81, v23
	v_lshrrev_b32_e32 v25, 16, v23
	v_cvt_f32_f16_e32 v23, v23
	s_delay_alu instid0(VALU_DEP_2) | instskip(NEXT) | instid1(VALU_DEP_1)
	v_cvt_f32_f16_e32 v25, v25
	v_pk_add_f32 v[14:15], v[22:23], v[24:25]
	s_delay_alu instid0(VALU_DEP_1) | instskip(SKIP_4) | instid1(VALU_DEP_3)
	v_pk_fma_f32 v[8:9], v[14:15], v[6:7], v[8:9]
	s_wait_loadcnt 0x0
	v_and_or_b32 v31, v26, s5, 0x64006400
	v_and_or_b32 v32, v26, s12, 0x64006400
	v_lshrrev_b32_e32 v26, 8, v26
	v_pk_add_f16 v84, v66, v31
	s_delay_alu instid0(VALU_DEP_3) | instskip(NEXT) | instid1(VALU_DEP_3)
	v_pk_fma_f16 v31, 0x2c00, v32, v10 op_sel_hi:[0,1,1]
	v_and_or_b32 v33, v26, s5, 0x64006400
	v_and_or_b32 v26, v26, s12, 0x64006400
	;; [unrolled: 1-line block ×3, first 2 shown]
	s_delay_alu instid0(VALU_DEP_3) | instskip(NEXT) | instid1(VALU_DEP_3)
	v_pk_add_f16 v82, v66, v33
	v_pk_fma_f16 v83, 0x2c00, v26, v10 op_sel_hi:[0,1,1]
	v_and_or_b32 v26, v27, s5, 0x64006400
	v_lshrrev_b32_e32 v27, 8, v27
	v_pk_fma_f16 v79, 0x2c00, v32, v5 op_sel_hi:[0,1,1]
	s_delay_alu instid0(VALU_DEP_3) | instskip(NEXT) | instid1(VALU_DEP_3)
	v_pk_add_f16 v78, v68, v26
	v_and_or_b32 v33, v27, s5, 0x64006400
	v_and_or_b32 v27, v27, s12, 0x64006400
	;; [unrolled: 1-line block ×3, first 2 shown]
	s_delay_alu instid0(VALU_DEP_3) | instskip(NEXT) | instid1(VALU_DEP_3)
	v_pk_add_f16 v80, v68, v33
	v_pk_fma_f16 v81, 0x2c00, v27, v5 op_sel_hi:[0,1,1]
	v_and_or_b32 v27, v28, s12, 0x64006400
	s_delay_alu instid0(VALU_DEP_4) | instskip(SKIP_2) | instid1(VALU_DEP_4)
	v_pk_add_f16 v74, v67, v26
	v_and_or_b32 v26, v29, s5, 0x64006400
	v_lshrrev_b32_e32 v28, 8, v28
	v_pk_fma_f16 v75, 0x2c00, v27, v12 op_sel_hi:[0,1,1]
	v_and_or_b32 v27, v29, s12, 0x64006400
	s_delay_alu instid0(VALU_DEP_4) | instskip(NEXT) | instid1(VALU_DEP_4)
	v_pk_add_f16 v73, v69, v26
	v_and_or_b32 v32, v28, s5, 0x64006400
	v_and_or_b32 v28, v28, s12, 0x64006400
	s_delay_alu instid0(VALU_DEP_4) | instskip(SKIP_4) | instid1(VALU_DEP_1)
	v_pk_fma_f16 v72, 0x2c00, v27, v11 op_sel_hi:[0,1,1]
	ds_load_2addr_b32 v[26:27], v30 offset0:12 offset1:13
	v_pk_add_f16 v76, v67, v32
	v_pk_fma_f16 v77, 0x2c00, v28, v12 op_sel_hi:[0,1,1]
	v_lshrrev_b32_e32 v28, 8, v29
	v_and_or_b32 v29, v28, s5, 0x64006400
	v_and_or_b32 v28, v28, s12, 0x64006400
	s_delay_alu instid0(VALU_DEP_2) | instskip(NEXT) | instid1(VALU_DEP_2)
	v_pk_add_f16 v71, v69, v29
	v_pk_fma_f16 v70, 0x2c00, v28, v11 op_sel_hi:[0,1,1]
	s_wait_dscnt 0x0
	v_pk_fma_f16 v28, v84, v26, 0
	s_delay_alu instid0(VALU_DEP_1) | instskip(SKIP_3) | instid1(VALU_DEP_1)
	v_pk_fma_f16 v32, v31, v27, v28
	ds_load_2addr_b32 v[28:29], v30 offset0:14 offset1:15
	s_wait_dscnt 0x0
	v_pk_fma_f16 v32, v82, v28, v32
	v_pk_fma_f16 v32, v83, v29, v32
	s_delay_alu instid0(VALU_DEP_1) | instskip(SKIP_1) | instid1(VALU_DEP_1)
	v_cvt_f32_f16_e32 v33, v32
	v_lshrrev_b32_e32 v32, 16, v32
	v_cvt_f32_f16_e32 v32, v32
	s_delay_alu instid0(VALU_DEP_1) | instskip(NEXT) | instid1(VALU_DEP_1)
	v_add_f32_e32 v32, v32, v33
	v_fmac_f32_e32 v62, v32, v4
	v_pk_fma_f16 v32, v78, v26, 0
	s_delay_alu instid0(VALU_DEP_1) | instskip(NEXT) | instid1(VALU_DEP_1)
	v_pk_fma_f16 v32, v79, v27, v32
	v_pk_fma_f16 v32, v80, v28, v32
	s_delay_alu instid0(VALU_DEP_1) | instskip(NEXT) | instid1(VALU_DEP_1)
	v_pk_fma_f16 v32, v81, v29, v32
	v_cvt_f32_f16_e32 v33, v32
	v_lshrrev_b32_e32 v32, 16, v32
	s_delay_alu instid0(VALU_DEP_1) | instskip(NEXT) | instid1(VALU_DEP_1)
	v_cvt_f32_f16_e32 v32, v32
	v_add_f32_e32 v32, v32, v33
	s_delay_alu instid0(VALU_DEP_1) | instskip(SKIP_2) | instid1(VALU_DEP_2)
	v_fmac_f32_e32 v63, v32, v3
	v_pk_fma_f16 v32, v74, v26, 0
	v_pk_fma_f16 v26, v73, v26, 0
	;; [unrolled: 1-line block ×3, first 2 shown]
	s_delay_alu instid0(VALU_DEP_2) | instskip(NEXT) | instid1(VALU_DEP_2)
	v_pk_fma_f16 v26, v72, v27, v26
	v_pk_fma_f16 v32, v76, v28, v32
	s_delay_alu instid0(VALU_DEP_2) | instskip(NEXT) | instid1(VALU_DEP_2)
	v_pk_fma_f16 v26, v71, v28, v26
	v_pk_fma_f16 v32, v77, v29, v32
	s_delay_alu instid0(VALU_DEP_2) | instskip(NEXT) | instid1(VALU_DEP_2)
	v_pk_fma_f16 v26, v70, v29, v26
	v_cvt_f32_f16_e32 v33, v32
	s_delay_alu instid0(VALU_DEP_2) | instskip(SKIP_1) | instid1(VALU_DEP_1)
	v_cvt_f32_f16_e32 v27, v26
	v_dual_lshrrev_b32 v26, 16, v26 :: v_dual_lshrrev_b32 v32, 16, v32
	v_cvt_f32_f16_e32 v26, v26
	s_delay_alu instid0(VALU_DEP_2) | instskip(NEXT) | instid1(VALU_DEP_1)
	v_cvt_f32_f16_e32 v32, v32
	v_dual_add_f32 v26, v26, v27 :: v_dual_add_f32 v32, v32, v33
	s_delay_alu instid0(VALU_DEP_1) | instskip(SKIP_4) | instid1(VALU_DEP_1)
	v_fmac_f32_e32 v60, v26, v7
	ds_load_2addr_b32 v[26:27], v30 offset0:76 offset1:77
	v_fmac_f32_e32 v59, v32, v6
	s_wait_dscnt 0x0
	v_pk_fma_f16 v28, v84, v26, 0
	v_pk_fma_f16 v32, v31, v27, v28
	ds_load_2addr_b32 v[28:29], v30 offset0:78 offset1:79
	s_wait_dscnt 0x0
	v_pk_fma_f16 v32, v82, v28, v32
	s_delay_alu instid0(VALU_DEP_1) | instskip(NEXT) | instid1(VALU_DEP_1)
	v_pk_fma_f16 v32, v83, v29, v32
	v_cvt_f32_f16_e32 v33, v32
	v_lshrrev_b32_e32 v32, 16, v32
	s_delay_alu instid0(VALU_DEP_1) | instskip(NEXT) | instid1(VALU_DEP_1)
	v_cvt_f32_f16_e32 v32, v32
	v_add_f32_e32 v32, v32, v33
	s_delay_alu instid0(VALU_DEP_1) | instskip(SKIP_1) | instid1(VALU_DEP_1)
	v_fmac_f32_e32 v57, v32, v4
	v_pk_fma_f16 v32, v78, v26, 0
	v_pk_fma_f16 v32, v79, v27, v32
	s_delay_alu instid0(VALU_DEP_1) | instskip(NEXT) | instid1(VALU_DEP_1)
	v_pk_fma_f16 v32, v80, v28, v32
	v_pk_fma_f16 v32, v81, v29, v32
	s_delay_alu instid0(VALU_DEP_1) | instskip(SKIP_1) | instid1(VALU_DEP_1)
	v_cvt_f32_f16_e32 v33, v32
	v_lshrrev_b32_e32 v32, 16, v32
	v_cvt_f32_f16_e32 v32, v32
	s_delay_alu instid0(VALU_DEP_1) | instskip(NEXT) | instid1(VALU_DEP_1)
	v_add_f32_e32 v32, v32, v33
	v_fmac_f32_e32 v58, v32, v3
	v_pk_fma_f16 v32, v74, v26, 0
	v_pk_fma_f16 v26, v73, v26, 0
	s_delay_alu instid0(VALU_DEP_2) | instskip(NEXT) | instid1(VALU_DEP_2)
	v_pk_fma_f16 v32, v75, v27, v32
	v_pk_fma_f16 v26, v72, v27, v26
	s_delay_alu instid0(VALU_DEP_2) | instskip(NEXT) | instid1(VALU_DEP_2)
	;; [unrolled: 3-line block ×3, first 2 shown]
	v_pk_fma_f16 v32, v77, v29, v32
	v_pk_fma_f16 v26, v70, v29, v26
	s_delay_alu instid0(VALU_DEP_2) | instskip(SKIP_1) | instid1(VALU_DEP_3)
	v_cvt_f32_f16_e32 v33, v32
	v_lshrrev_b32_e32 v32, 16, v32
	v_cvt_f32_f16_e32 v27, v26
	v_lshrrev_b32_e32 v26, 16, v26
	s_delay_alu instid0(VALU_DEP_3) | instskip(NEXT) | instid1(VALU_DEP_2)
	v_cvt_f32_f16_e32 v32, v32
	v_cvt_f32_f16_e32 v26, v26
	s_delay_alu instid0(VALU_DEP_1) | instskip(NEXT) | instid1(VALU_DEP_1)
	v_dual_add_f32 v32, v32, v33 :: v_dual_add_f32 v26, v26, v27
	v_dual_fmac_f32 v55, v32, v6 :: v_dual_fmac_f32 v56, v26, v7
	ds_load_2addr_b32 v[26:27], v30 offset0:140 offset1:141
	s_wait_dscnt 0x0
	v_pk_fma_f16 v28, v84, v26, 0
	s_delay_alu instid0(VALU_DEP_1) | instskip(SKIP_3) | instid1(VALU_DEP_1)
	v_pk_fma_f16 v32, v31, v27, v28
	ds_load_2addr_b32 v[28:29], v30 offset0:142 offset1:143
	s_wait_dscnt 0x0
	v_pk_fma_f16 v32, v82, v28, v32
	v_pk_fma_f16 v32, v83, v29, v32
	s_delay_alu instid0(VALU_DEP_1) | instskip(SKIP_1) | instid1(VALU_DEP_1)
	v_cvt_f32_f16_e32 v33, v32
	v_lshrrev_b32_e32 v32, 16, v32
	v_cvt_f32_f16_e32 v32, v32
	s_delay_alu instid0(VALU_DEP_1) | instskip(NEXT) | instid1(VALU_DEP_1)
	v_add_f32_e32 v32, v32, v33
	v_fmac_f32_e32 v53, v32, v4
	v_pk_fma_f16 v32, v78, v26, 0
	s_delay_alu instid0(VALU_DEP_1) | instskip(NEXT) | instid1(VALU_DEP_1)
	v_pk_fma_f16 v32, v79, v27, v32
	v_pk_fma_f16 v32, v80, v28, v32
	s_delay_alu instid0(VALU_DEP_1) | instskip(NEXT) | instid1(VALU_DEP_1)
	v_pk_fma_f16 v32, v81, v29, v32
	v_cvt_f32_f16_e32 v33, v32
	v_lshrrev_b32_e32 v32, 16, v32
	s_delay_alu instid0(VALU_DEP_1) | instskip(NEXT) | instid1(VALU_DEP_1)
	v_cvt_f32_f16_e32 v32, v32
	v_add_f32_e32 v32, v32, v33
	s_delay_alu instid0(VALU_DEP_1) | instskip(SKIP_2) | instid1(VALU_DEP_2)
	v_fmac_f32_e32 v54, v32, v3
	v_pk_fma_f16 v32, v74, v26, 0
	v_pk_fma_f16 v26, v73, v26, 0
	;; [unrolled: 1-line block ×3, first 2 shown]
	s_delay_alu instid0(VALU_DEP_2) | instskip(NEXT) | instid1(VALU_DEP_2)
	v_pk_fma_f16 v26, v72, v27, v26
	v_pk_fma_f16 v32, v76, v28, v32
	s_delay_alu instid0(VALU_DEP_2) | instskip(NEXT) | instid1(VALU_DEP_2)
	v_pk_fma_f16 v26, v71, v28, v26
	v_pk_fma_f16 v32, v77, v29, v32
	s_delay_alu instid0(VALU_DEP_2) | instskip(SKIP_4) | instid1(VALU_DEP_1)
	v_pk_fma_f16 v26, v70, v29, v26
	ds_load_2addr_b32 v[28:29], v30 offset0:204 offset1:205
	v_cvt_f32_f16_e32 v33, v32
	v_cvt_f32_f16_e32 v27, v26
	v_dual_lshrrev_b32 v26, 16, v26 :: v_dual_lshrrev_b32 v32, 16, v32
	v_cvt_f32_f16_e32 v26, v26
	s_delay_alu instid0(VALU_DEP_2) | instskip(NEXT) | instid1(VALU_DEP_1)
	v_cvt_f32_f16_e32 v32, v32
	v_dual_add_f32 v26, v26, v27 :: v_dual_add_f32 v32, v32, v33
	s_delay_alu instid0(VALU_DEP_1) | instskip(SKIP_2) | instid1(VALU_DEP_3)
	v_fmac_f32_e32 v52, v26, v7
	s_wait_dscnt 0x0
	v_pk_fma_f16 v26, v84, v28, 0
	v_fmac_f32_e32 v51, v32, v6
	s_delay_alu instid0(VALU_DEP_2) | instskip(SKIP_3) | instid1(VALU_DEP_1)
	v_pk_fma_f16 v32, v31, v29, v26
	ds_load_2addr_b32 v[26:27], v30 offset0:206 offset1:207
	s_wait_dscnt 0x0
	v_pk_fma_f16 v30, v82, v26, v32
	v_pk_fma_f16 v30, v83, v27, v30
	s_delay_alu instid0(VALU_DEP_1) | instskip(SKIP_1) | instid1(VALU_DEP_1)
	v_cvt_f32_f16_e32 v32, v30
	v_lshrrev_b32_e32 v30, 16, v30
	v_cvt_f32_f16_e32 v30, v30
	s_delay_alu instid0(VALU_DEP_1) | instskip(NEXT) | instid1(VALU_DEP_1)
	v_add_f32_e32 v30, v30, v32
	v_fmac_f32_e32 v49, v30, v4
	v_pk_fma_f16 v30, v78, v28, 0
	s_delay_alu instid0(VALU_DEP_1) | instskip(NEXT) | instid1(VALU_DEP_1)
	v_pk_fma_f16 v30, v79, v29, v30
	v_pk_fma_f16 v30, v80, v26, v30
	s_delay_alu instid0(VALU_DEP_1) | instskip(NEXT) | instid1(VALU_DEP_1)
	v_pk_fma_f16 v30, v81, v27, v30
	v_cvt_f32_f16_e32 v32, v30
	v_lshrrev_b32_e32 v30, 16, v30
	s_delay_alu instid0(VALU_DEP_1) | instskip(NEXT) | instid1(VALU_DEP_1)
	v_cvt_f32_f16_e32 v30, v30
	v_add_f32_e32 v30, v30, v32
	s_delay_alu instid0(VALU_DEP_1) | instskip(SKIP_2) | instid1(VALU_DEP_2)
	v_fmac_f32_e32 v50, v30, v3
	v_pk_fma_f16 v30, v74, v28, 0
	v_pk_fma_f16 v28, v73, v28, 0
	;; [unrolled: 1-line block ×3, first 2 shown]
	s_delay_alu instid0(VALU_DEP_2) | instskip(NEXT) | instid1(VALU_DEP_2)
	v_pk_fma_f16 v28, v72, v29, v28
	v_pk_fma_f16 v30, v76, v26, v30
	s_delay_alu instid0(VALU_DEP_2) | instskip(NEXT) | instid1(VALU_DEP_2)
	v_pk_fma_f16 v26, v71, v26, v28
	v_pk_fma_f16 v30, v77, v27, v30
	s_delay_alu instid0(VALU_DEP_2) | instskip(NEXT) | instid1(VALU_DEP_2)
	v_pk_fma_f16 v26, v70, v27, v26
	v_cvt_f32_f16_e32 v32, v30
	s_delay_alu instid0(VALU_DEP_2) | instskip(SKIP_2) | instid1(VALU_DEP_2)
	v_cvt_f32_f16_e32 v27, v26
	v_lshrrev_b32_e32 v26, 16, v26
	v_lshrrev_b32_e32 v30, 16, v30
	v_cvt_f32_f16_e32 v26, v26
	s_delay_alu instid0(VALU_DEP_2) | instskip(NEXT) | instid1(VALU_DEP_2)
	v_cvt_f32_f16_e32 v30, v30
	v_add_f32_e32 v26, v26, v27
	s_delay_alu instid0(VALU_DEP_2) | instskip(NEXT) | instid1(VALU_DEP_2)
	v_add_f32_e32 v30, v30, v32
	v_dual_fmac_f32 v48, v26, v7 :: v_dual_mov_b32 v26, s13
	s_add_co_i32 s13, s19, 0x438
	s_delay_alu instid0(VALU_DEP_2) | instskip(SKIP_3) | instid1(VALU_DEP_1)
	v_fmac_f32_e32 v47, v30, v6
	ds_load_2addr_b32 v[26:27], v26 offset1:1
	s_wait_dscnt 0x0
	v_pk_fma_f16 v28, v84, v26, 0
	v_pk_fma_f16 v30, v31, v27, v28
	v_mov_b32_e32 v28, s13
	s_add_co_i32 s13, s19, 0x530
	ds_load_2addr_b32 v[28:29], v28 offset1:1
	s_wait_dscnt 0x0
	v_pk_fma_f16 v30, v82, v28, v30
	s_delay_alu instid0(VALU_DEP_1) | instskip(NEXT) | instid1(VALU_DEP_1)
	v_pk_fma_f16 v30, v83, v29, v30
	v_cvt_f32_f16_e32 v32, v30
	v_lshrrev_b32_e32 v30, 16, v30
	s_delay_alu instid0(VALU_DEP_1) | instskip(NEXT) | instid1(VALU_DEP_1)
	v_cvt_f32_f16_e32 v30, v30
	v_add_f32_e32 v30, v30, v32
	s_delay_alu instid0(VALU_DEP_1) | instskip(SKIP_1) | instid1(VALU_DEP_1)
	v_fmac_f32_e32 v45, v30, v4
	v_pk_fma_f16 v30, v78, v26, 0
	v_pk_fma_f16 v30, v79, v27, v30
	s_delay_alu instid0(VALU_DEP_1) | instskip(NEXT) | instid1(VALU_DEP_1)
	v_pk_fma_f16 v30, v80, v28, v30
	v_pk_fma_f16 v30, v81, v29, v30
	s_delay_alu instid0(VALU_DEP_1) | instskip(SKIP_1) | instid1(VALU_DEP_1)
	v_cvt_f32_f16_e32 v32, v30
	v_lshrrev_b32_e32 v30, 16, v30
	v_cvt_f32_f16_e32 v30, v30
	s_delay_alu instid0(VALU_DEP_1) | instskip(NEXT) | instid1(VALU_DEP_1)
	v_add_f32_e32 v30, v30, v32
	v_fmac_f32_e32 v46, v30, v3
	v_pk_fma_f16 v30, v74, v26, 0
	v_pk_fma_f16 v26, v73, v26, 0
	s_delay_alu instid0(VALU_DEP_2) | instskip(NEXT) | instid1(VALU_DEP_2)
	v_pk_fma_f16 v30, v75, v27, v30
	v_pk_fma_f16 v26, v72, v27, v26
	s_delay_alu instid0(VALU_DEP_2) | instskip(NEXT) | instid1(VALU_DEP_2)
	;; [unrolled: 3-line block ×4, first 2 shown]
	v_cvt_f32_f16_e32 v32, v30
	v_cvt_f32_f16_e32 v27, v26
	v_lshrrev_b32_e32 v26, 16, v26
	v_lshrrev_b32_e32 v30, 16, v30
	s_delay_alu instid0(VALU_DEP_2) | instskip(NEXT) | instid1(VALU_DEP_2)
	v_cvt_f32_f16_e32 v26, v26
	v_cvt_f32_f16_e32 v30, v30
	s_delay_alu instid0(VALU_DEP_2) | instskip(NEXT) | instid1(VALU_DEP_1)
	v_add_f32_e32 v26, v26, v27
	v_dual_fmac_f32 v44, v26, v7 :: v_dual_mov_b32 v26, s13
	s_add_co_i32 s13, s19, 0x538
	s_delay_alu instid0(VALU_DEP_3) | instskip(SKIP_4) | instid1(VALU_DEP_1)
	v_add_f32_e32 v30, v30, v32
	ds_load_2addr_b32 v[26:27], v26 offset1:1
	v_fmac_f32_e32 v43, v30, v6
	s_wait_dscnt 0x0
	v_pk_fma_f16 v28, v84, v26, 0
	v_pk_fma_f16 v30, v31, v27, v28
	v_mov_b32_e32 v28, s13
	s_add_co_i32 s13, s19, 0x630
	ds_load_2addr_b32 v[28:29], v28 offset1:1
	s_wait_dscnt 0x0
	v_pk_fma_f16 v30, v82, v28, v30
	s_delay_alu instid0(VALU_DEP_1) | instskip(NEXT) | instid1(VALU_DEP_1)
	v_pk_fma_f16 v30, v83, v29, v30
	v_cvt_f32_f16_e32 v32, v30
	v_lshrrev_b32_e32 v30, 16, v30
	s_delay_alu instid0(VALU_DEP_1) | instskip(NEXT) | instid1(VALU_DEP_1)
	v_cvt_f32_f16_e32 v30, v30
	v_add_f32_e32 v30, v30, v32
	s_delay_alu instid0(VALU_DEP_1) | instskip(SKIP_1) | instid1(VALU_DEP_1)
	v_fmac_f32_e32 v41, v30, v4
	v_pk_fma_f16 v30, v78, v26, 0
	v_pk_fma_f16 v30, v79, v27, v30
	s_delay_alu instid0(VALU_DEP_1) | instskip(NEXT) | instid1(VALU_DEP_1)
	v_pk_fma_f16 v30, v80, v28, v30
	v_pk_fma_f16 v30, v81, v29, v30
	s_delay_alu instid0(VALU_DEP_1) | instskip(SKIP_1) | instid1(VALU_DEP_1)
	v_cvt_f32_f16_e32 v32, v30
	v_lshrrev_b32_e32 v30, 16, v30
	v_cvt_f32_f16_e32 v30, v30
	s_delay_alu instid0(VALU_DEP_1) | instskip(NEXT) | instid1(VALU_DEP_1)
	v_add_f32_e32 v30, v30, v32
	v_fmac_f32_e32 v42, v30, v3
	v_pk_fma_f16 v30, v74, v26, 0
	v_pk_fma_f16 v26, v73, v26, 0
	s_delay_alu instid0(VALU_DEP_2) | instskip(NEXT) | instid1(VALU_DEP_2)
	v_pk_fma_f16 v30, v75, v27, v30
	v_pk_fma_f16 v26, v72, v27, v26
	s_delay_alu instid0(VALU_DEP_2) | instskip(NEXT) | instid1(VALU_DEP_2)
	;; [unrolled: 3-line block ×4, first 2 shown]
	v_cvt_f32_f16_e32 v32, v30
	v_cvt_f32_f16_e32 v27, v26
	v_lshrrev_b32_e32 v26, 16, v26
	s_delay_alu instid0(VALU_DEP_1) | instskip(NEXT) | instid1(VALU_DEP_1)
	v_cvt_f32_f16_e32 v26, v26
	v_dual_lshrrev_b32 v30, 16, v30 :: v_dual_add_f32 v26, v26, v27
	s_delay_alu instid0(VALU_DEP_1) | instskip(NEXT) | instid1(VALU_DEP_2)
	v_cvt_f32_f16_e32 v30, v30
	v_fmac_f32_e32 v39, v26, v7
	s_delay_alu instid0(VALU_DEP_2) | instskip(SKIP_1) | instid1(VALU_DEP_1)
	v_dual_add_f32 v30, v30, v32 :: v_dual_mov_b32 v26, s13
	s_add_co_i32 s13, s19, 0x638
	v_fmac_f32_e32 v40, v30, v6
	ds_load_2addr_b32 v[26:27], v26 offset1:1
	s_wait_dscnt 0x0
	v_pk_fma_f16 v28, v84, v26, 0
	s_delay_alu instid0(VALU_DEP_1)
	v_pk_fma_f16 v30, v31, v27, v28
	v_mov_b32_e32 v28, s13
	s_add_co_i32 s13, s19, 0x730
	ds_load_2addr_b32 v[28:29], v28 offset1:1
	s_wait_dscnt 0x0
	v_pk_fma_f16 v30, v82, v28, v30
	s_delay_alu instid0(VALU_DEP_1) | instskip(NEXT) | instid1(VALU_DEP_1)
	v_pk_fma_f16 v30, v83, v29, v30
	v_cvt_f32_f16_e32 v32, v30
	v_lshrrev_b32_e32 v30, 16, v30
	s_delay_alu instid0(VALU_DEP_1) | instskip(NEXT) | instid1(VALU_DEP_1)
	v_cvt_f32_f16_e32 v30, v30
	v_add_f32_e32 v30, v30, v32
	s_delay_alu instid0(VALU_DEP_1) | instskip(SKIP_1) | instid1(VALU_DEP_1)
	v_fmac_f32_e32 v37, v30, v4
	v_pk_fma_f16 v30, v78, v26, 0
	v_pk_fma_f16 v30, v79, v27, v30
	s_delay_alu instid0(VALU_DEP_1) | instskip(NEXT) | instid1(VALU_DEP_1)
	v_pk_fma_f16 v30, v80, v28, v30
	v_pk_fma_f16 v30, v81, v29, v30
	s_delay_alu instid0(VALU_DEP_1) | instskip(SKIP_1) | instid1(VALU_DEP_1)
	v_cvt_f32_f16_e32 v32, v30
	v_lshrrev_b32_e32 v30, 16, v30
	v_cvt_f32_f16_e32 v30, v30
	s_delay_alu instid0(VALU_DEP_1) | instskip(NEXT) | instid1(VALU_DEP_1)
	v_add_f32_e32 v30, v30, v32
	v_fmac_f32_e32 v38, v30, v3
	v_pk_fma_f16 v30, v74, v26, 0
	v_pk_fma_f16 v26, v73, v26, 0
	s_delay_alu instid0(VALU_DEP_2) | instskip(NEXT) | instid1(VALU_DEP_2)
	v_pk_fma_f16 v30, v75, v27, v30
	v_pk_fma_f16 v26, v72, v27, v26
	s_delay_alu instid0(VALU_DEP_2) | instskip(NEXT) | instid1(VALU_DEP_2)
	;; [unrolled: 3-line block ×4, first 2 shown]
	v_cvt_f32_f16_e32 v32, v30
	v_cvt_f32_f16_e32 v27, v26
	v_lshrrev_b32_e32 v26, 16, v26
	v_lshrrev_b32_e32 v30, 16, v30
	s_delay_alu instid0(VALU_DEP_2) | instskip(NEXT) | instid1(VALU_DEP_2)
	v_cvt_f32_f16_e32 v26, v26
	v_cvt_f32_f16_e32 v30, v30
	s_delay_alu instid0(VALU_DEP_2) | instskip(NEXT) | instid1(VALU_DEP_1)
	v_add_f32_e32 v26, v26, v27
	v_dual_fmac_f32 v35, v26, v7 :: v_dual_mov_b32 v26, s13
	s_add_co_i32 s13, s19, 0x738
	s_delay_alu instid0(VALU_DEP_3) | instid1(SALU_CYCLE_1)
	v_dual_add_f32 v30, v30, v32 :: v_dual_mov_b32 v27, s13
	s_add_co_i32 s19, s19, 64
	ds_load_2addr_b32 v[32:33], v26 offset1:1
	s_cmp_ge_i32 s15, s16
	v_fmac_f32_e32 v34, v30, v6
	s_wait_dscnt 0x0
	v_pk_fma_f16 v26, v84, v32, 0
	s_delay_alu instid0(VALU_DEP_1) | instskip(SKIP_3) | instid1(VALU_DEP_1)
	v_pk_fma_f16 v26, v31, v33, v26
	ds_load_2addr_b32 v[30:31], v27 offset1:1
	s_wait_dscnt 0x0
	v_pk_fma_f16 v26, v82, v30, v26
	v_pk_fma_f16 v26, v83, v31, v26
	s_delay_alu instid0(VALU_DEP_1) | instskip(SKIP_1) | instid1(VALU_DEP_1)
	v_cvt_f32_f16_e32 v27, v26
	v_lshrrev_b32_e32 v26, 16, v26
	v_cvt_f32_f16_e32 v26, v26
	s_delay_alu instid0(VALU_DEP_1) | instskip(NEXT) | instid1(VALU_DEP_1)
	v_add_f32_e32 v26, v26, v27
	v_fmac_f32_e32 v13, v26, v4
	v_pk_fma_f16 v26, v78, v32, 0
	s_delay_alu instid0(VALU_DEP_1) | instskip(NEXT) | instid1(VALU_DEP_1)
	v_pk_fma_f16 v26, v79, v33, v26
	v_pk_fma_f16 v26, v80, v30, v26
	s_delay_alu instid0(VALU_DEP_1) | instskip(NEXT) | instid1(VALU_DEP_1)
	v_pk_fma_f16 v26, v81, v31, v26
	v_cvt_f32_f16_e32 v27, v26
	v_lshrrev_b32_e32 v26, 16, v26
	s_delay_alu instid0(VALU_DEP_1) | instskip(NEXT) | instid1(VALU_DEP_1)
	v_cvt_f32_f16_e32 v26, v26
	v_add_f32_e32 v26, v26, v27
	s_delay_alu instid0(VALU_DEP_1) | instskip(SKIP_1) | instid1(VALU_DEP_1)
	v_fmac_f32_e32 v36, v26, v3
	v_pk_fma_f16 v26, v74, v32, 0
	v_pk_fma_f16 v26, v75, v33, v26
	s_delay_alu instid0(VALU_DEP_1) | instskip(NEXT) | instid1(VALU_DEP_1)
	v_pk_fma_f16 v26, v76, v30, v26
	v_pk_fma_f16 v27, v77, v31, v26
	s_delay_alu instid0(VALU_DEP_1) | instskip(SKIP_1) | instid1(VALU_DEP_1)
	v_cvt_f32_f16_e32 v26, v27
	v_lshrrev_b32_e32 v27, 16, v27
	v_cvt_f32_f16_e32 v28, v27
	v_pk_fma_f16 v27, v73, v32, 0
	s_delay_alu instid0(VALU_DEP_1) | instskip(NEXT) | instid1(VALU_DEP_1)
	v_pk_fma_f16 v27, v72, v33, v27
	v_pk_fma_f16 v27, v71, v30, v27
	s_delay_alu instid0(VALU_DEP_1) | instskip(NEXT) | instid1(VALU_DEP_1)
	v_pk_fma_f16 v27, v70, v31, v27
	v_lshrrev_b32_e32 v29, 16, v27
	v_cvt_f32_f16_e32 v27, v27
	s_delay_alu instid0(VALU_DEP_2) | instskip(NEXT) | instid1(VALU_DEP_1)
	v_cvt_f32_f16_e32 v29, v29
	v_pk_add_f32 v[14:15], v[26:27], v[28:29]
	s_delay_alu instid0(VALU_DEP_1)
	v_pk_fma_f32 v[8:9], v[14:15], v[6:7], v[8:9]
	s_cbranch_scc1 .LBB45_24
.LBB45_22:                              ; =>This Inner Loop Header: Depth=1
	s_cmp_lg_u32 s15, s21
	s_cbranch_scc1 .LBB45_21
; %bb.23:                               ;   in Loop: Header=BB45_22 Depth=1
	s_add_co_i32 s18, s18, 1
	s_add_co_i32 s21, s21, s17
	s_mul_i32 s13, s18, s4
	s_delay_alu instid0(SALU_CYCLE_1) | instskip(SKIP_2) | instid1(SALU_CYCLE_1)
	s_ashr_i32 s22, s13, 31
	v_add_nc_u32_e32 v4, s13, v2
	s_lshr_b32 s22, s22, 29
	s_add_co_i32 s22, s13, s22
	s_delay_alu instid0(SALU_CYCLE_1) | instskip(NEXT) | instid1(SALU_CYCLE_1)
	s_ashr_i32 s22, s22, 3
	v_add_nc_u32_e32 v3, s22, v61
	global_load_b32 v3, v3, s[2:3] scale_offset
	s_wait_loadcnt 0x0
	v_dual_ashrrev_i32 v5, 31, v4 :: v_dual_lshrrev_b32 v3, v64, v3
	s_delay_alu instid0(VALU_DEP_1) | instskip(NEXT) | instid1(VALU_DEP_2)
	v_lshl_add_u64 v[4:5], v[4:5], 1, s[8:9]
	v_lshrrev_b32_e32 v10, 8, v3
	global_load_b64 v[6:7], v[4:5], off
	s_wait_xcnt 0x0
	v_dual_lshrrev_b32 v4, 4, v3 :: v_dual_lshrrev_b32 v5, 12, v3
	v_and_b32_e32 v3, 15, v3
	s_delay_alu instid0(VALU_DEP_2) | instskip(NEXT) | instid1(VALU_DEP_3)
	v_and_b32_e32 v4, 15, v4
	v_and_b32_e32 v5, 15, v5
	s_delay_alu instid0(VALU_DEP_3) | instskip(NEXT) | instid1(VALU_DEP_3)
	v_dual_add_nc_u32 v11, v3, v65 :: v_dual_bitop2_b32 v10, 15, v10 bitop3:0x40
	v_add_nc_u32_e32 v12, v4, v65
	s_delay_alu instid0(VALU_DEP_2) | instskip(SKIP_1) | instid1(VALU_DEP_4)
	v_cvt_f32_ubyte0_e32 v3, v11
	v_mad_u32_u24 v66, v11, s20, 0xe400e400
	v_add_nc_u32_e32 v10, v10, v65
	s_delay_alu instid0(VALU_DEP_4) | instskip(SKIP_1) | instid1(VALU_DEP_3)
	v_cvt_f32_ubyte0_e32 v14, v12
	v_mad_u32_u24 v68, v12, s20, 0xe400e400
	v_cvt_f32_ubyte0_e32 v16, v10
	s_delay_alu instid0(VALU_DEP_3) | instskip(SKIP_1) | instid1(VALU_DEP_2)
	v_cvt_pk_f16_f32 v14, v3, v14
	v_mad_u32_u24 v67, v10, s20, 0xe400e400
	v_pk_add_f16 v14, 0xd400, v14 op_sel_hi:[0,1] neg_lo:[0,1] neg_hi:[0,1]
	s_delay_alu instid0(VALU_DEP_1) | instskip(SKIP_1) | instid1(VALU_DEP_2)
	v_and_b32_e32 v10, 0xffff, v14
	v_lshrrev_b32_e32 v12, 16, v14
	v_mul_u32_u24_e32 v10, 0x10001, v10
	s_wait_loadcnt 0x0
	v_dual_lshrrev_b32 v17, 16, v6 :: v_dual_add_nc_u32 v5, v5, v65
	v_lshrrev_b32_e32 v18, 16, v7
	v_cvt_f32_f16_e32 v4, v6
	v_cvt_f32_f16_e32 v6, v7
	s_delay_alu instid0(VALU_DEP_4) | instskip(SKIP_4) | instid1(VALU_DEP_4)
	v_cvt_f32_f16_e32 v3, v17
	v_cvt_f32_ubyte0_e32 v15, v5
	v_cvt_f32_f16_e32 v7, v18
	v_mad_u32_u24 v69, v5, s20, 0xe400e400
	v_mul_u32_u24_e32 v5, 0x10001, v12
	v_cvt_pk_f16_f32 v15, v16, v15
	s_delay_alu instid0(VALU_DEP_1) | instskip(NEXT) | instid1(VALU_DEP_1)
	v_pk_add_f16 v11, 0xd400, v15 op_sel_hi:[0,1] neg_lo:[0,1] neg_hi:[0,1]
	v_and_b32_e32 v14, 0xffff, v11
	v_lshrrev_b32_e32 v11, 16, v11
	s_delay_alu instid0(VALU_DEP_2) | instskip(NEXT) | instid1(VALU_DEP_2)
	v_mul_u32_u24_e32 v12, 0x10001, v14
	v_mul_u32_u24_e32 v11, 0x10001, v11
	s_branch .LBB45_21
.LBB45_24:
	v_mad_u32 v0, s14, s4, v2
	s_mov_b32 s0, 0
	s_delay_alu instid0(VALU_DEP_1) | instskip(SKIP_1) | instid1(VALU_DEP_1)
	v_ashrrev_i32_e32 v1, 31, v0
	s_wait_kmcnt 0x0
	v_lshl_add_u64 v[2:3], v[0:1], 1, s[10:11]
	v_cvt_pk_f16_f32 v1, v62, v63
	global_load_b32 v5, v[2:3], off
.LBB45_25:                              ; =>This Inner Loop Header: Depth=1
	s_wait_loadcnt 0x0
	v_pk_add_f16 v4, v1, v5
	global_atomic_cmpswap_b32 v4, v[2:3], v[4:5], off th:TH_ATOMIC_RETURN scope:SCOPE_DEV
	s_wait_loadcnt 0x0
	v_cmp_eq_u32_e32 vcc_lo, v5, v4
	v_mov_b32_e32 v5, v4
	s_or_b32 s0, vcc_lo, s0
	s_delay_alu instid0(SALU_CYCLE_1)
	s_and_not1_b32 exec_lo, exec_lo, s0
	s_cbranch_execnz .LBB45_25
; %bb.26:
	s_or_b32 exec_lo, exec_lo, s0
	global_load_b32 v5, v[2:3], off offset:4
	v_cvt_pk_f16_f32 v1, v59, v60
	s_mov_b32 s0, 0
.LBB45_27:                              ; =>This Inner Loop Header: Depth=1
	s_wait_loadcnt 0x0
	s_delay_alu instid0(VALU_DEP_1)
	v_pk_add_f16 v4, v1, v5
	global_atomic_cmpswap_b32 v4, v[2:3], v[4:5], off offset:4 th:TH_ATOMIC_RETURN scope:SCOPE_DEV
	s_wait_loadcnt 0x0
	v_cmp_eq_u32_e32 vcc_lo, v5, v4
	v_mov_b32_e32 v5, v4
	s_or_b32 s0, vcc_lo, s0
	s_delay_alu instid0(SALU_CYCLE_1)
	s_and_not1_b32 exec_lo, exec_lo, s0
	s_cbranch_execnz .LBB45_27
; %bb.28:
	s_or_b32 exec_lo, exec_lo, s0
	v_add_nc_u32_e32 v0, s4, v0
	s_mov_b32 s0, 0
	s_delay_alu instid0(VALU_DEP_1) | instskip(NEXT) | instid1(VALU_DEP_1)
	v_ashrrev_i32_e32 v1, 31, v0
	v_lshl_add_u64 v[2:3], v[0:1], 1, s[10:11]
	v_cvt_pk_f16_f32 v1, v57, v58
	global_load_b32 v5, v[2:3], off
.LBB45_29:                              ; =>This Inner Loop Header: Depth=1
	s_wait_loadcnt 0x0
	v_pk_add_f16 v4, v1, v5
	global_atomic_cmpswap_b32 v4, v[2:3], v[4:5], off th:TH_ATOMIC_RETURN scope:SCOPE_DEV
	s_wait_loadcnt 0x0
	v_cmp_eq_u32_e32 vcc_lo, v5, v4
	v_mov_b32_e32 v5, v4
	s_or_b32 s0, vcc_lo, s0
	s_delay_alu instid0(SALU_CYCLE_1)
	s_and_not1_b32 exec_lo, exec_lo, s0
	s_cbranch_execnz .LBB45_29
; %bb.30:
	s_or_b32 exec_lo, exec_lo, s0
	global_load_b32 v5, v[2:3], off offset:4
	v_cvt_pk_f16_f32 v1, v55, v56
	s_mov_b32 s0, 0
.LBB45_31:                              ; =>This Inner Loop Header: Depth=1
	s_wait_loadcnt 0x0
	s_delay_alu instid0(VALU_DEP_1)
	v_pk_add_f16 v4, v1, v5
	global_atomic_cmpswap_b32 v4, v[2:3], v[4:5], off offset:4 th:TH_ATOMIC_RETURN scope:SCOPE_DEV
	s_wait_loadcnt 0x0
	v_cmp_eq_u32_e32 vcc_lo, v5, v4
	v_mov_b32_e32 v5, v4
	s_or_b32 s0, vcc_lo, s0
	s_delay_alu instid0(SALU_CYCLE_1)
	s_and_not1_b32 exec_lo, exec_lo, s0
	s_cbranch_execnz .LBB45_31
; %bb.32:
	s_or_b32 exec_lo, exec_lo, s0
	v_add_nc_u32_e32 v0, s4, v0
	s_mov_b32 s0, 0
	s_delay_alu instid0(VALU_DEP_1) | instskip(NEXT) | instid1(VALU_DEP_1)
	v_ashrrev_i32_e32 v1, 31, v0
	;; [unrolled: 37-line block ×6, first 2 shown]
	v_lshl_add_u64 v[2:3], v[0:1], 1, s[10:11]
	v_cvt_pk_f16_f32 v1, v37, v38
	global_load_b32 v5, v[2:3], off
.LBB45_49:                              ; =>This Inner Loop Header: Depth=1
	s_wait_loadcnt 0x0
	v_pk_add_f16 v4, v1, v5
	global_atomic_cmpswap_b32 v4, v[2:3], v[4:5], off th:TH_ATOMIC_RETURN scope:SCOPE_DEV
	s_wait_loadcnt 0x0
	v_cmp_eq_u32_e32 vcc_lo, v5, v4
	v_mov_b32_e32 v5, v4
	s_or_b32 s0, vcc_lo, s0
	s_delay_alu instid0(SALU_CYCLE_1)
	s_and_not1_b32 exec_lo, exec_lo, s0
	s_cbranch_execnz .LBB45_49
; %bb.50:
	s_or_b32 exec_lo, exec_lo, s0
	global_load_b32 v5, v[2:3], off offset:4
	v_cvt_pk_f16_f32 v1, v34, v35
	s_mov_b32 s0, 0
.LBB45_51:                              ; =>This Inner Loop Header: Depth=1
	s_wait_loadcnt 0x0
	s_delay_alu instid0(VALU_DEP_1)
	v_pk_add_f16 v4, v1, v5
	global_atomic_cmpswap_b32 v4, v[2:3], v[4:5], off offset:4 th:TH_ATOMIC_RETURN scope:SCOPE_DEV
	s_wait_loadcnt 0x0
	v_cmp_eq_u32_e32 vcc_lo, v5, v4
	v_mov_b32_e32 v5, v4
	s_or_b32 s0, vcc_lo, s0
	s_delay_alu instid0(SALU_CYCLE_1)
	s_and_not1_b32 exec_lo, exec_lo, s0
	s_cbranch_execnz .LBB45_51
; %bb.52:
	s_or_b32 exec_lo, exec_lo, s0
	v_add_nc_u32_e32 v0, s4, v0
	v_cvt_pk_f16_f32 v4, v13, v36
	s_mov_b32 s0, 0
	s_delay_alu instid0(VALU_DEP_2) | instskip(NEXT) | instid1(VALU_DEP_1)
	v_ashrrev_i32_e32 v1, 31, v0
	v_lshl_add_u64 v[0:1], v[0:1], 1, s[10:11]
	global_load_b32 v3, v[0:1], off
.LBB45_53:                              ; =>This Inner Loop Header: Depth=1
	s_wait_loadcnt 0x0
	v_pk_add_f16 v2, v4, v3
	global_atomic_cmpswap_b32 v2, v[0:1], v[2:3], off th:TH_ATOMIC_RETURN scope:SCOPE_DEV
	s_wait_loadcnt 0x0
	v_cmp_eq_u32_e32 vcc_lo, v3, v2
	v_mov_b32_e32 v3, v2
	s_or_b32 s0, vcc_lo, s0
	s_delay_alu instid0(SALU_CYCLE_1)
	s_and_not1_b32 exec_lo, exec_lo, s0
	s_cbranch_execnz .LBB45_53
; %bb.54:
	s_or_b32 exec_lo, exec_lo, s0
	global_load_b32 v3, v[0:1], off offset:4
	v_cvt_pk_f16_f32 v4, v8, v9
	s_mov_b32 s0, 0
.LBB45_55:                              ; =>This Inner Loop Header: Depth=1
	s_wait_loadcnt 0x0
	s_delay_alu instid0(VALU_DEP_1)
	v_pk_add_f16 v2, v4, v3
	global_atomic_cmpswap_b32 v2, v[0:1], v[2:3], off offset:4 th:TH_ATOMIC_RETURN scope:SCOPE_DEV
	s_wait_loadcnt 0x0
	v_cmp_eq_u32_e32 vcc_lo, v3, v2
	v_mov_b32_e32 v3, v2
	s_or_b32 s0, vcc_lo, s0
	s_delay_alu instid0(SALU_CYCLE_1)
	s_and_not1_b32 exec_lo, exec_lo, s0
	s_cbranch_execnz .LBB45_55
.LBB45_56:
	s_endpgm
	.section	.rodata,"a",@progbits
	.p2align	6, 0x0
	.amdhsa_kernel _ZN4vllm4gptq33gemm_half_q_half_gptq_4bit_kernelILb1ELi8EEEvPK6__halfPKjS6_S4_PS2_iiiibPKi
		.amdhsa_group_segment_fixed_size 2048
		.amdhsa_private_segment_fixed_size 0
		.amdhsa_kernarg_size 72
		.amdhsa_user_sgpr_count 2
		.amdhsa_user_sgpr_dispatch_ptr 0
		.amdhsa_user_sgpr_queue_ptr 0
		.amdhsa_user_sgpr_kernarg_segment_ptr 1
		.amdhsa_user_sgpr_dispatch_id 0
		.amdhsa_user_sgpr_kernarg_preload_length 0
		.amdhsa_user_sgpr_kernarg_preload_offset 0
		.amdhsa_user_sgpr_private_segment_size 0
		.amdhsa_wavefront_size32 1
		.amdhsa_uses_dynamic_stack 0
		.amdhsa_enable_private_segment 0
		.amdhsa_system_sgpr_workgroup_id_x 1
		.amdhsa_system_sgpr_workgroup_id_y 1
		.amdhsa_system_sgpr_workgroup_id_z 1
		.amdhsa_system_sgpr_workgroup_info 0
		.amdhsa_system_vgpr_workitem_id 0
		.amdhsa_next_free_vgpr 85
		.amdhsa_next_free_sgpr 23
		.amdhsa_named_barrier_count 0
		.amdhsa_reserve_vcc 1
		.amdhsa_float_round_mode_32 0
		.amdhsa_float_round_mode_16_64 0
		.amdhsa_float_denorm_mode_32 3
		.amdhsa_float_denorm_mode_16_64 3
		.amdhsa_fp16_overflow 0
		.amdhsa_memory_ordered 1
		.amdhsa_forward_progress 1
		.amdhsa_inst_pref_size 119
		.amdhsa_round_robin_scheduling 0
		.amdhsa_exception_fp_ieee_invalid_op 0
		.amdhsa_exception_fp_denorm_src 0
		.amdhsa_exception_fp_ieee_div_zero 0
		.amdhsa_exception_fp_ieee_overflow 0
		.amdhsa_exception_fp_ieee_underflow 0
		.amdhsa_exception_fp_ieee_inexact 0
		.amdhsa_exception_int_div_zero 0
	.end_amdhsa_kernel
	.section	.text._ZN4vllm4gptq33gemm_half_q_half_gptq_4bit_kernelILb1ELi8EEEvPK6__halfPKjS6_S4_PS2_iiiibPKi,"axG",@progbits,_ZN4vllm4gptq33gemm_half_q_half_gptq_4bit_kernelILb1ELi8EEEvPK6__halfPKjS6_S4_PS2_iiiibPKi,comdat
.Lfunc_end45:
	.size	_ZN4vllm4gptq33gemm_half_q_half_gptq_4bit_kernelILb1ELi8EEEvPK6__halfPKjS6_S4_PS2_iiiibPKi, .Lfunc_end45-_ZN4vllm4gptq33gemm_half_q_half_gptq_4bit_kernelILb1ELi8EEEvPK6__halfPKjS6_S4_PS2_iiiibPKi
                                        ; -- End function
	.set _ZN4vllm4gptq33gemm_half_q_half_gptq_4bit_kernelILb1ELi8EEEvPK6__halfPKjS6_S4_PS2_iiiibPKi.num_vgpr, 85
	.set _ZN4vllm4gptq33gemm_half_q_half_gptq_4bit_kernelILb1ELi8EEEvPK6__halfPKjS6_S4_PS2_iiiibPKi.num_agpr, 0
	.set _ZN4vllm4gptq33gemm_half_q_half_gptq_4bit_kernelILb1ELi8EEEvPK6__halfPKjS6_S4_PS2_iiiibPKi.numbered_sgpr, 23
	.set _ZN4vllm4gptq33gemm_half_q_half_gptq_4bit_kernelILb1ELi8EEEvPK6__halfPKjS6_S4_PS2_iiiibPKi.num_named_barrier, 0
	.set _ZN4vllm4gptq33gemm_half_q_half_gptq_4bit_kernelILb1ELi8EEEvPK6__halfPKjS6_S4_PS2_iiiibPKi.private_seg_size, 0
	.set _ZN4vllm4gptq33gemm_half_q_half_gptq_4bit_kernelILb1ELi8EEEvPK6__halfPKjS6_S4_PS2_iiiibPKi.uses_vcc, 1
	.set _ZN4vllm4gptq33gemm_half_q_half_gptq_4bit_kernelILb1ELi8EEEvPK6__halfPKjS6_S4_PS2_iiiibPKi.uses_flat_scratch, 0
	.set _ZN4vllm4gptq33gemm_half_q_half_gptq_4bit_kernelILb1ELi8EEEvPK6__halfPKjS6_S4_PS2_iiiibPKi.has_dyn_sized_stack, 0
	.set _ZN4vllm4gptq33gemm_half_q_half_gptq_4bit_kernelILb1ELi8EEEvPK6__halfPKjS6_S4_PS2_iiiibPKi.has_recursion, 0
	.set _ZN4vllm4gptq33gemm_half_q_half_gptq_4bit_kernelILb1ELi8EEEvPK6__halfPKjS6_S4_PS2_iiiibPKi.has_indirect_call, 0
	.section	.AMDGPU.csdata,"",@progbits
; Kernel info:
; codeLenInByte = 15172
; TotalNumSgprs: 25
; NumVgprs: 85
; ScratchSize: 0
; MemoryBound: 0
; FloatMode: 240
; IeeeMode: 1
; LDSByteSize: 2048 bytes/workgroup (compile time only)
; SGPRBlocks: 0
; VGPRBlocks: 5
; NumSGPRsForWavesPerEU: 25
; NumVGPRsForWavesPerEU: 85
; NamedBarCnt: 0
; Occupancy: 10
; WaveLimiterHint : 0
; COMPUTE_PGM_RSRC2:SCRATCH_EN: 0
; COMPUTE_PGM_RSRC2:USER_SGPR: 2
; COMPUTE_PGM_RSRC2:TRAP_HANDLER: 0
; COMPUTE_PGM_RSRC2:TGID_X_EN: 1
; COMPUTE_PGM_RSRC2:TGID_Y_EN: 1
; COMPUTE_PGM_RSRC2:TGID_Z_EN: 1
; COMPUTE_PGM_RSRC2:TIDIG_COMP_CNT: 0
	.section	.text._ZN4vllm4gptq33gemm_half_q_half_gptq_8bit_kernelILb1ELi8EEEvPK6__halfPKjS6_S4_PS2_iiiibPKi,"axG",@progbits,_ZN4vllm4gptq33gemm_half_q_half_gptq_8bit_kernelILb1ELi8EEEvPK6__halfPKjS6_S4_PS2_iiiibPKi,comdat
	.protected	_ZN4vllm4gptq33gemm_half_q_half_gptq_8bit_kernelILb1ELi8EEEvPK6__halfPKjS6_S4_PS2_iiiibPKi ; -- Begin function _ZN4vllm4gptq33gemm_half_q_half_gptq_8bit_kernelILb1ELi8EEEvPK6__halfPKjS6_S4_PS2_iiiibPKi
	.globl	_ZN4vllm4gptq33gemm_half_q_half_gptq_8bit_kernelILb1ELi8EEEvPK6__halfPKjS6_S4_PS2_iiiibPKi
	.p2align	8
	.type	_ZN4vllm4gptq33gemm_half_q_half_gptq_8bit_kernelILb1ELi8EEEvPK6__halfPKjS6_S4_PS2_iiiibPKi,@function
_ZN4vllm4gptq33gemm_half_q_half_gptq_8bit_kernelILb1ELi8EEEvPK6__halfPKjS6_S4_PS2_iiiibPKi: ; @_ZN4vllm4gptq33gemm_half_q_half_gptq_8bit_kernelILb1ELi8EEEvPK6__halfPKjS6_S4_PS2_iiiibPKi
; %bb.0:
	s_load_b128 s[4:7], s[0:1], 0x2c
	s_bfe_u32 s2, ttmp6, 0x40010
	s_and_b32 s3, ttmp7, 0xffff
	s_add_co_i32 s2, s2, 1
	s_bfe_u32 s9, ttmp6, 0x40014
	s_mul_i32 s2, s3, s2
	s_bfe_u32 s8, ttmp6, 0x40004
	s_lshr_b32 s10, ttmp7, 16
	s_add_co_i32 s9, s9, 1
	s_add_co_i32 s8, s8, s2
	s_mul_i32 s2, s10, s9
	s_bfe_u32 s9, ttmp6, 0x40008
	s_getreg_b32 s17, hwreg(HW_REG_IB_STS2, 6, 4)
	s_add_co_i32 s9, s9, s2
	s_cmp_eq_u32 s17, 0
	s_mov_b32 s12, exec_lo
	s_cselect_b32 s2, s10, s9
	s_cselect_b32 s8, s3, s8
	s_lshl_b32 s15, s2, 7
	s_lshl_b32 s14, s8, 3
	s_add_co_i32 s2, s15, 0x80
	s_delay_alu instid0(SALU_CYCLE_1) | instskip(SKIP_3) | instid1(VALU_DEP_1)
	v_cvt_f64_u32_e32 v[2:3], s2
	s_load_b64 s[2:3], s[0:1], 0x10
	s_wait_kmcnt 0x0
	v_cvt_f64_i32_e32 v[4:5], s5
	v_min_num_f64_e32 v[2:3], v[2:3], v[4:5]
	s_delay_alu instid0(VALU_DEP_1) | instskip(SKIP_1) | instid1(VALU_DEP_2)
	v_cvt_i32_f64_e32 v1, v[2:3]
	v_add_nc_u32_e32 v2, s15, v0
	v_readfirstlane_b32 s16, v1
	s_delay_alu instid0(VALU_DEP_2)
	v_cmpx_lt_u32_e64 v2, v1
	s_cbranch_execz .LBB46_18
; %bb.1:
	s_clause 0x1
	s_load_b64 s[10:11], s[0:1], 0x40
	s_load_b64 s[8:9], s[0:1], 0x0
	v_mov_b32_e32 v3, 0
	s_delay_alu instid0(VALU_DEP_1)
	v_mov_b64_e32 v[6:7], v[2:3]
	s_wait_kmcnt 0x0
	v_lshl_add_u64 v[4:5], v[2:3], 2, s[10:11]
	s_cmp_lg_u64 s[10:11], 0
	s_cselect_b32 s13, -1, 0
	s_cmp_eq_u64 s[10:11], 0
	s_cbranch_scc1 .LBB46_3
; %bb.2:
	global_load_b32 v6, v[4:5], off
	s_wait_loadcnt 0x0
	v_ashrrev_i32_e32 v7, 31, v6
.LBB46_3:
	s_mul_i32 s10, s14, s5
	v_cndmask_b32_e64 v8, 0, 1, s13
	s_ashr_i32 s11, s10, 31
	v_lshlrev_b32_e32 v1, 1, v0
	s_lshl_b64 s[18:19], s[10:11], 1
	s_and_not1_b32 vcc_lo, exec_lo, s13
	s_add_nc_u64 s[18:19], s[8:9], s[18:19]
	s_delay_alu instid0(SALU_CYCLE_1)
	v_lshl_add_u64 v[6:7], v[6:7], 1, s[18:19]
	global_load_u16 v9, v[6:7], off
	s_wait_xcnt 0x0
	v_mov_b64_e32 v[6:7], v[2:3]
	s_wait_loadcnt 0x0
	ds_store_b16 v1, v9
	s_cbranch_vccnz .LBB46_5
; %bb.4:
	global_load_b32 v6, v[4:5], off
	s_wait_loadcnt 0x0
	v_ashrrev_i32_e32 v7, 31, v6
.LBB46_5:
	s_add_co_i32 s10, s10, s5
	v_cmp_ne_u32_e32 vcc_lo, 1, v8
	s_ashr_i32 s11, s10, 31
	s_delay_alu instid0(SALU_CYCLE_1) | instskip(SKIP_2) | instid1(SALU_CYCLE_1)
	s_lshl_b64 s[18:19], s[10:11], 1
	s_and_b32 vcc_lo, exec_lo, vcc_lo
	s_add_nc_u64 s[18:19], s[8:9], s[18:19]
	v_lshl_add_u64 v[6:7], v[6:7], 1, s[18:19]
	global_load_u16 v9, v[6:7], off
	s_wait_xcnt 0x0
	v_mov_b64_e32 v[6:7], v[2:3]
	s_wait_loadcnt 0x0
	ds_store_b16 v1, v9 offset:256
	s_cbranch_vccnz .LBB46_7
; %bb.6:
	global_load_b32 v6, v[4:5], off
	s_wait_loadcnt 0x0
	v_ashrrev_i32_e32 v7, 31, v6
.LBB46_7:
	s_add_co_i32 s10, s10, s5
	v_cmp_ne_u32_e32 vcc_lo, 1, v8
	s_ashr_i32 s11, s10, 31
	s_delay_alu instid0(SALU_CYCLE_1) | instskip(SKIP_2) | instid1(SALU_CYCLE_1)
	s_lshl_b64 s[18:19], s[10:11], 1
	s_and_b32 vcc_lo, exec_lo, vcc_lo
	s_add_nc_u64 s[18:19], s[8:9], s[18:19]
	v_lshl_add_u64 v[6:7], v[6:7], 1, s[18:19]
	global_load_u16 v9, v[6:7], off
	s_wait_xcnt 0x0
	v_mov_b64_e32 v[6:7], v[2:3]
	s_wait_loadcnt 0x0
	ds_store_b16 v1, v9 offset:512
	s_cbranch_vccnz .LBB46_9
; %bb.8:
	global_load_b32 v6, v[4:5], off
	s_wait_loadcnt 0x0
	v_ashrrev_i32_e32 v7, 31, v6
.LBB46_9:
	s_add_co_i32 s10, s10, s5
	v_cmp_ne_u32_e32 vcc_lo, 1, v8
	s_ashr_i32 s11, s10, 31
	s_delay_alu instid0(SALU_CYCLE_1) | instskip(SKIP_2) | instid1(SALU_CYCLE_1)
	s_lshl_b64 s[18:19], s[10:11], 1
	s_and_b32 vcc_lo, exec_lo, vcc_lo
	s_add_nc_u64 s[18:19], s[8:9], s[18:19]
	v_lshl_add_u64 v[6:7], v[6:7], 1, s[18:19]
	global_load_u16 v9, v[6:7], off
	s_wait_xcnt 0x0
	v_mov_b64_e32 v[6:7], v[2:3]
	s_wait_loadcnt 0x0
	ds_store_b16 v1, v9 offset:768
	s_cbranch_vccnz .LBB46_11
; %bb.10:
	global_load_b32 v6, v[4:5], off
	s_wait_loadcnt 0x0
	v_ashrrev_i32_e32 v7, 31, v6
.LBB46_11:
	s_add_co_i32 s10, s10, s5
	v_cmp_ne_u32_e32 vcc_lo, 1, v8
	s_ashr_i32 s11, s10, 31
	s_delay_alu instid0(SALU_CYCLE_1) | instskip(SKIP_2) | instid1(SALU_CYCLE_1)
	s_lshl_b64 s[18:19], s[10:11], 1
	s_and_b32 vcc_lo, exec_lo, vcc_lo
	s_add_nc_u64 s[18:19], s[8:9], s[18:19]
	v_lshl_add_u64 v[6:7], v[6:7], 1, s[18:19]
	global_load_u16 v9, v[6:7], off
	s_wait_xcnt 0x0
	v_mov_b64_e32 v[6:7], v[2:3]
	s_wait_loadcnt 0x0
	ds_store_b16 v1, v9 offset:1024
	s_cbranch_vccnz .LBB46_13
; %bb.12:
	global_load_b32 v6, v[4:5], off
	s_wait_loadcnt 0x0
	v_ashrrev_i32_e32 v7, 31, v6
.LBB46_13:
	s_add_co_i32 s10, s10, s5
	v_cmp_ne_u32_e32 vcc_lo, 1, v8
	s_ashr_i32 s11, s10, 31
	s_delay_alu instid0(SALU_CYCLE_1) | instskip(SKIP_2) | instid1(SALU_CYCLE_1)
	s_lshl_b64 s[18:19], s[10:11], 1
	s_and_b32 vcc_lo, exec_lo, vcc_lo
	s_add_nc_u64 s[18:19], s[8:9], s[18:19]
	v_lshl_add_u64 v[6:7], v[6:7], 1, s[18:19]
	global_load_u16 v9, v[6:7], off
	s_wait_xcnt 0x0
	v_mov_b64_e32 v[6:7], v[2:3]
	s_wait_loadcnt 0x0
	ds_store_b16 v1, v9 offset:1280
	s_cbranch_vccnz .LBB46_15
; %bb.14:
	global_load_b32 v6, v[4:5], off
	s_wait_loadcnt 0x0
	v_ashrrev_i32_e32 v7, 31, v6
.LBB46_15:
	s_add_co_i32 s10, s10, s5
	v_cmp_ne_u32_e32 vcc_lo, 1, v8
	s_ashr_i32 s11, s10, 31
	s_delay_alu instid0(SALU_CYCLE_1) | instskip(SKIP_2) | instid1(SALU_CYCLE_1)
	s_lshl_b64 s[18:19], s[10:11], 1
	s_and_b32 vcc_lo, exec_lo, vcc_lo
	s_add_nc_u64 s[18:19], s[8:9], s[18:19]
	v_lshl_add_u64 v[6:7], v[6:7], 1, s[18:19]
	global_load_u16 v6, v[6:7], off
	s_wait_loadcnt 0x0
	ds_store_b16 v1, v6 offset:1536
	s_cbranch_vccnz .LBB46_17
; %bb.16:
	global_load_b32 v2, v[4:5], off
	s_wait_loadcnt 0x0
	v_ashrrev_i32_e32 v3, 31, v2
.LBB46_17:
	s_add_co_i32 s10, s10, s5
	s_delay_alu instid0(SALU_CYCLE_1) | instskip(NEXT) | instid1(SALU_CYCLE_1)
	s_ashr_i32 s11, s10, 31
	s_lshl_b64 s[10:11], s[10:11], 1
	s_delay_alu instid0(SALU_CYCLE_1) | instskip(NEXT) | instid1(SALU_CYCLE_1)
	s_add_nc_u64 s[8:9], s[8:9], s[10:11]
	v_lshl_add_u64 v[2:3], v[2:3], 1, s[8:9]
	global_load_u16 v2, v[2:3], off
	s_wait_loadcnt 0x0
	ds_store_b16 v1, v2 offset:1792
.LBB46_18:
	s_or_b32 exec_lo, exec_lo, s12
	s_clause 0x1
	s_load_b64 s[12:13], s[0:1], 0x8
	s_load_b128 s[8:11], s[0:1], 0x18
	s_wait_xcnt 0x0
	s_bfe_u32 s0, ttmp6, 0x4000c
	s_and_b32 s1, ttmp6, 15
	s_add_co_i32 s0, s0, 1
	v_lshlrev_b32_e32 v0, 2, v0
	s_mul_i32 s0, ttmp9, s0
	s_delay_alu instid0(SALU_CYCLE_1)
	s_add_co_i32 s1, s1, s0
	s_cmp_eq_u32 s17, 0
	s_cselect_b32 s0, ttmp9, s1
	s_mov_b32 s1, 0
	v_lshl_add_u32 v16, s0, 9, v0
	s_mov_b32 s0, exec_lo
	s_delay_alu instid0(VALU_DEP_1)
	v_cmpx_gt_i32_e64 s4, v16
	s_cbranch_execz .LBB46_56
; %bb.19:
	s_abs_i32 s17, s6
	v_dual_mov_b32 v15, 0 :: v_dual_mov_b32 v14, 0
	s_cvt_f32_u32 s0, s17
	v_dual_mov_b32 v60, 0 :: v_dual_mov_b32 v59, 0
	v_dual_mov_b32 v56, 0 :: v_dual_mov_b32 v55, 0
	s_delay_alu instid0(SALU_CYCLE_1) | instskip(SKIP_3) | instid1(TRANS32_DEP_1)
	v_rcp_iflag_f32_e32 v0, s0
	v_dual_mov_b32 v58, 0 :: v_dual_mov_b32 v57, 0
	v_dual_mov_b32 v62, 0 :: v_dual_mov_b32 v61, 0
	;; [unrolled: 1-line block ×3, first 2 shown]
	v_readfirstlane_b32 s0, v0
	v_dual_mov_b32 v66, 0 :: v_dual_mov_b32 v65, 0
	v_dual_mov_b32 v32, 0 :: v_dual_mov_b32 v33, 0
	s_cmp_ge_i32 s15, s16
	s_wait_dscnt 0x0
	s_barrier_signal -1
	s_barrier_wait -1
	s_cbranch_scc1 .LBB46_24
; %bb.20:
	s_mul_f32 s0, s0, 0x4f7ffffe
	s_ashr_i32 s6, s6, 31
	v_dual_ashrrev_i32 v17, 31, v16 :: v_dual_mov_b32 v33, 0
	s_delay_alu instid0(SALU_CYCLE_1) | instskip(SKIP_2) | instid1(SALU_CYCLE_1)
	s_cvt_u32_f32 s18, s0
	s_sub_co_i32 s0, 0, s17
	v_dual_mov_b32 v32, 0 :: v_dual_mov_b32 v65, 0
	s_mul_i32 s19, s0, s18
	s_abs_i32 s0, s5
	s_mul_hi_u32 s20, s18, s19
	s_mov_b32 s19, s1
	s_add_co_i32 s18, s18, s20
	s_ashr_i32 s5, s5, 31
	s_mul_u64 s[18:19], s[0:1], s[18:19]
	s_xor_b32 s5, s5, s6
	s_mul_i32 s18, s19, s17
	s_add_co_i32 s6, s19, 1
	s_sub_co_i32 s0, s0, s18
	v_dual_mov_b32 v66, 0 :: v_dual_mov_b32 v63, 0
	s_sub_co_i32 s18, s0, s17
	s_cmp_ge_u32 s0, s17
	v_dual_mov_b32 v64, 0 :: v_dual_mov_b32 v61, 0
	s_cselect_b32 s6, s6, s19
	s_cselect_b32 s0, s18, s0
	s_add_co_i32 s18, s6, 1
	s_cmp_ge_u32 s0, s17
	v_dual_mov_b32 v62, 0 :: v_dual_mov_b32 v57, 0
	s_cselect_b32 s0, s18, s6
	v_dual_mov_b32 v58, 0 :: v_dual_mov_b32 v55, 0
	s_xor_b32 s0, s0, s5
	v_dual_mov_b32 v56, 0 :: v_dual_mov_b32 v59, 0
	s_sub_co_i32 s0, s0, s5
	s_bitcmp1_b32 s7, 0
	s_cvt_f32_u32 s5, s0
	s_cselect_b32 s6, -1, 0
	s_sub_co_i32 s7, 0, s0
	s_xor_b32 s18, s6, -1
	v_rcp_iflag_f32_e32 v0, s5
	v_dual_mov_b32 v60, 0 :: v_dual_mov_b32 v14, 0
	v_cndmask_b32_e64 v23, 0, 1, s18
	v_mov_b32_e32 v15, 0
	s_delay_alu instid0(TRANS32_DEP_1) | instskip(SKIP_1) | instid1(SALU_CYCLE_3)
	v_readfirstlane_b32 s5, v0
	s_mul_f32 s5, s5, 0x4f7ffffe
	s_cvt_u32_f32 s5, s5
	s_delay_alu instid0(SALU_CYCLE_3) | instskip(NEXT) | instid1(SALU_CYCLE_1)
	s_mul_i32 s7, s7, s5
	s_mul_hi_u32 s7, s5, s7
	s_delay_alu instid0(SALU_CYCLE_1) | instskip(NEXT) | instid1(SALU_CYCLE_1)
	s_add_co_i32 s5, s5, s7
	s_mul_hi_u32 s5, s15, s5
	s_delay_alu instid0(SALU_CYCLE_1) | instskip(NEXT) | instid1(SALU_CYCLE_1)
	s_mul_i32 s7, s5, s0
	s_sub_co_i32 s6, s15, s7
	s_add_co_i32 s7, s5, 1
	s_sub_co_i32 s17, s6, s0
	s_cmp_ge_u32 s6, s0
	s_cselect_b32 s5, s7, s5
	s_cselect_b32 s6, s17, s6
	s_add_co_i32 s7, s5, 1
	s_cmp_ge_u32 s6, s0
	s_cselect_b32 s17, s7, s5
	s_delay_alu instid0(SALU_CYCLE_1) | instskip(NEXT) | instid1(SALU_CYCLE_1)
	s_mul_i32 s5, s17, s4
	v_dual_ashrrev_i32 v22, 2, v16 :: v_dual_add_nc_u32 v0, s5, v16
	s_ashr_i32 s6, s5, 31
	s_delay_alu instid0(SALU_CYCLE_1) | instskip(NEXT) | instid1(SALU_CYCLE_1)
	s_lshr_b32 s6, s6, 30
	s_add_co_i32 s6, s5, s6
	s_delay_alu instid0(VALU_DEP_1)
	v_ashrrev_i32_e32 v1, 31, v0
	s_ashr_i32 s6, s6, 2
	s_lshr_b32 s5, s15, 2
	v_add_nc_u32_e32 v2, s6, v22
	s_mul_i32 s6, s4, s5
	s_wait_kmcnt 0x0
	v_lshl_add_u64 v[0:1], v[0:1], 1, s[8:9]
	s_ashr_i32 s7, s6, 31
	s_ashr_i32 s5, s4, 31
	global_load_b32 v2, v2, s[2:3] scale_offset
	s_lshl_b64 s[6:7], s[6:7], 2
	global_load_b64 v[18:19], v[0:1], off
	s_add_nc_u64 s[6:7], s[12:13], s[6:7]
	s_add_co_i32 s12, s0, s15
	s_wait_xcnt 0x0
	v_lshl_add_u64 v[0:1], v[16:17], 2, s[6:7]
	s_lshl_b64 s[6:7], s[4:5], 2
	s_wait_loadcnt 0x1
	v_and_b32_e32 v17, 0xff, v2
	v_bfe_u32 v24, v2, 8, 8
	v_bfe_u32 v25, v2, 16, 8
	v_lshrrev_b32_e32 v26, 24, v2
	s_branch .LBB46_22
.LBB46_21:                              ;   in Loop: Header=BB46_22 Depth=1
	global_load_b128 v[2:5], v[0:1], off
	v_add_nc_u64_e32 v[12:13], s[6:7], v[0:1]
	v_dual_add_nc_u32 v31, v17, v23 :: v_dual_add_nc_u32 v30, v24, v23
	v_dual_add_nc_u32 v29, v25, v23 :: v_dual_add_nc_u32 v28, v26, v23
	s_add_co_i32 s15, s15, 32
	v_mov_b32_e32 v27, s1
	global_load_b128 v[6:9], v[12:13], off
	s_wait_xcnt 0x0
	v_add_nc_u64_e32 v[12:13], s[6:7], v[12:13]
	s_add_co_i32 s1, s1, 64
	s_cmp_ge_i32 s15, s16
	s_wait_loadcnt 0x1
	v_and_b32_e32 v0, 0xff, v2
	s_delay_alu instid0(VALU_DEP_1) | instskip(NEXT) | instid1(VALU_DEP_1)
	v_sub_nc_u32_e32 v0, v0, v31
	v_cvt_f32_i32_e32 v0, v0
	s_delay_alu instid0(VALU_DEP_1) | instskip(SKIP_1) | instid1(VALU_DEP_1)
	v_cvt_f16_f32_e32 v20, v0
	v_bfe_u32 v0, v2, 8, 8
	v_sub_nc_u32_e32 v0, v0, v31
	s_delay_alu instid0(VALU_DEP_1) | instskip(NEXT) | instid1(VALU_DEP_1)
	v_cvt_f32_i32_e32 v0, v0
	v_cvt_f16_f32_e32 v21, v0
	v_bfe_u32 v0, v2, 16, 8
	s_delay_alu instid0(VALU_DEP_1) | instskip(NEXT) | instid1(VALU_DEP_1)
	v_sub_nc_u32_e32 v0, v0, v31
	v_cvt_f32_i32_e32 v0, v0
	s_delay_alu instid0(VALU_DEP_1) | instskip(SKIP_1) | instid1(VALU_DEP_1)
	v_cvt_f16_f32_e32 v34, v0
	v_lshrrev_b32_e32 v0, 24, v2
	v_sub_nc_u32_e32 v0, v0, v31
	s_delay_alu instid0(VALU_DEP_1) | instskip(NEXT) | instid1(VALU_DEP_1)
	v_cvt_f32_i32_e32 v0, v0
	v_cvt_f16_f32_e32 v35, v0
	s_wait_loadcnt 0x0
	v_and_b32_e32 v0, 0xff, v6
	s_delay_alu instid0(VALU_DEP_1) | instskip(NEXT) | instid1(VALU_DEP_1)
	v_sub_nc_u32_e32 v0, v0, v31
	v_cvt_f32_i32_e32 v0, v0
	s_delay_alu instid0(VALU_DEP_1) | instskip(SKIP_1) | instid1(VALU_DEP_1)
	v_cvt_f16_f32_e32 v36, v0
	v_bfe_u32 v0, v6, 8, 8
	v_sub_nc_u32_e32 v0, v0, v31
	s_delay_alu instid0(VALU_DEP_1) | instskip(NEXT) | instid1(VALU_DEP_1)
	v_cvt_f32_i32_e32 v0, v0
	v_cvt_f16_f32_e32 v37, v0
	v_bfe_u32 v0, v6, 16, 8
	s_delay_alu instid0(VALU_DEP_1) | instskip(NEXT) | instid1(VALU_DEP_1)
	v_sub_nc_u32_e32 v0, v0, v31
	v_cvt_f32_i32_e32 v0, v0
	s_delay_alu instid0(VALU_DEP_1) | instskip(SKIP_1) | instid1(VALU_DEP_1)
	v_cvt_f16_f32_e32 v38, v0
	v_lshrrev_b32_e32 v0, 24, v6
	v_sub_nc_u32_e32 v0, v0, v31
	s_delay_alu instid0(VALU_DEP_1) | instskip(NEXT) | instid1(VALU_DEP_1)
	v_cvt_f32_i32_e32 v0, v0
	v_cvt_f16_f32_e32 v39, v0
	v_and_b32_e32 v0, 0xff, v3
	s_delay_alu instid0(VALU_DEP_1) | instskip(NEXT) | instid1(VALU_DEP_1)
	v_sub_nc_u32_e32 v0, v0, v30
	v_cvt_f32_i32_e32 v0, v0
	s_delay_alu instid0(VALU_DEP_1) | instskip(SKIP_1) | instid1(VALU_DEP_1)
	v_cvt_f16_f32_e32 v40, v0
	v_bfe_u32 v0, v3, 8, 8
	v_sub_nc_u32_e32 v0, v0, v30
	s_delay_alu instid0(VALU_DEP_1) | instskip(NEXT) | instid1(VALU_DEP_1)
	v_cvt_f32_i32_e32 v0, v0
	v_cvt_f16_f32_e32 v41, v0
	v_bfe_u32 v0, v3, 16, 8
	s_delay_alu instid0(VALU_DEP_1) | instskip(NEXT) | instid1(VALU_DEP_1)
	v_sub_nc_u32_e32 v0, v0, v30
	v_cvt_f32_i32_e32 v0, v0
	s_delay_alu instid0(VALU_DEP_1) | instskip(SKIP_1) | instid1(VALU_DEP_1)
	v_cvt_f16_f32_e32 v42, v0
	v_lshrrev_b32_e32 v0, 24, v3
	v_sub_nc_u32_e32 v0, v0, v30
	s_delay_alu instid0(VALU_DEP_1) | instskip(NEXT) | instid1(VALU_DEP_1)
	v_cvt_f32_i32_e32 v0, v0
	v_cvt_f16_f32_e32 v43, v0
	;; [unrolled: 22-line block ×7, first 2 shown]
	ds_load_b128 v[68:71], v27
	ds_load_b128 v[8:11], v27 offset:16
	ds_load_b128 v[4:7], v27 offset:32
	ds_load_b128 v[0:3], v27 offset:48
	ds_load_b128 v[76:79], v27 offset:512
	s_wait_dscnt 0x4
	v_fma_mix_f32 v72, v20, v68, 0 op_sel_hi:[1,1,0]
	s_delay_alu instid0(VALU_DEP_1) | instskip(NEXT) | instid1(VALU_DEP_1)
	v_fma_mix_f32 v72, v21, v68, v72 op_sel:[0,1,0] op_sel_hi:[1,1,0]
	v_fma_mix_f32 v72, v34, v69, v72 op_sel_hi:[1,1,0]
	s_delay_alu instid0(VALU_DEP_1) | instskip(NEXT) | instid1(VALU_DEP_1)
	v_fma_mix_f32 v72, v35, v69, v72 op_sel:[0,1,0] op_sel_hi:[1,1,0]
	;; [unrolled: 3-line block ×4, first 2 shown]
	v_fma_mixlo_f16 v72, v72, v18, 0 op_sel_hi:[0,1,0]
	s_delay_alu instid0(VALU_DEP_1) | instskip(SKIP_2) | instid1(VALU_DEP_2)
	v_add_f16_e32 v100, v15, v72
	v_fma_mix_f32 v72, v40, v68, 0 op_sel_hi:[1,1,0]
	v_lshrrev_b32_e32 v15, 16, v15
	v_fma_mix_f32 v72, v41, v68, v72 op_sel:[0,1,0] op_sel_hi:[1,1,0]
	s_delay_alu instid0(VALU_DEP_1) | instskip(NEXT) | instid1(VALU_DEP_1)
	v_fma_mix_f32 v72, v42, v69, v72 op_sel_hi:[1,1,0]
	v_fma_mix_f32 v72, v43, v69, v72 op_sel:[0,1,0] op_sel_hi:[1,1,0]
	s_delay_alu instid0(VALU_DEP_1) | instskip(NEXT) | instid1(VALU_DEP_1)
	v_fma_mix_f32 v72, v44, v70, v72 op_sel_hi:[1,1,0]
	;; [unrolled: 3-line block ×3, first 2 shown]
	v_fma_mix_f32 v72, v47, v71, v72 op_sel:[0,1,0] op_sel_hi:[1,1,0]
	s_delay_alu instid0(VALU_DEP_1) | instskip(NEXT) | instid1(VALU_DEP_1)
	v_fma_mixlo_f16 v72, v72, v18, 0 op_sel:[0,1,0] op_sel_hi:[0,1,0]
	v_add_f16_e32 v101, v15, v72
	v_fma_mix_f32 v15, v48, v68, 0 op_sel_hi:[1,1,0]
	ds_load_b128 v[72:75], v27 offset:256
	v_fma_mix_f32 v15, v49, v68, v15 op_sel:[0,1,0] op_sel_hi:[1,1,0]
	s_delay_alu instid0(VALU_DEP_1) | instskip(NEXT) | instid1(VALU_DEP_1)
	v_fma_mix_f32 v15, v50, v69, v15 op_sel_hi:[1,1,0]
	v_fma_mix_f32 v15, v51, v69, v15 op_sel:[0,1,0] op_sel_hi:[1,1,0]
	s_delay_alu instid0(VALU_DEP_1) | instskip(NEXT) | instid1(VALU_DEP_1)
	v_fma_mix_f32 v15, v52, v70, v15 op_sel_hi:[1,1,0]
	v_fma_mix_f32 v15, v53, v70, v15 op_sel:[0,1,0] op_sel_hi:[1,1,0]
	s_delay_alu instid0(VALU_DEP_1) | instskip(NEXT) | instid1(VALU_DEP_1)
	v_fma_mix_f32 v15, v54, v71, v15 op_sel_hi:[1,1,0]
	v_fma_mix_f32 v15, v67, v71, v15 op_sel:[0,1,0] op_sel_hi:[1,1,0]
	s_delay_alu instid0(VALU_DEP_1) | instskip(NEXT) | instid1(VALU_DEP_1)
	v_fma_mixlo_f16 v15, v15, v19, 0 op_sel_hi:[0,1,0]
	v_add_f16_e32 v102, v14, v15
	v_fma_mix_f32 v15, v92, v68, 0 op_sel_hi:[1,1,0]
	v_lshrrev_b32_e32 v14, 16, v14
	s_delay_alu instid0(VALU_DEP_2) | instskip(NEXT) | instid1(VALU_DEP_1)
	v_fma_mix_f32 v15, v93, v68, v15 op_sel:[0,1,0] op_sel_hi:[1,1,0]
	v_fma_mix_f32 v15, v94, v69, v15 op_sel_hi:[1,1,0]
	s_delay_alu instid0(VALU_DEP_1) | instskip(NEXT) | instid1(VALU_DEP_1)
	v_fma_mix_f32 v15, v95, v69, v15 op_sel:[0,1,0] op_sel_hi:[1,1,0]
	v_fma_mix_f32 v15, v96, v70, v15 op_sel_hi:[1,1,0]
	s_delay_alu instid0(VALU_DEP_1) | instskip(NEXT) | instid1(VALU_DEP_1)
	;; [unrolled: 3-line block ×3, first 2 shown]
	v_fma_mix_f32 v15, v99, v71, v15 op_sel:[0,1,0] op_sel_hi:[1,1,0]
	v_fma_mixlo_f16 v15, v15, v19, 0 op_sel:[0,1,0] op_sel_hi:[0,1,0]
	s_delay_alu instid0(VALU_DEP_1) | instskip(SKIP_3) | instid1(VALU_DEP_2)
	v_add_f16_e32 v103, v14, v15
	s_wait_dscnt 0x0
	v_fma_mix_f32 v14, v20, v72, 0 op_sel_hi:[1,1,0]
	v_fma_mix_f32 v15, v40, v72, 0 op_sel_hi:[1,1,0]
	v_fma_mix_f32 v14, v21, v72, v14 op_sel:[0,1,0] op_sel_hi:[1,1,0]
	s_delay_alu instid0(VALU_DEP_2) | instskip(NEXT) | instid1(VALU_DEP_2)
	v_fma_mix_f32 v15, v41, v72, v15 op_sel:[0,1,0] op_sel_hi:[1,1,0]
	v_fma_mix_f32 v14, v34, v73, v14 op_sel_hi:[1,1,0]
	s_delay_alu instid0(VALU_DEP_2) | instskip(NEXT) | instid1(VALU_DEP_2)
	v_fma_mix_f32 v15, v42, v73, v15 op_sel_hi:[1,1,0]
	v_fma_mix_f32 v14, v35, v73, v14 op_sel:[0,1,0] op_sel_hi:[1,1,0]
	s_delay_alu instid0(VALU_DEP_2) | instskip(NEXT) | instid1(VALU_DEP_2)
	v_fma_mix_f32 v15, v43, v73, v15 op_sel:[0,1,0] op_sel_hi:[1,1,0]
	v_fma_mix_f32 v14, v36, v74, v14 op_sel_hi:[1,1,0]
	s_delay_alu instid0(VALU_DEP_2) | instskip(NEXT) | instid1(VALU_DEP_2)
	v_fma_mix_f32 v15, v44, v74, v15 op_sel_hi:[1,1,0]
	v_fma_mix_f32 v14, v37, v74, v14 op_sel:[0,1,0] op_sel_hi:[1,1,0]
	s_delay_alu instid0(VALU_DEP_2) | instskip(NEXT) | instid1(VALU_DEP_2)
	v_fma_mix_f32 v15, v45, v74, v15 op_sel:[0,1,0] op_sel_hi:[1,1,0]
	v_fma_mix_f32 v14, v38, v75, v14 op_sel_hi:[1,1,0]
	s_delay_alu instid0(VALU_DEP_2) | instskip(NEXT) | instid1(VALU_DEP_2)
	v_fma_mix_f32 v15, v46, v75, v15 op_sel_hi:[1,1,0]
	v_fma_mix_f32 v14, v39, v75, v14 op_sel:[0,1,0] op_sel_hi:[1,1,0]
	s_delay_alu instid0(VALU_DEP_2) | instskip(NEXT) | instid1(VALU_DEP_2)
	v_fma_mix_f32 v15, v47, v75, v15 op_sel:[0,1,0] op_sel_hi:[1,1,0]
	v_fma_mixlo_f16 v14, v14, v18, 0 op_sel_hi:[0,1,0]
	s_delay_alu instid0(VALU_DEP_2) | instskip(NEXT) | instid1(VALU_DEP_2)
	v_fma_mixlo_f16 v15, v15, v18, 0 op_sel:[0,1,0] op_sel_hi:[0,1,0]
	v_add_f16_e32 v68, v60, v14
	v_lshrrev_b32_e32 v14, 16, v60
	s_delay_alu instid0(VALU_DEP_1) | instskip(SKIP_2) | instid1(VALU_DEP_2)
	v_add_f16_e32 v69, v14, v15
	v_fma_mix_f32 v14, v48, v72, 0 op_sel_hi:[1,1,0]
	v_fma_mix_f32 v15, v92, v72, 0 op_sel_hi:[1,1,0]
	v_fma_mix_f32 v14, v49, v72, v14 op_sel:[0,1,0] op_sel_hi:[1,1,0]
	s_delay_alu instid0(VALU_DEP_2) | instskip(NEXT) | instid1(VALU_DEP_2)
	v_fma_mix_f32 v15, v93, v72, v15 op_sel:[0,1,0] op_sel_hi:[1,1,0]
	v_fma_mix_f32 v14, v50, v73, v14 op_sel_hi:[1,1,0]
	s_delay_alu instid0(VALU_DEP_2) | instskip(NEXT) | instid1(VALU_DEP_2)
	v_fma_mix_f32 v15, v94, v73, v15 op_sel_hi:[1,1,0]
	v_fma_mix_f32 v14, v51, v73, v14 op_sel:[0,1,0] op_sel_hi:[1,1,0]
	s_delay_alu instid0(VALU_DEP_2) | instskip(NEXT) | instid1(VALU_DEP_2)
	v_fma_mix_f32 v15, v95, v73, v15 op_sel:[0,1,0] op_sel_hi:[1,1,0]
	v_fma_mix_f32 v14, v52, v74, v14 op_sel_hi:[1,1,0]
	s_delay_alu instid0(VALU_DEP_2) | instskip(NEXT) | instid1(VALU_DEP_2)
	v_fma_mix_f32 v15, v96, v74, v15 op_sel_hi:[1,1,0]
	v_fma_mix_f32 v14, v53, v74, v14 op_sel:[0,1,0] op_sel_hi:[1,1,0]
	s_delay_alu instid0(VALU_DEP_2) | instskip(NEXT) | instid1(VALU_DEP_2)
	v_fma_mix_f32 v15, v97, v74, v15 op_sel:[0,1,0] op_sel_hi:[1,1,0]
	v_fma_mix_f32 v14, v54, v75, v14 op_sel_hi:[1,1,0]
	s_delay_alu instid0(VALU_DEP_2) | instskip(NEXT) | instid1(VALU_DEP_2)
	v_fma_mix_f32 v15, v98, v75, v15 op_sel_hi:[1,1,0]
	v_fma_mix_f32 v14, v67, v75, v14 op_sel:[0,1,0] op_sel_hi:[1,1,0]
	s_delay_alu instid0(VALU_DEP_2) | instskip(NEXT) | instid1(VALU_DEP_2)
	v_fma_mix_f32 v15, v99, v75, v15 op_sel:[0,1,0] op_sel_hi:[1,1,0]
	v_fma_mixlo_f16 v14, v14, v19, 0 op_sel_hi:[0,1,0]
	s_delay_alu instid0(VALU_DEP_2) | instskip(NEXT) | instid1(VALU_DEP_2)
	v_fma_mixlo_f16 v15, v15, v19, 0 op_sel:[0,1,0] op_sel_hi:[0,1,0]
	v_add_f16_e32 v70, v59, v14
	v_lshrrev_b32_e32 v14, 16, v59
	s_delay_alu instid0(VALU_DEP_1) | instskip(SKIP_2) | instid1(VALU_DEP_2)
	v_add_f16_e32 v71, v14, v15
	;; [unrolled: 30-line block ×3, first 2 shown]
	v_fma_mix_f32 v14, v48, v76, 0 op_sel_hi:[1,1,0]
	v_fma_mix_f32 v15, v92, v76, 0 op_sel_hi:[1,1,0]
	v_fma_mix_f32 v14, v49, v76, v14 op_sel:[0,1,0] op_sel_hi:[1,1,0]
	s_delay_alu instid0(VALU_DEP_2) | instskip(NEXT) | instid1(VALU_DEP_2)
	v_fma_mix_f32 v15, v93, v76, v15 op_sel:[0,1,0] op_sel_hi:[1,1,0]
	v_fma_mix_f32 v14, v50, v77, v14 op_sel_hi:[1,1,0]
	s_delay_alu instid0(VALU_DEP_2) | instskip(NEXT) | instid1(VALU_DEP_2)
	v_fma_mix_f32 v15, v94, v77, v15 op_sel_hi:[1,1,0]
	v_fma_mix_f32 v14, v51, v77, v14 op_sel:[0,1,0] op_sel_hi:[1,1,0]
	s_delay_alu instid0(VALU_DEP_2) | instskip(NEXT) | instid1(VALU_DEP_2)
	v_fma_mix_f32 v15, v95, v77, v15 op_sel:[0,1,0] op_sel_hi:[1,1,0]
	v_fma_mix_f32 v14, v52, v78, v14 op_sel_hi:[1,1,0]
	s_delay_alu instid0(VALU_DEP_2) | instskip(NEXT) | instid1(VALU_DEP_2)
	;; [unrolled: 6-line block ×3, first 2 shown]
	v_fma_mix_f32 v15, v98, v79, v15 op_sel_hi:[1,1,0]
	v_fma_mix_f32 v14, v67, v79, v14 op_sel:[0,1,0] op_sel_hi:[1,1,0]
	s_delay_alu instid0(VALU_DEP_2) | instskip(SKIP_3) | instid1(VALU_DEP_2)
	v_fma_mix_f32 v15, v99, v79, v15 op_sel:[0,1,0] op_sel_hi:[1,1,0]
	ds_load_b128 v[76:79], v27 offset:768
	v_fma_mixlo_f16 v14, v14, v19, 0 op_sel_hi:[0,1,0]
	v_fma_mixlo_f16 v15, v15, v19, 0 op_sel:[0,1,0] op_sel_hi:[0,1,0]
	v_add_f16_e32 v74, v55, v14
	v_lshrrev_b32_e32 v14, 16, v55
	s_delay_alu instid0(VALU_DEP_1) | instskip(SKIP_3) | instid1(VALU_DEP_2)
	v_add_f16_e32 v75, v14, v15
	s_wait_dscnt 0x0
	v_fma_mix_f32 v14, v20, v76, 0 op_sel_hi:[1,1,0]
	v_fma_mix_f32 v15, v40, v76, 0 op_sel_hi:[1,1,0]
	v_fma_mix_f32 v14, v21, v76, v14 op_sel:[0,1,0] op_sel_hi:[1,1,0]
	s_delay_alu instid0(VALU_DEP_2) | instskip(NEXT) | instid1(VALU_DEP_2)
	v_fma_mix_f32 v15, v41, v76, v15 op_sel:[0,1,0] op_sel_hi:[1,1,0]
	v_fma_mix_f32 v14, v34, v77, v14 op_sel_hi:[1,1,0]
	s_delay_alu instid0(VALU_DEP_2) | instskip(NEXT) | instid1(VALU_DEP_2)
	v_fma_mix_f32 v15, v42, v77, v15 op_sel_hi:[1,1,0]
	v_fma_mix_f32 v14, v35, v77, v14 op_sel:[0,1,0] op_sel_hi:[1,1,0]
	s_delay_alu instid0(VALU_DEP_2) | instskip(NEXT) | instid1(VALU_DEP_2)
	v_fma_mix_f32 v15, v43, v77, v15 op_sel:[0,1,0] op_sel_hi:[1,1,0]
	v_fma_mix_f32 v14, v36, v78, v14 op_sel_hi:[1,1,0]
	s_delay_alu instid0(VALU_DEP_2) | instskip(NEXT) | instid1(VALU_DEP_2)
	;; [unrolled: 6-line block ×3, first 2 shown]
	v_fma_mix_f32 v15, v46, v79, v15 op_sel_hi:[1,1,0]
	v_fma_mix_f32 v14, v39, v79, v14 op_sel:[0,1,0] op_sel_hi:[1,1,0]
	s_delay_alu instid0(VALU_DEP_2) | instskip(NEXT) | instid1(VALU_DEP_2)
	v_fma_mix_f32 v15, v47, v79, v15 op_sel:[0,1,0] op_sel_hi:[1,1,0]
	v_fma_mixlo_f16 v14, v14, v18, 0 op_sel_hi:[0,1,0]
	s_delay_alu instid0(VALU_DEP_2) | instskip(NEXT) | instid1(VALU_DEP_2)
	v_fma_mixlo_f16 v15, v15, v18, 0 op_sel:[0,1,0] op_sel_hi:[0,1,0]
	v_add_f16_e32 v80, v58, v14
	v_lshrrev_b32_e32 v14, 16, v58
	s_delay_alu instid0(VALU_DEP_1) | instskip(SKIP_2) | instid1(VALU_DEP_2)
	v_add_f16_e32 v81, v14, v15
	v_fma_mix_f32 v14, v48, v76, 0 op_sel_hi:[1,1,0]
	v_fma_mix_f32 v15, v92, v76, 0 op_sel_hi:[1,1,0]
	v_fma_mix_f32 v14, v49, v76, v14 op_sel:[0,1,0] op_sel_hi:[1,1,0]
	s_delay_alu instid0(VALU_DEP_2) | instskip(NEXT) | instid1(VALU_DEP_2)
	v_fma_mix_f32 v15, v93, v76, v15 op_sel:[0,1,0] op_sel_hi:[1,1,0]
	v_fma_mix_f32 v14, v50, v77, v14 op_sel_hi:[1,1,0]
	s_delay_alu instid0(VALU_DEP_2) | instskip(NEXT) | instid1(VALU_DEP_2)
	v_fma_mix_f32 v15, v94, v77, v15 op_sel_hi:[1,1,0]
	v_fma_mix_f32 v14, v51, v77, v14 op_sel:[0,1,0] op_sel_hi:[1,1,0]
	s_delay_alu instid0(VALU_DEP_2) | instskip(NEXT) | instid1(VALU_DEP_2)
	v_fma_mix_f32 v15, v95, v77, v15 op_sel:[0,1,0] op_sel_hi:[1,1,0]
	v_fma_mix_f32 v14, v52, v78, v14 op_sel_hi:[1,1,0]
	s_delay_alu instid0(VALU_DEP_2) | instskip(NEXT) | instid1(VALU_DEP_2)
	;; [unrolled: 6-line block ×3, first 2 shown]
	v_fma_mix_f32 v15, v98, v79, v15 op_sel_hi:[1,1,0]
	v_fma_mix_f32 v14, v67, v79, v14 op_sel:[0,1,0] op_sel_hi:[1,1,0]
	s_delay_alu instid0(VALU_DEP_2) | instskip(NEXT) | instid1(VALU_DEP_2)
	v_fma_mix_f32 v15, v99, v79, v15 op_sel:[0,1,0] op_sel_hi:[1,1,0]
	v_fma_mixlo_f16 v14, v14, v19, 0 op_sel_hi:[0,1,0]
	s_delay_alu instid0(VALU_DEP_2) | instskip(NEXT) | instid1(VALU_DEP_2)
	v_fma_mixlo_f16 v15, v15, v19, 0 op_sel:[0,1,0] op_sel_hi:[0,1,0]
	v_add_f16_e32 v82, v57, v14
	v_lshrrev_b32_e32 v14, 16, v57
	ds_load_b128 v[56:59], v27 offset:1024
	v_add_f16_e32 v83, v14, v15
	s_wait_dscnt 0x0
	v_fma_mix_f32 v14, v20, v56, 0 op_sel_hi:[1,1,0]
	v_fma_mix_f32 v15, v40, v56, 0 op_sel_hi:[1,1,0]
	s_delay_alu instid0(VALU_DEP_2) | instskip(NEXT) | instid1(VALU_DEP_2)
	v_fma_mix_f32 v14, v21, v56, v14 op_sel:[0,1,0] op_sel_hi:[1,1,0]
	v_fma_mix_f32 v15, v41, v56, v15 op_sel:[0,1,0] op_sel_hi:[1,1,0]
	s_delay_alu instid0(VALU_DEP_2) | instskip(NEXT) | instid1(VALU_DEP_2)
	v_fma_mix_f32 v14, v34, v57, v14 op_sel_hi:[1,1,0]
	v_fma_mix_f32 v15, v42, v57, v15 op_sel_hi:[1,1,0]
	s_delay_alu instid0(VALU_DEP_2) | instskip(NEXT) | instid1(VALU_DEP_2)
	v_fma_mix_f32 v14, v35, v57, v14 op_sel:[0,1,0] op_sel_hi:[1,1,0]
	v_fma_mix_f32 v15, v43, v57, v15 op_sel:[0,1,0] op_sel_hi:[1,1,0]
	s_delay_alu instid0(VALU_DEP_2) | instskip(NEXT) | instid1(VALU_DEP_2)
	v_fma_mix_f32 v14, v36, v58, v14 op_sel_hi:[1,1,0]
	v_fma_mix_f32 v15, v44, v58, v15 op_sel_hi:[1,1,0]
	s_delay_alu instid0(VALU_DEP_2) | instskip(NEXT) | instid1(VALU_DEP_2)
	v_fma_mix_f32 v14, v37, v58, v14 op_sel:[0,1,0] op_sel_hi:[1,1,0]
	v_fma_mix_f32 v15, v45, v58, v15 op_sel:[0,1,0] op_sel_hi:[1,1,0]
	s_delay_alu instid0(VALU_DEP_2) | instskip(NEXT) | instid1(VALU_DEP_2)
	v_fma_mix_f32 v14, v38, v59, v14 op_sel_hi:[1,1,0]
	v_fma_mix_f32 v15, v46, v59, v15 op_sel_hi:[1,1,0]
	s_delay_alu instid0(VALU_DEP_2) | instskip(NEXT) | instid1(VALU_DEP_2)
	v_fma_mix_f32 v14, v39, v59, v14 op_sel:[0,1,0] op_sel_hi:[1,1,0]
	v_fma_mix_f32 v15, v47, v59, v15 op_sel:[0,1,0] op_sel_hi:[1,1,0]
	s_delay_alu instid0(VALU_DEP_2) | instskip(NEXT) | instid1(VALU_DEP_2)
	v_fma_mixlo_f16 v14, v14, v18, 0 op_sel_hi:[0,1,0]
	v_fma_mixlo_f16 v15, v15, v18, 0 op_sel:[0,1,0] op_sel_hi:[0,1,0]
	s_delay_alu instid0(VALU_DEP_2) | instskip(SKIP_1) | instid1(VALU_DEP_1)
	v_add_f16_e32 v88, v62, v14
	v_lshrrev_b32_e32 v14, 16, v62
	v_add_f16_e32 v89, v14, v15
	v_fma_mix_f32 v14, v48, v56, 0 op_sel_hi:[1,1,0]
	v_fma_mix_f32 v15, v92, v56, 0 op_sel_hi:[1,1,0]
	s_delay_alu instid0(VALU_DEP_2) | instskip(NEXT) | instid1(VALU_DEP_2)
	v_fma_mix_f32 v14, v49, v56, v14 op_sel:[0,1,0] op_sel_hi:[1,1,0]
	v_fma_mix_f32 v15, v93, v56, v15 op_sel:[0,1,0] op_sel_hi:[1,1,0]
	s_delay_alu instid0(VALU_DEP_2) | instskip(NEXT) | instid1(VALU_DEP_2)
	v_fma_mix_f32 v14, v50, v57, v14 op_sel_hi:[1,1,0]
	v_fma_mix_f32 v15, v94, v57, v15 op_sel_hi:[1,1,0]
	s_delay_alu instid0(VALU_DEP_2) | instskip(NEXT) | instid1(VALU_DEP_2)
	v_fma_mix_f32 v14, v51, v57, v14 op_sel:[0,1,0] op_sel_hi:[1,1,0]
	v_fma_mix_f32 v15, v95, v57, v15 op_sel:[0,1,0] op_sel_hi:[1,1,0]
	s_delay_alu instid0(VALU_DEP_2) | instskip(NEXT) | instid1(VALU_DEP_2)
	v_fma_mix_f32 v14, v52, v58, v14 op_sel_hi:[1,1,0]
	v_fma_mix_f32 v15, v96, v58, v15 op_sel_hi:[1,1,0]
	s_delay_alu instid0(VALU_DEP_2) | instskip(NEXT) | instid1(VALU_DEP_2)
	v_fma_mix_f32 v14, v53, v58, v14 op_sel:[0,1,0] op_sel_hi:[1,1,0]
	v_fma_mix_f32 v15, v97, v58, v15 op_sel:[0,1,0] op_sel_hi:[1,1,0]
	s_delay_alu instid0(VALU_DEP_2) | instskip(NEXT) | instid1(VALU_DEP_2)
	v_fma_mix_f32 v14, v54, v59, v14 op_sel_hi:[1,1,0]
	v_fma_mix_f32 v15, v98, v59, v15 op_sel_hi:[1,1,0]
	s_delay_alu instid0(VALU_DEP_2) | instskip(NEXT) | instid1(VALU_DEP_2)
	v_fma_mix_f32 v14, v67, v59, v14 op_sel:[0,1,0] op_sel_hi:[1,1,0]
	v_fma_mix_f32 v15, v99, v59, v15 op_sel:[0,1,0] op_sel_hi:[1,1,0]
	ds_load_b128 v[56:59], v27 offset:1280
	v_fma_mixlo_f16 v14, v14, v19, 0 op_sel_hi:[0,1,0]
	v_fma_mixlo_f16 v15, v15, v19, 0 op_sel:[0,1,0] op_sel_hi:[0,1,0]
	s_delay_alu instid0(VALU_DEP_2) | instskip(SKIP_1) | instid1(VALU_DEP_1)
	v_add_f16_e32 v90, v61, v14
	v_lshrrev_b32_e32 v14, 16, v61
	v_add_f16_e32 v91, v14, v15
	s_wait_dscnt 0x0
	v_fma_mix_f32 v14, v20, v56, 0 op_sel_hi:[1,1,0]
	v_fma_mix_f32 v15, v40, v56, 0 op_sel_hi:[1,1,0]
	s_delay_alu instid0(VALU_DEP_2) | instskip(NEXT) | instid1(VALU_DEP_2)
	v_fma_mix_f32 v14, v21, v56, v14 op_sel:[0,1,0] op_sel_hi:[1,1,0]
	v_fma_mix_f32 v15, v41, v56, v15 op_sel:[0,1,0] op_sel_hi:[1,1,0]
	s_delay_alu instid0(VALU_DEP_2) | instskip(NEXT) | instid1(VALU_DEP_2)
	v_fma_mix_f32 v14, v34, v57, v14 op_sel_hi:[1,1,0]
	v_fma_mix_f32 v15, v42, v57, v15 op_sel_hi:[1,1,0]
	s_delay_alu instid0(VALU_DEP_2) | instskip(NEXT) | instid1(VALU_DEP_2)
	v_fma_mix_f32 v14, v35, v57, v14 op_sel:[0,1,0] op_sel_hi:[1,1,0]
	v_fma_mix_f32 v15, v43, v57, v15 op_sel:[0,1,0] op_sel_hi:[1,1,0]
	s_delay_alu instid0(VALU_DEP_2) | instskip(NEXT) | instid1(VALU_DEP_2)
	v_fma_mix_f32 v14, v36, v58, v14 op_sel_hi:[1,1,0]
	v_fma_mix_f32 v15, v44, v58, v15 op_sel_hi:[1,1,0]
	s_delay_alu instid0(VALU_DEP_2) | instskip(NEXT) | instid1(VALU_DEP_2)
	v_fma_mix_f32 v14, v37, v58, v14 op_sel:[0,1,0] op_sel_hi:[1,1,0]
	v_fma_mix_f32 v15, v45, v58, v15 op_sel:[0,1,0] op_sel_hi:[1,1,0]
	s_delay_alu instid0(VALU_DEP_2) | instskip(NEXT) | instid1(VALU_DEP_2)
	v_fma_mix_f32 v14, v38, v59, v14 op_sel_hi:[1,1,0]
	v_fma_mix_f32 v15, v46, v59, v15 op_sel_hi:[1,1,0]
	s_delay_alu instid0(VALU_DEP_2) | instskip(NEXT) | instid1(VALU_DEP_2)
	v_fma_mix_f32 v14, v39, v59, v14 op_sel:[0,1,0] op_sel_hi:[1,1,0]
	v_fma_mix_f32 v15, v47, v59, v15 op_sel:[0,1,0] op_sel_hi:[1,1,0]
	s_delay_alu instid0(VALU_DEP_2) | instskip(NEXT) | instid1(VALU_DEP_2)
	v_fma_mixlo_f16 v14, v14, v18, 0 op_sel_hi:[0,1,0]
	v_fma_mixlo_f16 v15, v15, v18, 0 op_sel:[0,1,0] op_sel_hi:[0,1,0]
	s_delay_alu instid0(VALU_DEP_2) | instskip(SKIP_1) | instid1(VALU_DEP_1)
	v_add_f16_e32 v84, v64, v14
	v_lshrrev_b32_e32 v14, 16, v64
	v_add_f16_e32 v85, v14, v15
	v_fma_mix_f32 v14, v48, v56, 0 op_sel_hi:[1,1,0]
	v_fma_mix_f32 v15, v92, v56, 0 op_sel_hi:[1,1,0]
	s_delay_alu instid0(VALU_DEP_2) | instskip(NEXT) | instid1(VALU_DEP_2)
	v_fma_mix_f32 v14, v49, v56, v14 op_sel:[0,1,0] op_sel_hi:[1,1,0]
	v_fma_mix_f32 v15, v93, v56, v15 op_sel:[0,1,0] op_sel_hi:[1,1,0]
	s_delay_alu instid0(VALU_DEP_2) | instskip(NEXT) | instid1(VALU_DEP_2)
	v_fma_mix_f32 v14, v50, v57, v14 op_sel_hi:[1,1,0]
	v_fma_mix_f32 v15, v94, v57, v15 op_sel_hi:[1,1,0]
	s_delay_alu instid0(VALU_DEP_2) | instskip(NEXT) | instid1(VALU_DEP_2)
	v_fma_mix_f32 v14, v51, v57, v14 op_sel:[0,1,0] op_sel_hi:[1,1,0]
	v_fma_mix_f32 v15, v95, v57, v15 op_sel:[0,1,0] op_sel_hi:[1,1,0]
	s_delay_alu instid0(VALU_DEP_2) | instskip(NEXT) | instid1(VALU_DEP_2)
	v_fma_mix_f32 v14, v52, v58, v14 op_sel_hi:[1,1,0]
	v_fma_mix_f32 v15, v96, v58, v15 op_sel_hi:[1,1,0]
	s_delay_alu instid0(VALU_DEP_2) | instskip(NEXT) | instid1(VALU_DEP_2)
	v_fma_mix_f32 v14, v53, v58, v14 op_sel:[0,1,0] op_sel_hi:[1,1,0]
	v_fma_mix_f32 v15, v97, v58, v15 op_sel:[0,1,0] op_sel_hi:[1,1,0]
	s_delay_alu instid0(VALU_DEP_2) | instskip(NEXT) | instid1(VALU_DEP_2)
	v_fma_mix_f32 v14, v54, v59, v14 op_sel_hi:[1,1,0]
	v_fma_mix_f32 v15, v98, v59, v15 op_sel_hi:[1,1,0]
	s_delay_alu instid0(VALU_DEP_2) | instskip(NEXT) | instid1(VALU_DEP_2)
	v_fma_mix_f32 v14, v67, v59, v14 op_sel:[0,1,0] op_sel_hi:[1,1,0]
	v_fma_mix_f32 v15, v99, v59, v15 op_sel:[0,1,0] op_sel_hi:[1,1,0]
	ds_load_b128 v[56:59], v27 offset:1536
	v_fma_mixlo_f16 v14, v14, v19, 0 op_sel_hi:[0,1,0]
	v_fma_mixlo_f16 v15, v15, v19, 0 op_sel:[0,1,0] op_sel_hi:[0,1,0]
	s_delay_alu instid0(VALU_DEP_2) | instskip(SKIP_1) | instid1(VALU_DEP_1)
	v_add_f16_e32 v86, v63, v14
	v_lshrrev_b32_e32 v14, 16, v63
	;; [unrolled: 61-line block ×3, first 2 shown]
	v_add_f16_e32 v79, v14, v15
	s_wait_dscnt 0x0
	v_fma_mix_f32 v14, v20, v56, 0 op_sel_hi:[1,1,0]
	v_fma_mix_f32 v15, v40, v56, 0 op_sel_hi:[1,1,0]
	s_delay_alu instid0(VALU_DEP_2) | instskip(NEXT) | instid1(VALU_DEP_2)
	v_fma_mix_f32 v14, v21, v56, v14 op_sel:[0,1,0] op_sel_hi:[1,1,0]
	v_fma_mix_f32 v15, v41, v56, v15 op_sel:[0,1,0] op_sel_hi:[1,1,0]
	s_delay_alu instid0(VALU_DEP_2) | instskip(NEXT) | instid1(VALU_DEP_2)
	v_fma_mix_f32 v14, v34, v57, v14 op_sel_hi:[1,1,0]
	v_fma_mix_f32 v15, v42, v57, v15 op_sel_hi:[1,1,0]
	s_delay_alu instid0(VALU_DEP_2) | instskip(NEXT) | instid1(VALU_DEP_2)
	v_fma_mix_f32 v14, v35, v57, v14 op_sel:[0,1,0] op_sel_hi:[1,1,0]
	v_fma_mix_f32 v15, v43, v57, v15 op_sel:[0,1,0] op_sel_hi:[1,1,0]
	s_delay_alu instid0(VALU_DEP_2) | instskip(NEXT) | instid1(VALU_DEP_2)
	;; [unrolled: 6-line block ×4, first 2 shown]
	v_fma_mixlo_f16 v14, v14, v18, 0 op_sel_hi:[0,1,0]
	v_fma_mixlo_f16 v15, v15, v18, 0 op_sel:[0,1,0] op_sel_hi:[0,1,0]
	s_delay_alu instid0(VALU_DEP_2) | instskip(SKIP_2) | instid1(VALU_DEP_2)
	v_add_f16_e32 v21, v32, v14
	v_lshrrev_b32_e32 v14, 16, v32
	v_fma_mix_f32 v32, v92, v56, 0 op_sel_hi:[1,1,0]
	v_add_f16_e32 v20, v14, v15
	v_fma_mix_f32 v14, v48, v56, 0 op_sel_hi:[1,1,0]
	s_delay_alu instid0(VALU_DEP_3) | instskip(NEXT) | instid1(VALU_DEP_2)
	v_fma_mix_f32 v32, v93, v56, v32 op_sel:[0,1,0] op_sel_hi:[1,1,0]
	v_fma_mix_f32 v14, v49, v56, v14 op_sel:[0,1,0] op_sel_hi:[1,1,0]
	s_delay_alu instid0(VALU_DEP_2) | instskip(NEXT) | instid1(VALU_DEP_2)
	v_fma_mix_f32 v32, v94, v57, v32 op_sel_hi:[1,1,0]
	v_fma_mix_f32 v14, v50, v57, v14 op_sel_hi:[1,1,0]
	s_delay_alu instid0(VALU_DEP_2) | instskip(NEXT) | instid1(VALU_DEP_2)
	v_fma_mix_f32 v32, v95, v57, v32 op_sel:[0,1,0] op_sel_hi:[1,1,0]
	v_fma_mix_f32 v14, v51, v57, v14 op_sel:[0,1,0] op_sel_hi:[1,1,0]
	s_delay_alu instid0(VALU_DEP_2) | instskip(NEXT) | instid1(VALU_DEP_2)
	v_fma_mix_f32 v32, v96, v58, v32 op_sel_hi:[1,1,0]
	v_fma_mix_f32 v14, v52, v58, v14 op_sel_hi:[1,1,0]
	s_delay_alu instid0(VALU_DEP_2) | instskip(NEXT) | instid1(VALU_DEP_2)
	;; [unrolled: 6-line block ×3, first 2 shown]
	v_fma_mix_f32 v32, v99, v59, v32 op_sel:[0,1,0] op_sel_hi:[1,1,0]
	v_fma_mix_f32 v14, v67, v59, v14 op_sel:[0,1,0] op_sel_hi:[1,1,0]
	s_delay_alu instid0(VALU_DEP_2) | instskip(NEXT) | instid1(VALU_DEP_2)
	v_fma_mixlo_f16 v32, v32, v19, 0 op_sel:[0,1,0] op_sel_hi:[0,1,0]
	v_fma_mixlo_f16 v14, v14, v19, 0 op_sel_hi:[0,1,0]
	s_delay_alu instid0(VALU_DEP_1) | instskip(SKIP_1) | instid1(VALU_DEP_1)
	v_add_f16_e32 v15, v33, v14
	v_lshrrev_b32_e32 v14, 16, v33
	v_add_f16_e32 v14, v14, v32
	global_load_b128 v[32:35], v[12:13], off
	s_wait_xcnt 0x0
	v_add_nc_u64_e32 v[12:13], s[6:7], v[12:13]
	global_load_b128 v[92:95], v[12:13], off
	s_wait_loadcnt 0x1
	v_and_b32_e32 v36, 0xff, v32
	s_delay_alu instid0(VALU_DEP_1) | instskip(NEXT) | instid1(VALU_DEP_1)
	v_sub_nc_u32_e32 v36, v36, v31
	v_cvt_f32_i32_e32 v36, v36
	s_delay_alu instid0(VALU_DEP_1) | instskip(SKIP_1) | instid1(VALU_DEP_1)
	v_cvt_f16_f32_e32 v47, v36
	v_bfe_u32 v36, v32, 8, 8
	v_sub_nc_u32_e32 v36, v36, v31
	s_delay_alu instid0(VALU_DEP_1) | instskip(NEXT) | instid1(VALU_DEP_1)
	v_cvt_f32_i32_e32 v36, v36
	v_cvt_f16_f32_e32 v50, v36
	v_bfe_u32 v36, v32, 16, 8
	s_delay_alu instid0(VALU_DEP_1) | instskip(NEXT) | instid1(VALU_DEP_1)
	v_dual_lshrrev_b32 v32, 24, v32 :: v_dual_sub_nc_u32 v36, v36, v31
	v_sub_nc_u32_e32 v32, v32, v31
	s_delay_alu instid0(VALU_DEP_2) | instskip(NEXT) | instid1(VALU_DEP_2)
	v_cvt_f32_i32_e32 v36, v36
	v_cvt_f32_i32_e32 v32, v32
	s_delay_alu instid0(VALU_DEP_2) | instskip(NEXT) | instid1(VALU_DEP_2)
	v_cvt_f16_f32_e32 v53, v36
	v_cvt_f16_f32_e32 v56, v32
	s_wait_loadcnt 0x0
	v_and_b32_e32 v32, 0xff, v92
	s_delay_alu instid0(VALU_DEP_1) | instskip(NEXT) | instid1(VALU_DEP_1)
	v_sub_nc_u32_e32 v32, v32, v31
	v_cvt_f32_i32_e32 v32, v32
	s_delay_alu instid0(VALU_DEP_1) | instskip(SKIP_1) | instid1(VALU_DEP_1)
	v_cvt_f16_f32_e32 v59, v32
	v_bfe_u32 v32, v92, 8, 8
	v_sub_nc_u32_e32 v32, v32, v31
	s_delay_alu instid0(VALU_DEP_1) | instskip(NEXT) | instid1(VALU_DEP_1)
	v_cvt_f32_i32_e32 v32, v32
	v_cvt_f16_f32_e32 v62, v32
	v_bfe_u32 v32, v92, 16, 8
	s_delay_alu instid0(VALU_DEP_1) | instskip(NEXT) | instid1(VALU_DEP_1)
	v_sub_nc_u32_e32 v32, v32, v31
	v_cvt_f32_i32_e32 v32, v32
	s_delay_alu instid0(VALU_DEP_1) | instskip(SKIP_1) | instid1(VALU_DEP_1)
	v_cvt_f16_f32_e32 v65, v32
	v_lshrrev_b32_e32 v32, 24, v92
	v_sub_nc_u32_e32 v32, v32, v31
	s_delay_alu instid0(VALU_DEP_1) | instskip(NEXT) | instid1(VALU_DEP_1)
	v_cvt_f32_i32_e32 v32, v32
	v_cvt_f16_f32_e32 v67, v32
	v_and_b32_e32 v32, 0xff, v33
	s_delay_alu instid0(VALU_DEP_1) | instskip(NEXT) | instid1(VALU_DEP_1)
	v_sub_nc_u32_e32 v32, v32, v30
	v_cvt_f32_i32_e32 v32, v32
	s_delay_alu instid0(VALU_DEP_1) | instskip(SKIP_1) | instid1(VALU_DEP_1)
	v_cvt_f16_f32_e32 v45, v32
	v_bfe_u32 v32, v33, 8, 8
	v_sub_nc_u32_e32 v32, v32, v30
	s_delay_alu instid0(VALU_DEP_1) | instskip(NEXT) | instid1(VALU_DEP_1)
	v_cvt_f32_i32_e32 v32, v32
	v_cvt_f16_f32_e32 v48, v32
	v_bfe_u32 v32, v33, 16, 8
	s_delay_alu instid0(VALU_DEP_1) | instskip(NEXT) | instid1(VALU_DEP_1)
	v_sub_nc_u32_e32 v32, v32, v30
	v_cvt_f32_i32_e32 v32, v32
	s_delay_alu instid0(VALU_DEP_1) | instskip(SKIP_1) | instid1(VALU_DEP_1)
	v_cvt_f16_f32_e32 v51, v32
	v_lshrrev_b32_e32 v32, 24, v33
	v_sub_nc_u32_e32 v32, v32, v30
	s_delay_alu instid0(VALU_DEP_1) | instskip(NEXT) | instid1(VALU_DEP_1)
	v_cvt_f32_i32_e32 v32, v32
	v_cvt_f16_f32_e32 v54, v32
	;; [unrolled: 22-line block ×7, first 2 shown]
	v_fma_mix_f32 v32, v47, v8, 0 op_sel_hi:[1,1,0]
	s_delay_alu instid0(VALU_DEP_1) | instskip(NEXT) | instid1(VALU_DEP_1)
	v_fma_mix_f32 v32, v50, v8, v32 op_sel:[0,1,0] op_sel_hi:[1,1,0]
	v_fma_mix_f32 v32, v53, v9, v32 op_sel_hi:[1,1,0]
	s_delay_alu instid0(VALU_DEP_1) | instskip(NEXT) | instid1(VALU_DEP_1)
	v_fma_mix_f32 v32, v56, v9, v32 op_sel:[0,1,0] op_sel_hi:[1,1,0]
	v_fma_mix_f32 v32, v59, v10, v32 op_sel_hi:[1,1,0]
	s_delay_alu instid0(VALU_DEP_1) | instskip(NEXT) | instid1(VALU_DEP_1)
	v_fma_mix_f32 v32, v62, v10, v32 op_sel:[0,1,0] op_sel_hi:[1,1,0]
	v_fma_mix_f32 v32, v65, v11, v32 op_sel_hi:[1,1,0]
	s_delay_alu instid0(VALU_DEP_1) | instskip(NEXT) | instid1(VALU_DEP_1)
	v_fma_mix_f32 v32, v67, v11, v32 op_sel:[0,1,0] op_sel_hi:[1,1,0]
	v_fma_mixlo_f16 v32, v32, v18, 0 op_sel_hi:[0,1,0]
	s_delay_alu instid0(VALU_DEP_1) | instskip(SKIP_1) | instid1(VALU_DEP_1)
	v_add_f16_e32 v35, v100, v32
	v_fma_mix_f32 v32, v45, v8, 0 op_sel_hi:[1,1,0]
	v_fma_mix_f32 v32, v48, v8, v32 op_sel:[0,1,0] op_sel_hi:[1,1,0]
	s_delay_alu instid0(VALU_DEP_1) | instskip(NEXT) | instid1(VALU_DEP_1)
	v_fma_mix_f32 v32, v51, v9, v32 op_sel_hi:[1,1,0]
	v_fma_mix_f32 v32, v54, v9, v32 op_sel:[0,1,0] op_sel_hi:[1,1,0]
	s_delay_alu instid0(VALU_DEP_1) | instskip(NEXT) | instid1(VALU_DEP_1)
	v_fma_mix_f32 v32, v57, v10, v32 op_sel_hi:[1,1,0]
	v_fma_mix_f32 v32, v60, v10, v32 op_sel:[0,1,0] op_sel_hi:[1,1,0]
	s_delay_alu instid0(VALU_DEP_1) | instskip(NEXT) | instid1(VALU_DEP_1)
	v_fma_mix_f32 v32, v63, v11, v32 op_sel_hi:[1,1,0]
	v_fma_mix_f32 v32, v66, v11, v32 op_sel:[0,1,0] op_sel_hi:[1,1,0]
	s_delay_alu instid0(VALU_DEP_1) | instskip(NEXT) | instid1(VALU_DEP_1)
	v_fma_mixlo_f16 v32, v32, v18, 0 op_sel:[0,1,0] op_sel_hi:[0,1,0]
	v_add_f16_e32 v34, v101, v32
	v_fma_mix_f32 v32, v43, v8, 0 op_sel_hi:[1,1,0]
	s_delay_alu instid0(VALU_DEP_1) | instskip(NEXT) | instid1(VALU_DEP_1)
	v_fma_mix_f32 v32, v46, v8, v32 op_sel:[0,1,0] op_sel_hi:[1,1,0]
	v_fma_mix_f32 v32, v49, v9, v32 op_sel_hi:[1,1,0]
	s_delay_alu instid0(VALU_DEP_1) | instskip(NEXT) | instid1(VALU_DEP_1)
	v_fma_mix_f32 v32, v52, v9, v32 op_sel:[0,1,0] op_sel_hi:[1,1,0]
	v_fma_mix_f32 v32, v55, v10, v32 op_sel_hi:[1,1,0]
	s_delay_alu instid0(VALU_DEP_1) | instskip(NEXT) | instid1(VALU_DEP_1)
	v_fma_mix_f32 v32, v58, v10, v32 op_sel:[0,1,0] op_sel_hi:[1,1,0]
	v_fma_mix_f32 v32, v61, v11, v32 op_sel_hi:[1,1,0]
	s_delay_alu instid0(VALU_DEP_1) | instskip(NEXT) | instid1(VALU_DEP_1)
	v_fma_mix_f32 v32, v64, v11, v32 op_sel:[0,1,0] op_sel_hi:[1,1,0]
	v_fma_mixlo_f16 v32, v32, v19, 0 op_sel_hi:[0,1,0]
	s_delay_alu instid0(VALU_DEP_1) | instskip(SKIP_1) | instid1(VALU_DEP_1)
	v_add_f16_e32 v33, v102, v32
	v_fma_mix_f32 v32, v42, v8, 0 op_sel_hi:[1,1,0]
	v_fma_mix_f32 v8, v44, v8, v32 op_sel:[0,1,0] op_sel_hi:[1,1,0]
	s_delay_alu instid0(VALU_DEP_1) | instskip(NEXT) | instid1(VALU_DEP_1)
	v_fma_mix_f32 v8, v41, v9, v8 op_sel_hi:[1,1,0]
	v_fma_mix_f32 v8, v40, v9, v8 op_sel:[0,1,0] op_sel_hi:[1,1,0]
	s_delay_alu instid0(VALU_DEP_1) | instskip(NEXT) | instid1(VALU_DEP_1)
	v_fma_mix_f32 v8, v39, v10, v8 op_sel_hi:[1,1,0]
	v_fma_mix_f32 v8, v38, v10, v8 op_sel:[0,1,0] op_sel_hi:[1,1,0]
	s_delay_alu instid0(VALU_DEP_1) | instskip(NEXT) | instid1(VALU_DEP_1)
	v_fma_mix_f32 v8, v37, v11, v8 op_sel_hi:[1,1,0]
	v_fma_mix_f32 v8, v36, v11, v8 op_sel:[0,1,0] op_sel_hi:[1,1,0]
	s_delay_alu instid0(VALU_DEP_1) | instskip(NEXT) | instid1(VALU_DEP_1)
	v_fma_mixlo_f16 v8, v8, v19, 0 op_sel:[0,1,0] op_sel_hi:[0,1,0]
	v_add_f16_e32 v32, v103, v8
	ds_load_b128 v[8:11], v27 offset:272
	s_wait_dscnt 0x0
	v_fma_mix_f32 v92, v47, v8, 0 op_sel_hi:[1,1,0]
	s_delay_alu instid0(VALU_DEP_1) | instskip(NEXT) | instid1(VALU_DEP_1)
	v_fma_mix_f32 v92, v50, v8, v92 op_sel:[0,1,0] op_sel_hi:[1,1,0]
	v_fma_mix_f32 v92, v53, v9, v92 op_sel_hi:[1,1,0]
	s_delay_alu instid0(VALU_DEP_1) | instskip(NEXT) | instid1(VALU_DEP_1)
	v_fma_mix_f32 v92, v56, v9, v92 op_sel:[0,1,0] op_sel_hi:[1,1,0]
	v_fma_mix_f32 v92, v59, v10, v92 op_sel_hi:[1,1,0]
	s_delay_alu instid0(VALU_DEP_1) | instskip(NEXT) | instid1(VALU_DEP_1)
	v_fma_mix_f32 v92, v62, v10, v92 op_sel:[0,1,0] op_sel_hi:[1,1,0]
	v_fma_mix_f32 v92, v65, v11, v92 op_sel_hi:[1,1,0]
	s_delay_alu instid0(VALU_DEP_1) | instskip(NEXT) | instid1(VALU_DEP_1)
	v_fma_mix_f32 v92, v67, v11, v92 op_sel:[0,1,0] op_sel_hi:[1,1,0]
	v_fma_mixlo_f16 v92, v92, v18, 0 op_sel_hi:[0,1,0]
	s_delay_alu instid0(VALU_DEP_1) | instskip(SKIP_1) | instid1(VALU_DEP_1)
	v_add_f16_e32 v68, v68, v92
	v_fma_mix_f32 v92, v45, v8, 0 op_sel_hi:[1,1,0]
	v_fma_mix_f32 v92, v48, v8, v92 op_sel:[0,1,0] op_sel_hi:[1,1,0]
	s_delay_alu instid0(VALU_DEP_1) | instskip(NEXT) | instid1(VALU_DEP_1)
	v_fma_mix_f32 v92, v51, v9, v92 op_sel_hi:[1,1,0]
	v_fma_mix_f32 v92, v54, v9, v92 op_sel:[0,1,0] op_sel_hi:[1,1,0]
	s_delay_alu instid0(VALU_DEP_1) | instskip(NEXT) | instid1(VALU_DEP_1)
	v_fma_mix_f32 v92, v57, v10, v92 op_sel_hi:[1,1,0]
	v_fma_mix_f32 v92, v60, v10, v92 op_sel:[0,1,0] op_sel_hi:[1,1,0]
	s_delay_alu instid0(VALU_DEP_1) | instskip(NEXT) | instid1(VALU_DEP_1)
	v_fma_mix_f32 v92, v63, v11, v92 op_sel_hi:[1,1,0]
	v_fma_mix_f32 v92, v66, v11, v92 op_sel:[0,1,0] op_sel_hi:[1,1,0]
	s_delay_alu instid0(VALU_DEP_1) | instskip(NEXT) | instid1(VALU_DEP_1)
	v_fma_mixlo_f16 v92, v92, v18, 0 op_sel:[0,1,0] op_sel_hi:[0,1,0]
	v_add_f16_e32 v69, v69, v92
	v_fma_mix_f32 v92, v43, v8, 0 op_sel_hi:[1,1,0]
	s_delay_alu instid0(VALU_DEP_1) | instskip(NEXT) | instid1(VALU_DEP_1)
	v_fma_mix_f32 v92, v46, v8, v92 op_sel:[0,1,0] op_sel_hi:[1,1,0]
	v_fma_mix_f32 v92, v49, v9, v92 op_sel_hi:[1,1,0]
	s_delay_alu instid0(VALU_DEP_1) | instskip(NEXT) | instid1(VALU_DEP_1)
	v_fma_mix_f32 v92, v52, v9, v92 op_sel:[0,1,0] op_sel_hi:[1,1,0]
	v_fma_mix_f32 v92, v55, v10, v92 op_sel_hi:[1,1,0]
	s_delay_alu instid0(VALU_DEP_1) | instskip(NEXT) | instid1(VALU_DEP_1)
	v_fma_mix_f32 v92, v58, v10, v92 op_sel:[0,1,0] op_sel_hi:[1,1,0]
	v_fma_mix_f32 v92, v61, v11, v92 op_sel_hi:[1,1,0]
	s_delay_alu instid0(VALU_DEP_1) | instskip(NEXT) | instid1(VALU_DEP_1)
	v_fma_mix_f32 v92, v64, v11, v92 op_sel:[0,1,0] op_sel_hi:[1,1,0]
	v_fma_mixlo_f16 v92, v92, v19, 0 op_sel_hi:[0,1,0]
	s_delay_alu instid0(VALU_DEP_1) | instskip(SKIP_1) | instid1(VALU_DEP_1)
	v_add_f16_e32 v70, v70, v92
	v_fma_mix_f32 v92, v42, v8, 0 op_sel_hi:[1,1,0]
	v_fma_mix_f32 v8, v44, v8, v92 op_sel:[0,1,0] op_sel_hi:[1,1,0]
	s_delay_alu instid0(VALU_DEP_1) | instskip(NEXT) | instid1(VALU_DEP_1)
	v_fma_mix_f32 v8, v41, v9, v8 op_sel_hi:[1,1,0]
	v_fma_mix_f32 v8, v40, v9, v8 op_sel:[0,1,0] op_sel_hi:[1,1,0]
	s_delay_alu instid0(VALU_DEP_1) | instskip(NEXT) | instid1(VALU_DEP_1)
	v_fma_mix_f32 v8, v39, v10, v8 op_sel_hi:[1,1,0]
	v_fma_mix_f32 v8, v38, v10, v8 op_sel:[0,1,0] op_sel_hi:[1,1,0]
	s_delay_alu instid0(VALU_DEP_1) | instskip(NEXT) | instid1(VALU_DEP_1)
	v_fma_mix_f32 v8, v37, v11, v8 op_sel_hi:[1,1,0]
	v_fma_mix_f32 v8, v36, v11, v8 op_sel:[0,1,0] op_sel_hi:[1,1,0]
	s_delay_alu instid0(VALU_DEP_1) | instskip(NEXT) | instid1(VALU_DEP_1)
	v_fma_mixlo_f16 v8, v8, v19, 0 op_sel:[0,1,0] op_sel_hi:[0,1,0]
	v_add_f16_e32 v71, v71, v8
	ds_load_b128 v[8:11], v27 offset:528
	s_wait_dscnt 0x0
	;; [unrolled: 60-line block ×7, first 2 shown]
	v_fma_mix_f32 v47, v47, v8, 0 op_sel_hi:[1,1,0]
	s_delay_alu instid0(VALU_DEP_1) | instskip(NEXT) | instid1(VALU_DEP_1)
	v_fma_mix_f32 v47, v50, v8, v47 op_sel:[0,1,0] op_sel_hi:[1,1,0]
	v_fma_mix_f32 v47, v53, v9, v47 op_sel_hi:[1,1,0]
	s_delay_alu instid0(VALU_DEP_1) | instskip(NEXT) | instid1(VALU_DEP_1)
	v_fma_mix_f32 v47, v56, v9, v47 op_sel:[0,1,0] op_sel_hi:[1,1,0]
	;; [unrolled: 3-line block ×4, first 2 shown]
	v_fma_mixlo_f16 v47, v47, v18, 0 op_sel_hi:[0,1,0]
	s_delay_alu instid0(VALU_DEP_1) | instskip(SKIP_1) | instid1(VALU_DEP_1)
	v_add_f16_e32 v47, v21, v47
	v_fma_mix_f32 v21, v45, v8, 0 op_sel_hi:[1,1,0]
	v_fma_mix_f32 v21, v48, v8, v21 op_sel:[0,1,0] op_sel_hi:[1,1,0]
	s_delay_alu instid0(VALU_DEP_1) | instskip(NEXT) | instid1(VALU_DEP_1)
	v_fma_mix_f32 v21, v51, v9, v21 op_sel_hi:[1,1,0]
	v_fma_mix_f32 v21, v54, v9, v21 op_sel:[0,1,0] op_sel_hi:[1,1,0]
	s_delay_alu instid0(VALU_DEP_1) | instskip(NEXT) | instid1(VALU_DEP_1)
	;; [unrolled: 3-line block ×4, first 2 shown]
	v_fma_mixlo_f16 v21, v21, v18, 0 op_sel:[0,1,0] op_sel_hi:[0,1,0]
	v_add_f16_e32 v45, v20, v21
	v_fma_mix_f32 v20, v43, v8, 0 op_sel_hi:[1,1,0]
	s_delay_alu instid0(VALU_DEP_1) | instskip(NEXT) | instid1(VALU_DEP_1)
	v_fma_mix_f32 v20, v46, v8, v20 op_sel:[0,1,0] op_sel_hi:[1,1,0]
	v_fma_mix_f32 v20, v49, v9, v20 op_sel_hi:[1,1,0]
	s_delay_alu instid0(VALU_DEP_1) | instskip(NEXT) | instid1(VALU_DEP_1)
	v_fma_mix_f32 v20, v52, v9, v20 op_sel:[0,1,0] op_sel_hi:[1,1,0]
	v_fma_mix_f32 v20, v55, v10, v20 op_sel_hi:[1,1,0]
	s_delay_alu instid0(VALU_DEP_1) | instskip(NEXT) | instid1(VALU_DEP_1)
	v_fma_mix_f32 v20, v58, v10, v20 op_sel:[0,1,0] op_sel_hi:[1,1,0]
	v_fma_mix_f32 v20, v61, v11, v20 op_sel_hi:[1,1,0]
	s_delay_alu instid0(VALU_DEP_1) | instskip(NEXT) | instid1(VALU_DEP_1)
	v_fma_mix_f32 v20, v64, v11, v20 op_sel:[0,1,0] op_sel_hi:[1,1,0]
	v_fma_mixlo_f16 v20, v20, v19, 0 op_sel_hi:[0,1,0]
	s_delay_alu instid0(VALU_DEP_1) | instskip(SKIP_1) | instid1(VALU_DEP_1)
	v_add_f16_e32 v43, v15, v20
	v_fma_mix_f32 v15, v42, v8, 0 op_sel_hi:[1,1,0]
	v_fma_mix_f32 v8, v44, v8, v15 op_sel:[0,1,0] op_sel_hi:[1,1,0]
	s_delay_alu instid0(VALU_DEP_1) | instskip(NEXT) | instid1(VALU_DEP_1)
	v_fma_mix_f32 v8, v41, v9, v8 op_sel_hi:[1,1,0]
	v_fma_mix_f32 v8, v40, v9, v8 op_sel:[0,1,0] op_sel_hi:[1,1,0]
	s_delay_alu instid0(VALU_DEP_1) | instskip(NEXT) | instid1(VALU_DEP_1)
	;; [unrolled: 3-line block ×4, first 2 shown]
	v_fma_mixlo_f16 v8, v8, v19, 0 op_sel:[0,1,0] op_sel_hi:[0,1,0]
	v_add_f16_e32 v36, v14, v8
	v_add_nc_u64_e32 v[8:9], s[6:7], v[12:13]
	s_delay_alu instid0(VALU_DEP_1)
	v_add_nc_u64_e32 v[20:21], s[6:7], v[8:9]
	s_clause 0x1
	global_load_b128 v[12:15], v[8:9], off
	global_load_b128 v[8:11], v[20:21], off
	s_wait_loadcnt 0x1
	v_and_b32_e32 v37, 0xff, v12
	v_bfe_u32 v38, v12, 8, 8
	v_bfe_u32 v39, v12, 16, 8
	v_lshrrev_b32_e32 v12, 24, v12
	v_and_b32_e32 v44, 0xff, v13
	v_sub_nc_u32_e32 v37, v37, v31
	s_wait_loadcnt 0x0
	v_and_b32_e32 v55, 0xff, v10
	v_dual_sub_nc_u32 v38, v38, v31 :: v_dual_sub_nc_u32 v39, v39, v31
	v_sub_nc_u32_e32 v12, v12, v31
	v_cvt_f32_i32_e32 v37, v37
	s_delay_alu instid0(VALU_DEP_4) | instskip(NEXT) | instid1(VALU_DEP_4)
	v_sub_nc_u32_e32 v55, v55, v29
	v_cvt_f32_i32_e32 v38, v38
	v_cvt_f32_i32_e32 v39, v39
	v_and_b32_e32 v40, 0xff, v8
	v_cvt_f16_f32_e32 v37, v37
	v_cvt_f32_i32_e32 v55, v55
	v_cvt_f16_f32_e32 v38, v38
	v_cvt_f16_f32_e32 v39, v39
	v_cvt_f32_i32_e32 v12, v12
	v_sub_nc_u32_e32 v40, v40, v31
	v_cvt_f16_f32_e32 v95, v55
	v_bfe_u32 v55, v10, 8, 8
	v_bfe_u32 v41, v8, 8, 8
	v_cvt_f16_f32_e32 v12, v12
	v_cvt_f32_i32_e32 v40, v40
	v_bfe_u32 v42, v8, 16, 8
	s_delay_alu instid0(VALU_DEP_4) | instskip(SKIP_1) | instid1(VALU_DEP_4)
	v_dual_sub_nc_u32 v55, v55, v29 :: v_dual_sub_nc_u32 v41, v41, v31
	v_lshrrev_b32_e32 v8, 24, v8
	v_cvt_f16_f32_e32 v40, v40
	s_delay_alu instid0(VALU_DEP_4) | instskip(NEXT) | instid1(VALU_DEP_4)
	v_sub_nc_u32_e32 v42, v42, v31
	v_cvt_f32_i32_e32 v55, v55
	v_cvt_f32_i32_e32 v41, v41
	v_sub_nc_u32_e32 v8, v8, v31
	v_sub_nc_u32_e32 v44, v44, v30
	v_cvt_f32_i32_e32 v42, v42
	v_cvt_f16_f32_e32 v96, v55
	v_bfe_u32 v55, v10, 16, 8
	v_lshrrev_b32_e32 v10, 24, v10
	v_cvt_f16_f32_e32 v41, v41
	v_cvt_f16_f32_e32 v42, v42
	v_cvt_f32_i32_e32 v8, v8
	v_bfe_u32 v46, v13, 8, 8
	v_sub_nc_u32_e32 v10, v10, v29
	v_cvt_f32_i32_e32 v44, v44
	v_bfe_u32 v48, v13, 16, 8
	v_cvt_f16_f32_e32 v8, v8
	v_sub_nc_u32_e32 v46, v46, v30
	v_cvt_f32_i32_e32 v10, v10
	v_cvt_f16_f32_e32 v44, v44
	v_dual_sub_nc_u32 v48, v48, v30 :: v_dual_lshrrev_b32 v13, 24, v13
	s_delay_alu instid0(VALU_DEP_4) | instskip(NEXT) | instid1(VALU_DEP_4)
	v_cvt_f32_i32_e32 v46, v46
	v_cvt_f16_f32_e32 v98, v10
	v_and_b32_e32 v10, 0xff, v15
	s_delay_alu instid0(VALU_DEP_4)
	v_cvt_f32_i32_e32 v48, v48
	v_sub_nc_u32_e32 v13, v13, v30
	v_cvt_f16_f32_e32 v46, v46
	v_and_b32_e32 v49, 0xff, v9
	v_sub_nc_u32_e32 v10, v10, v28
	v_cvt_f16_f32_e32 v48, v48
	v_cvt_f32_i32_e32 v13, v13
	v_bfe_u32 v50, v9, 8, 8
	v_sub_nc_u32_e32 v49, v49, v30
	v_cvt_f32_i32_e32 v10, v10
	v_bfe_u32 v51, v9, 16, 8
	v_cvt_f16_f32_e32 v13, v13
	v_sub_nc_u32_e32 v50, v50, v30
	v_cvt_f32_i32_e32 v49, v49
	v_cvt_f16_f32_e32 v99, v10
	v_bfe_u32 v10, v15, 8, 8
	v_sub_nc_u32_e32 v51, v51, v30
	v_cvt_f32_i32_e32 v50, v50
	v_cvt_f16_f32_e32 v49, v49
	s_delay_alu instid0(VALU_DEP_4) | instskip(NEXT) | instid1(VALU_DEP_4)
	v_dual_lshrrev_b32 v9, 24, v9 :: v_dual_sub_nc_u32 v10, v10, v28
	v_cvt_f32_i32_e32 v51, v51
	s_delay_alu instid0(VALU_DEP_4) | instskip(SKIP_1) | instid1(VALU_DEP_4)
	v_cvt_f16_f32_e32 v50, v50
	v_and_b32_e32 v52, 0xff, v14
	v_sub_nc_u32_e32 v9, v9, v30
	v_cvt_f32_i32_e32 v10, v10
	v_cvt_f16_f32_e32 v51, v51
	v_bfe_u32 v53, v14, 8, 8
	v_sub_nc_u32_e32 v52, v52, v29
	v_cvt_f32_i32_e32 v9, v9
	v_cvt_f16_f32_e32 v100, v10
	v_bfe_u32 v10, v15, 16, 8
	;; [unrolled: 4-line block ×3, first 2 shown]
	v_sub_nc_u32_e32 v10, v10, v28
	v_cvt_f32_i32_e32 v53, v53
	v_cvt_f16_f32_e32 v52, v52
	s_delay_alu instid0(VALU_DEP_4) | instskip(NEXT) | instid1(VALU_DEP_4)
	v_dual_lshrrev_b32 v14, 24, v14 :: v_dual_sub_nc_u32 v54, v54, v29
	v_cvt_f32_i32_e32 v10, v10
	s_delay_alu instid0(VALU_DEP_4) | instskip(NEXT) | instid1(VALU_DEP_3)
	v_cvt_f16_f32_e32 v53, v53
	v_dual_sub_nc_u32 v55, v55, v29 :: v_dual_sub_nc_u32 v14, v14, v29
	s_delay_alu instid0(VALU_DEP_4) | instskip(NEXT) | instid1(VALU_DEP_4)
	v_cvt_f32_i32_e32 v54, v54
	v_cvt_f16_f32_e32 v101, v10
	v_lshrrev_b32_e32 v10, 24, v15
	s_delay_alu instid0(VALU_DEP_4) | instskip(SKIP_2) | instid1(VALU_DEP_4)
	v_cvt_f32_i32_e32 v55, v55
	v_cvt_f32_i32_e32 v14, v14
	v_cvt_f16_f32_e32 v54, v54
	v_sub_nc_u32_e32 v10, v10, v28
	s_delay_alu instid0(VALU_DEP_4) | instskip(NEXT) | instid1(VALU_DEP_4)
	v_cvt_f16_f32_e32 v97, v55
	v_cvt_f16_f32_e32 v14, v14
	s_delay_alu instid0(VALU_DEP_3) | instskip(NEXT) | instid1(VALU_DEP_1)
	v_cvt_f32_i32_e32 v10, v10
	v_cvt_f16_f32_e32 v15, v10
	v_and_b32_e32 v10, 0xff, v11
	s_delay_alu instid0(VALU_DEP_1) | instskip(NEXT) | instid1(VALU_DEP_1)
	v_sub_nc_u32_e32 v10, v10, v28
	v_cvt_f32_i32_e32 v10, v10
	s_delay_alu instid0(VALU_DEP_1) | instskip(SKIP_1) | instid1(VALU_DEP_1)
	v_cvt_f16_f32_e32 v102, v10
	v_bfe_u32 v10, v11, 8, 8
	v_sub_nc_u32_e32 v10, v10, v28
	s_delay_alu instid0(VALU_DEP_1) | instskip(NEXT) | instid1(VALU_DEP_1)
	v_cvt_f32_i32_e32 v10, v10
	v_cvt_f16_f32_e32 v103, v10
	v_bfe_u32 v10, v11, 16, 8
	s_delay_alu instid0(VALU_DEP_1) | instskip(NEXT) | instid1(VALU_DEP_1)
	v_sub_nc_u32_e32 v10, v10, v28
	v_cvt_f32_i32_e32 v10, v10
	s_delay_alu instid0(VALU_DEP_1) | instskip(SKIP_1) | instid1(VALU_DEP_1)
	v_cvt_f16_f32_e32 v104, v10
	v_lshrrev_b32_e32 v10, 24, v11
	v_sub_nc_u32_e32 v10, v10, v28
	s_delay_alu instid0(VALU_DEP_1) | instskip(NEXT) | instid1(VALU_DEP_1)
	v_cvt_f32_i32_e32 v10, v10
	v_cvt_f16_f32_e32 v11, v10
	v_fma_mix_f32 v10, v37, v4, 0 op_sel_hi:[1,1,0]
	s_delay_alu instid0(VALU_DEP_1) | instskip(NEXT) | instid1(VALU_DEP_1)
	v_fma_mix_f32 v10, v38, v4, v10 op_sel:[0,1,0] op_sel_hi:[1,1,0]
	v_fma_mix_f32 v10, v39, v5, v10 op_sel_hi:[1,1,0]
	s_delay_alu instid0(VALU_DEP_1) | instskip(NEXT) | instid1(VALU_DEP_1)
	v_fma_mix_f32 v10, v12, v5, v10 op_sel:[0,1,0] op_sel_hi:[1,1,0]
	v_fma_mix_f32 v10, v40, v6, v10 op_sel_hi:[1,1,0]
	s_delay_alu instid0(VALU_DEP_1) | instskip(NEXT) | instid1(VALU_DEP_1)
	v_fma_mix_f32 v10, v41, v6, v10 op_sel:[0,1,0] op_sel_hi:[1,1,0]
	v_fma_mix_f32 v10, v42, v7, v10 op_sel_hi:[1,1,0]
	s_delay_alu instid0(VALU_DEP_1) | instskip(NEXT) | instid1(VALU_DEP_1)
	v_fma_mix_f32 v10, v8, v7, v10 op_sel:[0,1,0] op_sel_hi:[1,1,0]
	v_fma_mixlo_f16 v10, v10, v18, 0 op_sel_hi:[0,1,0]
	s_delay_alu instid0(VALU_DEP_1) | instskip(SKIP_1) | instid1(VALU_DEP_1)
	v_add_f16_e32 v105, v35, v10
	v_fma_mix_f32 v10, v44, v4, 0 op_sel_hi:[1,1,0]
	v_fma_mix_f32 v10, v46, v4, v10 op_sel:[0,1,0] op_sel_hi:[1,1,0]
	s_delay_alu instid0(VALU_DEP_1) | instskip(NEXT) | instid1(VALU_DEP_1)
	v_fma_mix_f32 v10, v48, v5, v10 op_sel_hi:[1,1,0]
	v_fma_mix_f32 v10, v13, v5, v10 op_sel:[0,1,0] op_sel_hi:[1,1,0]
	s_delay_alu instid0(VALU_DEP_1) | instskip(NEXT) | instid1(VALU_DEP_1)
	v_fma_mix_f32 v10, v49, v6, v10 op_sel_hi:[1,1,0]
	v_fma_mix_f32 v10, v50, v6, v10 op_sel:[0,1,0] op_sel_hi:[1,1,0]
	s_delay_alu instid0(VALU_DEP_1) | instskip(NEXT) | instid1(VALU_DEP_1)
	v_fma_mix_f32 v10, v51, v7, v10 op_sel_hi:[1,1,0]
	v_fma_mix_f32 v10, v9, v7, v10 op_sel:[0,1,0] op_sel_hi:[1,1,0]
	s_delay_alu instid0(VALU_DEP_1) | instskip(NEXT) | instid1(VALU_DEP_1)
	v_fma_mixlo_f16 v10, v10, v18, 0 op_sel:[0,1,0] op_sel_hi:[0,1,0]
	v_add_f16_e32 v106, v34, v10
	v_fma_mix_f32 v10, v52, v4, 0 op_sel_hi:[1,1,0]
	s_delay_alu instid0(VALU_DEP_1) | instskip(NEXT) | instid1(VALU_DEP_1)
	v_fma_mix_f32 v10, v53, v4, v10 op_sel:[0,1,0] op_sel_hi:[1,1,0]
	v_fma_mix_f32 v10, v54, v5, v10 op_sel_hi:[1,1,0]
	s_delay_alu instid0(VALU_DEP_1) | instskip(NEXT) | instid1(VALU_DEP_1)
	v_fma_mix_f32 v10, v14, v5, v10 op_sel:[0,1,0] op_sel_hi:[1,1,0]
	v_fma_mix_f32 v10, v95, v6, v10 op_sel_hi:[1,1,0]
	s_delay_alu instid0(VALU_DEP_1) | instskip(NEXT) | instid1(VALU_DEP_1)
	v_fma_mix_f32 v10, v96, v6, v10 op_sel:[0,1,0] op_sel_hi:[1,1,0]
	v_fma_mix_f32 v10, v97, v7, v10 op_sel_hi:[1,1,0]
	s_delay_alu instid0(VALU_DEP_1) | instskip(NEXT) | instid1(VALU_DEP_1)
	v_fma_mix_f32 v10, v98, v7, v10 op_sel:[0,1,0] op_sel_hi:[1,1,0]
	v_fma_mixlo_f16 v10, v10, v19, 0 op_sel_hi:[0,1,0]
	s_delay_alu instid0(VALU_DEP_1) | instskip(SKIP_1) | instid1(VALU_DEP_1)
	v_add_f16_e32 v107, v33, v10
	v_fma_mix_f32 v10, v99, v4, 0 op_sel_hi:[1,1,0]
	v_fma_mix_f32 v4, v100, v4, v10 op_sel:[0,1,0] op_sel_hi:[1,1,0]
	s_delay_alu instid0(VALU_DEP_1) | instskip(NEXT) | instid1(VALU_DEP_1)
	v_fma_mix_f32 v4, v101, v5, v4 op_sel_hi:[1,1,0]
	v_fma_mix_f32 v4, v15, v5, v4 op_sel:[0,1,0] op_sel_hi:[1,1,0]
	s_delay_alu instid0(VALU_DEP_1) | instskip(NEXT) | instid1(VALU_DEP_1)
	v_fma_mix_f32 v4, v102, v6, v4 op_sel_hi:[1,1,0]
	v_fma_mix_f32 v4, v103, v6, v4 op_sel:[0,1,0] op_sel_hi:[1,1,0]
	s_delay_alu instid0(VALU_DEP_1) | instskip(NEXT) | instid1(VALU_DEP_1)
	v_fma_mix_f32 v4, v104, v7, v4 op_sel_hi:[1,1,0]
	v_fma_mix_f32 v4, v11, v7, v4 op_sel:[0,1,0] op_sel_hi:[1,1,0]
	s_delay_alu instid0(VALU_DEP_1) | instskip(NEXT) | instid1(VALU_DEP_1)
	v_fma_mixlo_f16 v4, v4, v19, 0 op_sel:[0,1,0] op_sel_hi:[0,1,0]
	v_add_f16_e32 v108, v32, v4
	ds_load_b128 v[4:7], v27 offset:288
	s_wait_dscnt 0x0
	v_fma_mix_f32 v10, v37, v4, 0 op_sel_hi:[1,1,0]
	s_delay_alu instid0(VALU_DEP_1) | instskip(NEXT) | instid1(VALU_DEP_1)
	v_fma_mix_f32 v10, v38, v4, v10 op_sel:[0,1,0] op_sel_hi:[1,1,0]
	v_fma_mix_f32 v10, v39, v5, v10 op_sel_hi:[1,1,0]
	s_delay_alu instid0(VALU_DEP_1) | instskip(NEXT) | instid1(VALU_DEP_1)
	v_fma_mix_f32 v10, v12, v5, v10 op_sel:[0,1,0] op_sel_hi:[1,1,0]
	v_fma_mix_f32 v10, v40, v6, v10 op_sel_hi:[1,1,0]
	s_delay_alu instid0(VALU_DEP_1) | instskip(NEXT) | instid1(VALU_DEP_1)
	v_fma_mix_f32 v10, v41, v6, v10 op_sel:[0,1,0] op_sel_hi:[1,1,0]
	v_fma_mix_f32 v10, v42, v7, v10 op_sel_hi:[1,1,0]
	s_delay_alu instid0(VALU_DEP_1) | instskip(NEXT) | instid1(VALU_DEP_1)
	v_fma_mix_f32 v10, v8, v7, v10 op_sel:[0,1,0] op_sel_hi:[1,1,0]
	v_fma_mixlo_f16 v10, v10, v18, 0 op_sel_hi:[0,1,0]
	s_delay_alu instid0(VALU_DEP_1) | instskip(SKIP_1) | instid1(VALU_DEP_1)
	v_add_f16_e32 v60, v68, v10
	v_fma_mix_f32 v10, v44, v4, 0 op_sel_hi:[1,1,0]
	v_fma_mix_f32 v10, v46, v4, v10 op_sel:[0,1,0] op_sel_hi:[1,1,0]
	s_delay_alu instid0(VALU_DEP_1) | instskip(NEXT) | instid1(VALU_DEP_1)
	v_fma_mix_f32 v10, v48, v5, v10 op_sel_hi:[1,1,0]
	v_fma_mix_f32 v10, v13, v5, v10 op_sel:[0,1,0] op_sel_hi:[1,1,0]
	s_delay_alu instid0(VALU_DEP_1) | instskip(NEXT) | instid1(VALU_DEP_1)
	v_fma_mix_f32 v10, v49, v6, v10 op_sel_hi:[1,1,0]
	v_fma_mix_f32 v10, v50, v6, v10 op_sel:[0,1,0] op_sel_hi:[1,1,0]
	s_delay_alu instid0(VALU_DEP_1) | instskip(NEXT) | instid1(VALU_DEP_1)
	v_fma_mix_f32 v10, v51, v7, v10 op_sel_hi:[1,1,0]
	v_fma_mix_f32 v10, v9, v7, v10 op_sel:[0,1,0] op_sel_hi:[1,1,0]
	s_delay_alu instid0(VALU_DEP_1) | instskip(NEXT) | instid1(VALU_DEP_1)
	v_fma_mixlo_f16 v10, v10, v18, 0 op_sel:[0,1,0] op_sel_hi:[0,1,0]
	v_add_f16_e32 v94, v69, v10
	v_fma_mix_f32 v10, v52, v4, 0 op_sel_hi:[1,1,0]
	s_delay_alu instid0(VALU_DEP_1) | instskip(NEXT) | instid1(VALU_DEP_1)
	v_fma_mix_f32 v10, v53, v4, v10 op_sel:[0,1,0] op_sel_hi:[1,1,0]
	v_fma_mix_f32 v10, v54, v5, v10 op_sel_hi:[1,1,0]
	s_delay_alu instid0(VALU_DEP_1) | instskip(NEXT) | instid1(VALU_DEP_1)
	v_fma_mix_f32 v10, v14, v5, v10 op_sel:[0,1,0] op_sel_hi:[1,1,0]
	v_fma_mix_f32 v10, v95, v6, v10 op_sel_hi:[1,1,0]
	s_delay_alu instid0(VALU_DEP_1) | instskip(NEXT) | instid1(VALU_DEP_1)
	v_fma_mix_f32 v10, v96, v6, v10 op_sel:[0,1,0] op_sel_hi:[1,1,0]
	v_fma_mix_f32 v10, v97, v7, v10 op_sel_hi:[1,1,0]
	s_delay_alu instid0(VALU_DEP_1) | instskip(NEXT) | instid1(VALU_DEP_1)
	v_fma_mix_f32 v10, v98, v7, v10 op_sel:[0,1,0] op_sel_hi:[1,1,0]
	v_fma_mixlo_f16 v10, v10, v19, 0 op_sel_hi:[0,1,0]
	s_delay_alu instid0(VALU_DEP_1) | instskip(SKIP_1) | instid1(VALU_DEP_1)
	v_add_f16_e32 v59, v70, v10
	v_fma_mix_f32 v10, v99, v4, 0 op_sel_hi:[1,1,0]
	v_fma_mix_f32 v4, v100, v4, v10 op_sel:[0,1,0] op_sel_hi:[1,1,0]
	s_delay_alu instid0(VALU_DEP_1) | instskip(NEXT) | instid1(VALU_DEP_1)
	v_fma_mix_f32 v4, v101, v5, v4 op_sel_hi:[1,1,0]
	v_fma_mix_f32 v4, v15, v5, v4 op_sel:[0,1,0] op_sel_hi:[1,1,0]
	s_delay_alu instid0(VALU_DEP_1) | instskip(NEXT) | instid1(VALU_DEP_1)
	v_fma_mix_f32 v4, v102, v6, v4 op_sel_hi:[1,1,0]
	v_fma_mix_f32 v4, v103, v6, v4 op_sel:[0,1,0] op_sel_hi:[1,1,0]
	s_delay_alu instid0(VALU_DEP_1) | instskip(NEXT) | instid1(VALU_DEP_1)
	v_fma_mix_f32 v4, v104, v7, v4 op_sel_hi:[1,1,0]
	v_fma_mix_f32 v4, v11, v7, v4 op_sel:[0,1,0] op_sel_hi:[1,1,0]
	s_delay_alu instid0(VALU_DEP_1) | instskip(NEXT) | instid1(VALU_DEP_1)
	v_fma_mixlo_f16 v4, v4, v19, 0 op_sel:[0,1,0] op_sel_hi:[0,1,0]
	v_add_f16_e32 v93, v71, v4
	ds_load_b128 v[4:7], v27 offset:544
	s_wait_dscnt 0x0
	;; [unrolled: 60-line block ×7, first 2 shown]
	v_fma_mix_f32 v4, v37, v76, 0 op_sel_hi:[1,1,0]
	s_delay_alu instid0(VALU_DEP_1) | instskip(NEXT) | instid1(VALU_DEP_1)
	v_fma_mix_f32 v4, v38, v76, v4 op_sel:[0,1,0] op_sel_hi:[1,1,0]
	v_fma_mix_f32 v4, v39, v77, v4 op_sel_hi:[1,1,0]
	s_delay_alu instid0(VALU_DEP_1) | instskip(NEXT) | instid1(VALU_DEP_1)
	v_fma_mix_f32 v4, v12, v77, v4 op_sel:[0,1,0] op_sel_hi:[1,1,0]
	;; [unrolled: 3-line block ×4, first 2 shown]
	v_fma_mixlo_f16 v4, v4, v18, 0 op_sel_hi:[0,1,0]
	s_delay_alu instid0(VALU_DEP_1) | instskip(SKIP_1) | instid1(VALU_DEP_1)
	v_add_f16_e32 v32, v47, v4
	v_fma_mix_f32 v4, v44, v76, 0 op_sel_hi:[1,1,0]
	v_fma_mix_f32 v4, v46, v76, v4 op_sel:[0,1,0] op_sel_hi:[1,1,0]
	s_delay_alu instid0(VALU_DEP_1) | instskip(NEXT) | instid1(VALU_DEP_1)
	v_fma_mix_f32 v4, v48, v77, v4 op_sel_hi:[1,1,0]
	v_fma_mix_f32 v4, v13, v77, v4 op_sel:[0,1,0] op_sel_hi:[1,1,0]
	s_delay_alu instid0(VALU_DEP_1) | instskip(NEXT) | instid1(VALU_DEP_1)
	;; [unrolled: 3-line block ×4, first 2 shown]
	v_fma_mixlo_f16 v4, v4, v18, 0 op_sel:[0,1,0] op_sel_hi:[0,1,0]
	v_add_f16_e32 v10, v45, v4
	v_fma_mix_f32 v4, v52, v76, 0 op_sel_hi:[1,1,0]
	s_delay_alu instid0(VALU_DEP_1) | instskip(NEXT) | instid1(VALU_DEP_1)
	v_fma_mix_f32 v4, v53, v76, v4 op_sel:[0,1,0] op_sel_hi:[1,1,0]
	v_fma_mix_f32 v4, v54, v77, v4 op_sel_hi:[1,1,0]
	s_delay_alu instid0(VALU_DEP_1) | instskip(NEXT) | instid1(VALU_DEP_1)
	v_fma_mix_f32 v4, v14, v77, v4 op_sel:[0,1,0] op_sel_hi:[1,1,0]
	;; [unrolled: 3-line block ×4, first 2 shown]
	v_fma_mixlo_f16 v4, v4, v19, 0 op_sel_hi:[0,1,0]
	s_delay_alu instid0(VALU_DEP_1) | instskip(SKIP_1) | instid1(VALU_DEP_1)
	v_add_f16_e32 v7, v43, v4
	v_fma_mix_f32 v4, v99, v76, 0 op_sel_hi:[1,1,0]
	v_fma_mix_f32 v4, v100, v76, v4 op_sel:[0,1,0] op_sel_hi:[1,1,0]
	s_delay_alu instid0(VALU_DEP_1) | instskip(NEXT) | instid1(VALU_DEP_1)
	v_fma_mix_f32 v4, v101, v77, v4 op_sel_hi:[1,1,0]
	v_fma_mix_f32 v4, v15, v77, v4 op_sel:[0,1,0] op_sel_hi:[1,1,0]
	s_delay_alu instid0(VALU_DEP_1) | instskip(NEXT) | instid1(VALU_DEP_1)
	;; [unrolled: 3-line block ×4, first 2 shown]
	v_fma_mixlo_f16 v4, v4, v19, 0 op_sel:[0,1,0] op_sel_hi:[0,1,0]
	v_add_f16_e32 v6, v36, v4
	v_add_nc_u64_e32 v[4:5], s[6:7], v[20:21]
	global_load_b128 v[12:15], v[4:5], off
	s_wait_xcnt 0x0
	v_add_nc_u64_e32 v[4:5], s[6:7], v[4:5]
	global_load_b128 v[76:79], v[4:5], off
	s_wait_loadcnt 0x1
	v_and_b32_e32 v8, 0xff, v12
	s_delay_alu instid0(VALU_DEP_1) | instskip(NEXT) | instid1(VALU_DEP_1)
	v_sub_nc_u32_e32 v8, v8, v31
	v_cvt_f32_i32_e32 v8, v8
	s_delay_alu instid0(VALU_DEP_1) | instskip(SKIP_1) | instid1(VALU_DEP_1)
	v_cvt_f16_f32_e32 v41, v8
	v_bfe_u32 v8, v12, 8, 8
	v_sub_nc_u32_e32 v8, v8, v31
	s_delay_alu instid0(VALU_DEP_1) | instskip(NEXT) | instid1(VALU_DEP_1)
	v_cvt_f32_i32_e32 v8, v8
	v_cvt_f16_f32_e32 v43, v8
	v_bfe_u32 v8, v12, 16, 8
	s_delay_alu instid0(VALU_DEP_1) | instskip(NEXT) | instid1(VALU_DEP_1)
	v_sub_nc_u32_e32 v8, v8, v31
	v_cvt_f32_i32_e32 v8, v8
	s_delay_alu instid0(VALU_DEP_1) | instskip(SKIP_1) | instid1(VALU_DEP_1)
	v_cvt_f16_f32_e32 v45, v8
	v_lshrrev_b32_e32 v8, 24, v12
	v_sub_nc_u32_e32 v8, v8, v31
	s_delay_alu instid0(VALU_DEP_1) | instskip(NEXT) | instid1(VALU_DEP_1)
	v_cvt_f32_i32_e32 v8, v8
	v_cvt_f16_f32_e32 v47, v8
	s_wait_loadcnt 0x0
	v_and_b32_e32 v8, 0xff, v76
	s_delay_alu instid0(VALU_DEP_1) | instskip(NEXT) | instid1(VALU_DEP_1)
	v_sub_nc_u32_e32 v8, v8, v31
	v_cvt_f32_i32_e32 v8, v8
	s_delay_alu instid0(VALU_DEP_1) | instskip(SKIP_1) | instid1(VALU_DEP_1)
	v_cvt_f16_f32_e32 v49, v8
	v_bfe_u32 v8, v76, 8, 8
	v_sub_nc_u32_e32 v8, v8, v31
	s_delay_alu instid0(VALU_DEP_1) | instskip(NEXT) | instid1(VALU_DEP_1)
	v_cvt_f32_i32_e32 v8, v8
	v_cvt_f16_f32_e32 v51, v8
	v_bfe_u32 v8, v76, 16, 8
	s_delay_alu instid0(VALU_DEP_1) | instskip(NEXT) | instid1(VALU_DEP_1)
	v_sub_nc_u32_e32 v8, v8, v31
	v_cvt_f32_i32_e32 v8, v8
	s_delay_alu instid0(VALU_DEP_1) | instskip(SKIP_1) | instid1(VALU_DEP_1)
	v_cvt_f16_f32_e32 v53, v8
	v_lshrrev_b32_e32 v8, 24, v76
	v_sub_nc_u32_e32 v8, v8, v31
	s_delay_alu instid0(VALU_DEP_1) | instskip(NEXT) | instid1(VALU_DEP_1)
	v_cvt_f32_i32_e32 v8, v8
	v_cvt_f16_f32_e32 v54, v8
	v_and_b32_e32 v8, 0xff, v13
	s_delay_alu instid0(VALU_DEP_1) | instskip(NEXT) | instid1(VALU_DEP_1)
	v_sub_nc_u32_e32 v8, v8, v30
	v_cvt_f32_i32_e32 v8, v8
	s_delay_alu instid0(VALU_DEP_1) | instskip(SKIP_1) | instid1(VALU_DEP_1)
	v_cvt_f16_f32_e32 v37, v8
	v_bfe_u32 v8, v13, 8, 8
	v_sub_nc_u32_e32 v8, v8, v30
	s_delay_alu instid0(VALU_DEP_1) | instskip(NEXT) | instid1(VALU_DEP_1)
	v_cvt_f32_i32_e32 v8, v8
	v_cvt_f16_f32_e32 v39, v8
	v_bfe_u32 v8, v13, 16, 8
	s_delay_alu instid0(VALU_DEP_1) | instskip(NEXT) | instid1(VALU_DEP_1)
	v_sub_nc_u32_e32 v8, v8, v30
	v_cvt_f32_i32_e32 v8, v8
	s_delay_alu instid0(VALU_DEP_1) | instskip(SKIP_1) | instid1(VALU_DEP_1)
	v_cvt_f16_f32_e32 v42, v8
	v_lshrrev_b32_e32 v8, 24, v13
	v_sub_nc_u32_e32 v8, v8, v30
	s_delay_alu instid0(VALU_DEP_1) | instskip(NEXT) | instid1(VALU_DEP_1)
	v_cvt_f32_i32_e32 v8, v8
	v_cvt_f16_f32_e32 v44, v8
	;; [unrolled: 22-line block ×3, first 2 shown]
	v_and_b32_e32 v8, 0xff, v14
	s_delay_alu instid0(VALU_DEP_1) | instskip(NEXT) | instid1(VALU_DEP_1)
	v_sub_nc_u32_e32 v8, v8, v29
	v_cvt_f32_i32_e32 v8, v8
	s_delay_alu instid0(VALU_DEP_1) | instskip(SKIP_1) | instid1(VALU_DEP_1)
	v_cvt_f16_f32_e32 v30, v8
	v_bfe_u32 v8, v14, 8, 8
	v_sub_nc_u32_e32 v8, v8, v29
	s_delay_alu instid0(VALU_DEP_1) | instskip(NEXT) | instid1(VALU_DEP_1)
	v_cvt_f32_i32_e32 v8, v8
	v_cvt_f16_f32_e32 v31, v8
	v_bfe_u32 v8, v14, 16, 8
	s_delay_alu instid0(VALU_DEP_1) | instskip(NEXT) | instid1(VALU_DEP_1)
	v_sub_nc_u32_e32 v8, v8, v29
	v_cvt_f32_i32_e32 v8, v8
	s_delay_alu instid0(VALU_DEP_1) | instskip(SKIP_2) | instid1(VALU_DEP_2)
	v_cvt_f16_f32_e32 v33, v8
	v_lshrrev_b32_e32 v8, 24, v14
	v_fma_mix_f32 v14, v41, v0, 0 op_sel_hi:[1,1,0]
	v_sub_nc_u32_e32 v8, v8, v29
	s_delay_alu instid0(VALU_DEP_2) | instskip(NEXT) | instid1(VALU_DEP_2)
	v_fma_mix_f32 v14, v43, v0, v14 op_sel:[0,1,0] op_sel_hi:[1,1,0]
	v_cvt_f32_i32_e32 v8, v8
	s_delay_alu instid0(VALU_DEP_2) | instskip(NEXT) | instid1(VALU_DEP_2)
	v_fma_mix_f32 v14, v45, v1, v14 op_sel_hi:[1,1,0]
	v_cvt_f16_f32_e32 v34, v8
	v_and_b32_e32 v8, 0xff, v78
	s_delay_alu instid0(VALU_DEP_3) | instskip(NEXT) | instid1(VALU_DEP_2)
	v_fma_mix_f32 v14, v47, v1, v14 op_sel:[0,1,0] op_sel_hi:[1,1,0]
	v_sub_nc_u32_e32 v8, v8, v29
	s_delay_alu instid0(VALU_DEP_2) | instskip(NEXT) | instid1(VALU_DEP_2)
	v_fma_mix_f32 v14, v49, v2, v14 op_sel_hi:[1,1,0]
	v_cvt_f32_i32_e32 v8, v8
	s_delay_alu instid0(VALU_DEP_2) | instskip(NEXT) | instid1(VALU_DEP_2)
	v_fma_mix_f32 v14, v51, v2, v14 op_sel:[0,1,0] op_sel_hi:[1,1,0]
	v_cvt_f16_f32_e32 v35, v8
	v_bfe_u32 v8, v78, 8, 8
	s_delay_alu instid0(VALU_DEP_3) | instskip(NEXT) | instid1(VALU_DEP_2)
	v_fma_mix_f32 v14, v53, v3, v14 op_sel_hi:[1,1,0]
	v_sub_nc_u32_e32 v8, v8, v29
	s_delay_alu instid0(VALU_DEP_2) | instskip(NEXT) | instid1(VALU_DEP_2)
	v_fma_mix_f32 v14, v54, v3, v14 op_sel:[0,1,0] op_sel_hi:[1,1,0]
	v_cvt_f32_i32_e32 v8, v8
	s_delay_alu instid0(VALU_DEP_2) | instskip(NEXT) | instid1(VALU_DEP_2)
	v_fma_mixlo_f16 v14, v14, v18, 0 op_sel_hi:[0,1,0]
	v_cvt_f16_f32_e32 v36, v8
	v_bfe_u32 v8, v78, 16, 8
	s_delay_alu instid0(VALU_DEP_3) | instskip(NEXT) | instid1(VALU_DEP_2)
	v_add_f16_e32 v14, v105, v14
	v_sub_nc_u32_e32 v8, v8, v29
	s_delay_alu instid0(VALU_DEP_1) | instskip(NEXT) | instid1(VALU_DEP_1)
	v_cvt_f32_i32_e32 v8, v8
	v_cvt_f16_f32_e32 v38, v8
	v_lshrrev_b32_e32 v8, 24, v78
	s_delay_alu instid0(VALU_DEP_1) | instskip(NEXT) | instid1(VALU_DEP_1)
	v_sub_nc_u32_e32 v8, v8, v29
	v_cvt_f32_i32_e32 v8, v8
	s_delay_alu instid0(VALU_DEP_1) | instskip(SKIP_1) | instid1(VALU_DEP_1)
	v_cvt_f16_f32_e32 v40, v8
	v_and_b32_e32 v8, 0xff, v15
	v_sub_nc_u32_e32 v8, v8, v28
	s_delay_alu instid0(VALU_DEP_1) | instskip(NEXT) | instid1(VALU_DEP_1)
	v_cvt_f32_i32_e32 v8, v8
	v_cvt_f16_f32_e32 v29, v8
	v_bfe_u32 v8, v15, 8, 8
	s_delay_alu instid0(VALU_DEP_1) | instskip(NEXT) | instid1(VALU_DEP_1)
	v_sub_nc_u32_e32 v8, v8, v28
	v_cvt_f32_i32_e32 v8, v8
	s_delay_alu instid0(VALU_DEP_1) | instskip(SKIP_1) | instid1(VALU_DEP_1)
	v_cvt_f16_f32_e32 v21, v8
	v_bfe_u32 v8, v15, 16, 8
	v_sub_nc_u32_e32 v8, v8, v28
	s_delay_alu instid0(VALU_DEP_1) | instskip(NEXT) | instid1(VALU_DEP_1)
	v_cvt_f32_i32_e32 v8, v8
	v_cvt_f16_f32_e32 v20, v8
	v_lshrrev_b32_e32 v8, 24, v15
	v_fma_mix_f32 v15, v37, v0, 0 op_sel_hi:[1,1,0]
	s_delay_alu instid0(VALU_DEP_2) | instskip(NEXT) | instid1(VALU_DEP_2)
	v_sub_nc_u32_e32 v8, v8, v28
	v_fma_mix_f32 v15, v39, v0, v15 op_sel:[0,1,0] op_sel_hi:[1,1,0]
	s_delay_alu instid0(VALU_DEP_2) | instskip(NEXT) | instid1(VALU_DEP_2)
	v_cvt_f32_i32_e32 v8, v8
	v_fma_mix_f32 v15, v42, v1, v15 op_sel_hi:[1,1,0]
	s_delay_alu instid0(VALU_DEP_2) | instskip(SKIP_1) | instid1(VALU_DEP_3)
	v_cvt_f16_f32_e32 v13, v8
	v_and_b32_e32 v8, 0xff, v79
	v_fma_mix_f32 v15, v44, v1, v15 op_sel:[0,1,0] op_sel_hi:[1,1,0]
	s_delay_alu instid0(VALU_DEP_2) | instskip(NEXT) | instid1(VALU_DEP_2)
	v_sub_nc_u32_e32 v8, v8, v28
	v_fma_mix_f32 v15, v46, v2, v15 op_sel_hi:[1,1,0]
	s_delay_alu instid0(VALU_DEP_2) | instskip(NEXT) | instid1(VALU_DEP_2)
	v_cvt_f32_i32_e32 v8, v8
	v_fma_mix_f32 v15, v48, v2, v15 op_sel:[0,1,0] op_sel_hi:[1,1,0]
	s_delay_alu instid0(VALU_DEP_2) | instskip(SKIP_1) | instid1(VALU_DEP_3)
	v_cvt_f16_f32_e32 v12, v8
	v_bfe_u32 v8, v79, 8, 8
	v_fma_mix_f32 v15, v50, v3, v15 op_sel_hi:[1,1,0]
	s_delay_alu instid0(VALU_DEP_2) | instskip(NEXT) | instid1(VALU_DEP_2)
	v_sub_nc_u32_e32 v8, v8, v28
	v_fma_mix_f32 v15, v52, v3, v15 op_sel:[0,1,0] op_sel_hi:[1,1,0]
	s_delay_alu instid0(VALU_DEP_2) | instskip(NEXT) | instid1(VALU_DEP_2)
	v_cvt_f32_i32_e32 v8, v8
	v_fma_mixlo_f16 v15, v15, v18, 0 op_sel:[0,1,0] op_sel_hi:[0,1,0]
	s_delay_alu instid0(VALU_DEP_2) | instskip(SKIP_1) | instid1(VALU_DEP_3)
	v_cvt_f16_f32_e32 v11, v8
	v_bfe_u32 v8, v79, 16, 8
	v_add_f16_e32 v15, v106, v15
	s_delay_alu instid0(VALU_DEP_2) | instskip(NEXT) | instid1(VALU_DEP_2)
	v_sub_nc_u32_e32 v8, v8, v28
	v_pack_b32_f16 v15, v14, v15
	v_fma_mix_f32 v14, v30, v0, 0 op_sel_hi:[1,1,0]
	s_delay_alu instid0(VALU_DEP_3) | instskip(NEXT) | instid1(VALU_DEP_2)
	v_cvt_f32_i32_e32 v8, v8
	v_fma_mix_f32 v14, v31, v0, v14 op_sel:[0,1,0] op_sel_hi:[1,1,0]
	s_delay_alu instid0(VALU_DEP_2) | instskip(SKIP_1) | instid1(VALU_DEP_3)
	v_cvt_f16_f32_e32 v9, v8
	v_lshrrev_b32_e32 v8, 24, v79
	v_fma_mix_f32 v14, v33, v1, v14 op_sel_hi:[1,1,0]
	s_delay_alu instid0(VALU_DEP_2) | instskip(SKIP_1) | instid1(VALU_DEP_3)
	v_sub_nc_u32_e32 v8, v8, v28
	v_fma_mix_f32 v28, v29, v0, 0 op_sel_hi:[1,1,0]
	v_fma_mix_f32 v14, v34, v1, v14 op_sel:[0,1,0] op_sel_hi:[1,1,0]
	s_delay_alu instid0(VALU_DEP_3) | instskip(NEXT) | instid1(VALU_DEP_3)
	v_cvt_f32_i32_e32 v8, v8
	v_fma_mix_f32 v0, v21, v0, v28 op_sel:[0,1,0] op_sel_hi:[1,1,0]
	s_delay_alu instid0(VALU_DEP_3) | instskip(NEXT) | instid1(VALU_DEP_3)
	v_fma_mix_f32 v14, v35, v2, v14 op_sel_hi:[1,1,0]
	v_cvt_f16_f32_e32 v8, v8
	s_delay_alu instid0(VALU_DEP_3) | instskip(NEXT) | instid1(VALU_DEP_3)
	v_fma_mix_f32 v0, v20, v1, v0 op_sel_hi:[1,1,0]
	v_fma_mix_f32 v14, v36, v2, v14 op_sel:[0,1,0] op_sel_hi:[1,1,0]
	s_delay_alu instid0(VALU_DEP_2) | instskip(NEXT) | instid1(VALU_DEP_2)
	v_fma_mix_f32 v0, v13, v1, v0 op_sel:[0,1,0] op_sel_hi:[1,1,0]
	v_fma_mix_f32 v14, v38, v3, v14 op_sel_hi:[1,1,0]
	s_delay_alu instid0(VALU_DEP_2) | instskip(NEXT) | instid1(VALU_DEP_2)
	v_fma_mix_f32 v0, v12, v2, v0 op_sel_hi:[1,1,0]
	v_fma_mix_f32 v14, v40, v3, v14 op_sel:[0,1,0] op_sel_hi:[1,1,0]
	s_delay_alu instid0(VALU_DEP_2) | instskip(NEXT) | instid1(VALU_DEP_2)
	v_fma_mix_f32 v0, v11, v2, v0 op_sel:[0,1,0] op_sel_hi:[1,1,0]
	v_fma_mixlo_f16 v14, v14, v19, 0 op_sel_hi:[0,1,0]
	s_delay_alu instid0(VALU_DEP_2) | instskip(NEXT) | instid1(VALU_DEP_2)
	v_fma_mix_f32 v0, v9, v3, v0 op_sel_hi:[1,1,0]
	v_add_f16_e32 v14, v107, v14
	s_delay_alu instid0(VALU_DEP_2) | instskip(NEXT) | instid1(VALU_DEP_1)
	v_fma_mix_f32 v0, v8, v3, v0 op_sel:[0,1,0] op_sel_hi:[1,1,0]
	v_fma_mixlo_f16 v0, v0, v19, 0 op_sel:[0,1,0] op_sel_hi:[0,1,0]
	s_delay_alu instid0(VALU_DEP_1) | instskip(NEXT) | instid1(VALU_DEP_1)
	v_add_f16_e32 v0, v108, v0
	v_pack_b32_f16 v14, v14, v0
	ds_load_b128 v[0:3], v27 offset:304
	s_wait_dscnt 0x0
	v_fma_mix_f32 v28, v41, v0, 0 op_sel_hi:[1,1,0]
	s_delay_alu instid0(VALU_DEP_1) | instskip(NEXT) | instid1(VALU_DEP_1)
	v_fma_mix_f32 v28, v43, v0, v28 op_sel:[0,1,0] op_sel_hi:[1,1,0]
	v_fma_mix_f32 v28, v45, v1, v28 op_sel_hi:[1,1,0]
	s_delay_alu instid0(VALU_DEP_1) | instskip(NEXT) | instid1(VALU_DEP_1)
	v_fma_mix_f32 v28, v47, v1, v28 op_sel:[0,1,0] op_sel_hi:[1,1,0]
	v_fma_mix_f32 v28, v49, v2, v28 op_sel_hi:[1,1,0]
	s_delay_alu instid0(VALU_DEP_1) | instskip(NEXT) | instid1(VALU_DEP_1)
	v_fma_mix_f32 v28, v51, v2, v28 op_sel:[0,1,0] op_sel_hi:[1,1,0]
	v_fma_mix_f32 v28, v53, v3, v28 op_sel_hi:[1,1,0]
	s_delay_alu instid0(VALU_DEP_1) | instskip(NEXT) | instid1(VALU_DEP_1)
	v_fma_mix_f32 v28, v54, v3, v28 op_sel:[0,1,0] op_sel_hi:[1,1,0]
	v_fma_mixlo_f16 v28, v28, v18, 0 op_sel_hi:[0,1,0]
	s_delay_alu instid0(VALU_DEP_1) | instskip(SKIP_1) | instid1(VALU_DEP_1)
	v_add_f16_e32 v28, v60, v28
	v_fma_mix_f32 v60, v37, v0, 0 op_sel_hi:[1,1,0]
	v_fma_mix_f32 v60, v39, v0, v60 op_sel:[0,1,0] op_sel_hi:[1,1,0]
	s_delay_alu instid0(VALU_DEP_1) | instskip(NEXT) | instid1(VALU_DEP_1)
	v_fma_mix_f32 v60, v42, v1, v60 op_sel_hi:[1,1,0]
	v_fma_mix_f32 v60, v44, v1, v60 op_sel:[0,1,0] op_sel_hi:[1,1,0]
	s_delay_alu instid0(VALU_DEP_1) | instskip(NEXT) | instid1(VALU_DEP_1)
	v_fma_mix_f32 v60, v46, v2, v60 op_sel_hi:[1,1,0]
	v_fma_mix_f32 v60, v48, v2, v60 op_sel:[0,1,0] op_sel_hi:[1,1,0]
	s_delay_alu instid0(VALU_DEP_1) | instskip(NEXT) | instid1(VALU_DEP_1)
	v_fma_mix_f32 v60, v50, v3, v60 op_sel_hi:[1,1,0]
	v_fma_mix_f32 v60, v52, v3, v60 op_sel:[0,1,0] op_sel_hi:[1,1,0]
	s_delay_alu instid0(VALU_DEP_1) | instskip(NEXT) | instid1(VALU_DEP_1)
	v_fma_mixlo_f16 v60, v60, v18, 0 op_sel:[0,1,0] op_sel_hi:[0,1,0]
	v_add_f16_e32 v60, v94, v60
	s_delay_alu instid0(VALU_DEP_1) | instskip(SKIP_1) | instid1(VALU_DEP_1)
	v_pack_b32_f16 v60, v28, v60
	v_fma_mix_f32 v28, v30, v0, 0 op_sel_hi:[1,1,0]
	v_fma_mix_f32 v28, v31, v0, v28 op_sel:[0,1,0] op_sel_hi:[1,1,0]
	s_delay_alu instid0(VALU_DEP_1) | instskip(NEXT) | instid1(VALU_DEP_1)
	v_fma_mix_f32 v28, v33, v1, v28 op_sel_hi:[1,1,0]
	v_fma_mix_f32 v28, v34, v1, v28 op_sel:[0,1,0] op_sel_hi:[1,1,0]
	s_delay_alu instid0(VALU_DEP_1) | instskip(NEXT) | instid1(VALU_DEP_1)
	v_fma_mix_f32 v28, v35, v2, v28 op_sel_hi:[1,1,0]
	v_fma_mix_f32 v28, v36, v2, v28 op_sel:[0,1,0] op_sel_hi:[1,1,0]
	s_delay_alu instid0(VALU_DEP_1) | instskip(NEXT) | instid1(VALU_DEP_1)
	v_fma_mix_f32 v28, v38, v3, v28 op_sel_hi:[1,1,0]
	v_fma_mix_f32 v28, v40, v3, v28 op_sel:[0,1,0] op_sel_hi:[1,1,0]
	s_delay_alu instid0(VALU_DEP_1) | instskip(NEXT) | instid1(VALU_DEP_1)
	v_fma_mixlo_f16 v28, v28, v19, 0 op_sel_hi:[0,1,0]
	v_add_f16_e32 v28, v59, v28
	v_fma_mix_f32 v59, v29, v0, 0 op_sel_hi:[1,1,0]
	s_delay_alu instid0(VALU_DEP_1) | instskip(NEXT) | instid1(VALU_DEP_1)
	v_fma_mix_f32 v0, v21, v0, v59 op_sel:[0,1,0] op_sel_hi:[1,1,0]
	v_fma_mix_f32 v0, v20, v1, v0 op_sel_hi:[1,1,0]
	s_delay_alu instid0(VALU_DEP_1) | instskip(NEXT) | instid1(VALU_DEP_1)
	v_fma_mix_f32 v0, v13, v1, v0 op_sel:[0,1,0] op_sel_hi:[1,1,0]
	v_fma_mix_f32 v0, v12, v2, v0 op_sel_hi:[1,1,0]
	s_delay_alu instid0(VALU_DEP_1) | instskip(NEXT) | instid1(VALU_DEP_1)
	v_fma_mix_f32 v0, v11, v2, v0 op_sel:[0,1,0] op_sel_hi:[1,1,0]
	v_fma_mix_f32 v0, v9, v3, v0 op_sel_hi:[1,1,0]
	s_delay_alu instid0(VALU_DEP_1) | instskip(NEXT) | instid1(VALU_DEP_1)
	v_fma_mix_f32 v0, v8, v3, v0 op_sel:[0,1,0] op_sel_hi:[1,1,0]
	v_fma_mixlo_f16 v0, v0, v19, 0 op_sel:[0,1,0] op_sel_hi:[0,1,0]
	s_delay_alu instid0(VALU_DEP_1) | instskip(NEXT) | instid1(VALU_DEP_1)
	v_add_f16_e32 v0, v93, v0
	v_pack_b32_f16 v59, v28, v0
	ds_load_b128 v[0:3], v27 offset:560
	s_wait_dscnt 0x0
	v_fma_mix_f32 v28, v41, v0, 0 op_sel_hi:[1,1,0]
	s_delay_alu instid0(VALU_DEP_1) | instskip(NEXT) | instid1(VALU_DEP_1)
	v_fma_mix_f32 v28, v43, v0, v28 op_sel:[0,1,0] op_sel_hi:[1,1,0]
	v_fma_mix_f32 v28, v45, v1, v28 op_sel_hi:[1,1,0]
	s_delay_alu instid0(VALU_DEP_1) | instskip(NEXT) | instid1(VALU_DEP_1)
	v_fma_mix_f32 v28, v47, v1, v28 op_sel:[0,1,0] op_sel_hi:[1,1,0]
	v_fma_mix_f32 v28, v49, v2, v28 op_sel_hi:[1,1,0]
	s_delay_alu instid0(VALU_DEP_1) | instskip(NEXT) | instid1(VALU_DEP_1)
	v_fma_mix_f32 v28, v51, v2, v28 op_sel:[0,1,0] op_sel_hi:[1,1,0]
	v_fma_mix_f32 v28, v53, v3, v28 op_sel_hi:[1,1,0]
	s_delay_alu instid0(VALU_DEP_1) | instskip(NEXT) | instid1(VALU_DEP_1)
	v_fma_mix_f32 v28, v54, v3, v28 op_sel:[0,1,0] op_sel_hi:[1,1,0]
	v_fma_mixlo_f16 v28, v28, v18, 0 op_sel_hi:[0,1,0]
	s_delay_alu instid0(VALU_DEP_1) | instskip(SKIP_1) | instid1(VALU_DEP_1)
	v_add_f16_e32 v28, v56, v28
	v_fma_mix_f32 v56, v37, v0, 0 op_sel_hi:[1,1,0]
	v_fma_mix_f32 v56, v39, v0, v56 op_sel:[0,1,0] op_sel_hi:[1,1,0]
	s_delay_alu instid0(VALU_DEP_1) | instskip(NEXT) | instid1(VALU_DEP_1)
	v_fma_mix_f32 v56, v42, v1, v56 op_sel_hi:[1,1,0]
	v_fma_mix_f32 v56, v44, v1, v56 op_sel:[0,1,0] op_sel_hi:[1,1,0]
	s_delay_alu instid0(VALU_DEP_1) | instskip(NEXT) | instid1(VALU_DEP_1)
	v_fma_mix_f32 v56, v46, v2, v56 op_sel_hi:[1,1,0]
	v_fma_mix_f32 v56, v48, v2, v56 op_sel:[0,1,0] op_sel_hi:[1,1,0]
	s_delay_alu instid0(VALU_DEP_1) | instskip(NEXT) | instid1(VALU_DEP_1)
	v_fma_mix_f32 v56, v50, v3, v56 op_sel_hi:[1,1,0]
	v_fma_mix_f32 v56, v52, v3, v56 op_sel:[0,1,0] op_sel_hi:[1,1,0]
	s_delay_alu instid0(VALU_DEP_1) | instskip(NEXT) | instid1(VALU_DEP_1)
	v_fma_mixlo_f16 v56, v56, v18, 0 op_sel:[0,1,0] op_sel_hi:[0,1,0]
	v_add_f16_e32 v56, v92, v56
	s_delay_alu instid0(VALU_DEP_1) | instskip(SKIP_1) | instid1(VALU_DEP_1)
	v_pack_b32_f16 v56, v28, v56
	v_fma_mix_f32 v28, v30, v0, 0 op_sel_hi:[1,1,0]
	v_fma_mix_f32 v28, v31, v0, v28 op_sel:[0,1,0] op_sel_hi:[1,1,0]
	s_delay_alu instid0(VALU_DEP_1) | instskip(NEXT) | instid1(VALU_DEP_1)
	v_fma_mix_f32 v28, v33, v1, v28 op_sel_hi:[1,1,0]
	v_fma_mix_f32 v28, v34, v1, v28 op_sel:[0,1,0] op_sel_hi:[1,1,0]
	s_delay_alu instid0(VALU_DEP_1) | instskip(NEXT) | instid1(VALU_DEP_1)
	v_fma_mix_f32 v28, v35, v2, v28 op_sel_hi:[1,1,0]
	v_fma_mix_f32 v28, v36, v2, v28 op_sel:[0,1,0] op_sel_hi:[1,1,0]
	s_delay_alu instid0(VALU_DEP_1) | instskip(NEXT) | instid1(VALU_DEP_1)
	v_fma_mix_f32 v28, v38, v3, v28 op_sel_hi:[1,1,0]
	v_fma_mix_f32 v28, v40, v3, v28 op_sel:[0,1,0] op_sel_hi:[1,1,0]
	s_delay_alu instid0(VALU_DEP_1) | instskip(NEXT) | instid1(VALU_DEP_1)
	v_fma_mixlo_f16 v28, v28, v19, 0 op_sel_hi:[0,1,0]
	v_add_f16_e32 v28, v55, v28
	v_fma_mix_f32 v55, v29, v0, 0 op_sel_hi:[1,1,0]
	s_delay_alu instid0(VALU_DEP_1) | instskip(NEXT) | instid1(VALU_DEP_1)
	v_fma_mix_f32 v0, v21, v0, v55 op_sel:[0,1,0] op_sel_hi:[1,1,0]
	v_fma_mix_f32 v0, v20, v1, v0 op_sel_hi:[1,1,0]
	s_delay_alu instid0(VALU_DEP_1) | instskip(NEXT) | instid1(VALU_DEP_1)
	v_fma_mix_f32 v0, v13, v1, v0 op_sel:[0,1,0] op_sel_hi:[1,1,0]
	v_fma_mix_f32 v0, v12, v2, v0 op_sel_hi:[1,1,0]
	s_delay_alu instid0(VALU_DEP_1) | instskip(NEXT) | instid1(VALU_DEP_1)
	v_fma_mix_f32 v0, v11, v2, v0 op_sel:[0,1,0] op_sel_hi:[1,1,0]
	v_fma_mix_f32 v0, v9, v3, v0 op_sel_hi:[1,1,0]
	s_delay_alu instid0(VALU_DEP_1) | instskip(NEXT) | instid1(VALU_DEP_1)
	;; [unrolled: 63-line block ×6, first 2 shown]
	v_fma_mix_f32 v0, v8, v3, v0 op_sel:[0,1,0] op_sel_hi:[1,1,0]
	v_fma_mixlo_f16 v0, v0, v19, 0 op_sel:[0,1,0] op_sel_hi:[0,1,0]
	s_delay_alu instid0(VALU_DEP_1) | instskip(NEXT) | instid1(VALU_DEP_1)
	v_add_f16_e32 v0, v67, v0
	v_pack_b32_f16 v65, v28, v0
	ds_load_b128 v[0:3], v27 offset:1840
	s_wait_dscnt 0x0
	v_fma_mix_f32 v27, v41, v0, 0 op_sel_hi:[1,1,0]
	v_fma_mix_f32 v28, v37, v0, 0 op_sel_hi:[1,1,0]
	s_delay_alu instid0(VALU_DEP_2) | instskip(NEXT) | instid1(VALU_DEP_2)
	v_fma_mix_f32 v27, v43, v0, v27 op_sel:[0,1,0] op_sel_hi:[1,1,0]
	v_fma_mix_f32 v28, v39, v0, v28 op_sel:[0,1,0] op_sel_hi:[1,1,0]
	s_delay_alu instid0(VALU_DEP_2) | instskip(NEXT) | instid1(VALU_DEP_2)
	v_fma_mix_f32 v27, v45, v1, v27 op_sel_hi:[1,1,0]
	v_fma_mix_f32 v28, v42, v1, v28 op_sel_hi:[1,1,0]
	s_delay_alu instid0(VALU_DEP_2) | instskip(NEXT) | instid1(VALU_DEP_2)
	v_fma_mix_f32 v27, v47, v1, v27 op_sel:[0,1,0] op_sel_hi:[1,1,0]
	v_fma_mix_f32 v28, v44, v1, v28 op_sel:[0,1,0] op_sel_hi:[1,1,0]
	s_delay_alu instid0(VALU_DEP_2) | instskip(NEXT) | instid1(VALU_DEP_2)
	v_fma_mix_f32 v27, v49, v2, v27 op_sel_hi:[1,1,0]
	v_fma_mix_f32 v28, v46, v2, v28 op_sel_hi:[1,1,0]
	s_delay_alu instid0(VALU_DEP_2) | instskip(NEXT) | instid1(VALU_DEP_2)
	v_fma_mix_f32 v27, v51, v2, v27 op_sel:[0,1,0] op_sel_hi:[1,1,0]
	v_fma_mix_f32 v28, v48, v2, v28 op_sel:[0,1,0] op_sel_hi:[1,1,0]
	s_delay_alu instid0(VALU_DEP_2) | instskip(NEXT) | instid1(VALU_DEP_2)
	v_fma_mix_f32 v27, v53, v3, v27 op_sel_hi:[1,1,0]
	v_fma_mix_f32 v28, v50, v3, v28 op_sel_hi:[1,1,0]
	s_delay_alu instid0(VALU_DEP_2) | instskip(NEXT) | instid1(VALU_DEP_2)
	v_fma_mix_f32 v27, v54, v3, v27 op_sel:[0,1,0] op_sel_hi:[1,1,0]
	v_fma_mix_f32 v28, v52, v3, v28 op_sel:[0,1,0] op_sel_hi:[1,1,0]
	s_delay_alu instid0(VALU_DEP_2) | instskip(NEXT) | instid1(VALU_DEP_2)
	v_fma_mixlo_f16 v27, v27, v18, 0 op_sel_hi:[0,1,0]
	v_fma_mixlo_f16 v28, v28, v18, 0 op_sel:[0,1,0] op_sel_hi:[0,1,0]
	s_delay_alu instid0(VALU_DEP_2) | instskip(NEXT) | instid1(VALU_DEP_2)
	v_add_f16_e32 v27, v32, v27
	v_add_f16_e32 v10, v10, v28
	s_delay_alu instid0(VALU_DEP_1) | instskip(SKIP_1) | instid1(VALU_DEP_1)
	v_pack_b32_f16 v32, v27, v10
	v_fma_mix_f32 v10, v30, v0, 0 op_sel_hi:[1,1,0]
	v_fma_mix_f32 v10, v31, v0, v10 op_sel:[0,1,0] op_sel_hi:[1,1,0]
	s_delay_alu instid0(VALU_DEP_1) | instskip(NEXT) | instid1(VALU_DEP_1)
	v_fma_mix_f32 v10, v33, v1, v10 op_sel_hi:[1,1,0]
	v_fma_mix_f32 v10, v34, v1, v10 op_sel:[0,1,0] op_sel_hi:[1,1,0]
	s_delay_alu instid0(VALU_DEP_1) | instskip(NEXT) | instid1(VALU_DEP_1)
	;; [unrolled: 3-line block ×4, first 2 shown]
	v_fma_mixlo_f16 v10, v10, v19, 0 op_sel_hi:[0,1,0]
	v_add_f16_e32 v7, v7, v10
	v_fma_mix_f32 v10, v29, v0, 0 op_sel_hi:[1,1,0]
	s_delay_alu instid0(VALU_DEP_1) | instskip(NEXT) | instid1(VALU_DEP_1)
	v_fma_mix_f32 v0, v21, v0, v10 op_sel:[0,1,0] op_sel_hi:[1,1,0]
	v_fma_mix_f32 v0, v20, v1, v0 op_sel_hi:[1,1,0]
	s_delay_alu instid0(VALU_DEP_1) | instskip(NEXT) | instid1(VALU_DEP_1)
	v_fma_mix_f32 v0, v13, v1, v0 op_sel:[0,1,0] op_sel_hi:[1,1,0]
	v_fma_mix_f32 v0, v12, v2, v0 op_sel_hi:[1,1,0]
	s_delay_alu instid0(VALU_DEP_1) | instskip(NEXT) | instid1(VALU_DEP_1)
	v_fma_mix_f32 v0, v11, v2, v0 op_sel:[0,1,0] op_sel_hi:[1,1,0]
	v_fma_mix_f32 v0, v9, v3, v0 op_sel_hi:[1,1,0]
	s_delay_alu instid0(VALU_DEP_1) | instskip(NEXT) | instid1(VALU_DEP_1)
	v_fma_mix_f32 v0, v8, v3, v0 op_sel:[0,1,0] op_sel_hi:[1,1,0]
	v_fma_mixlo_f16 v0, v0, v19, 0 op_sel:[0,1,0] op_sel_hi:[0,1,0]
	s_delay_alu instid0(VALU_DEP_1) | instskip(NEXT) | instid1(VALU_DEP_1)
	v_add_f16_e32 v0, v6, v0
	v_pack_b32_f16 v33, v7, v0
	v_add_nc_u64_e32 v[0:1], s[6:7], v[4:5]
	s_cbranch_scc1 .LBB46_24
.LBB46_22:                              ; =>This Inner Loop Header: Depth=1
	s_cmp_lg_u32 s15, s12
	s_cbranch_scc1 .LBB46_21
; %bb.23:                               ;   in Loop: Header=BB46_22 Depth=1
	s_add_co_i32 s17, s17, 1
	s_add_co_i32 s12, s12, s0
	s_mul_i32 s5, s17, s4
	s_delay_alu instid0(SALU_CYCLE_1) | instskip(SKIP_2) | instid1(SALU_CYCLE_1)
	s_ashr_i32 s13, s5, 31
	v_add_nc_u32_e32 v2, s5, v16
	s_lshr_b32 s13, s13, 30
	s_add_co_i32 s13, s5, s13
	s_delay_alu instid0(SALU_CYCLE_1) | instskip(NEXT) | instid1(SALU_CYCLE_1)
	s_ashr_i32 s5, s13, 2
	v_add_nc_u32_e32 v4, s5, v22
	global_load_b32 v4, v4, s[2:3] scale_offset
	s_wait_loadcnt 0x0
	v_dual_ashrrev_i32 v3, 31, v2 :: v_dual_lshrrev_b32 v26, 24, v4
	s_delay_alu instid0(VALU_DEP_1)
	v_lshl_add_u64 v[2:3], v[2:3], 1, s[8:9]
	v_and_b32_e32 v17, 0xff, v4
	v_bfe_u32 v24, v4, 8, 8
	v_bfe_u32 v25, v4, 16, 8
	global_load_b64 v[18:19], v[2:3], off
	s_branch .LBB46_21
.LBB46_24:
	v_mad_u32 v0, s14, s4, v16
	s_mov_b32 s0, 0
	s_delay_alu instid0(VALU_DEP_1) | instskip(SKIP_1) | instid1(VALU_DEP_1)
	v_ashrrev_i32_e32 v1, 31, v0
	s_wait_kmcnt 0x0
	v_lshl_add_u64 v[2:3], v[0:1], 1, s[10:11]
	global_load_b32 v5, v[2:3], off
.LBB46_25:                              ; =>This Inner Loop Header: Depth=1
	s_wait_loadcnt 0x0
	v_pk_add_f16 v4, v15, v5
	global_atomic_cmpswap_b32 v1, v[2:3], v[4:5], off th:TH_ATOMIC_RETURN scope:SCOPE_DEV
	s_wait_loadcnt 0x0
	v_cmp_eq_u32_e32 vcc_lo, v5, v1
	v_mov_b32_e32 v5, v1
	s_or_b32 s0, vcc_lo, s0
	s_delay_alu instid0(SALU_CYCLE_1)
	s_and_not1_b32 exec_lo, exec_lo, s0
	s_cbranch_execnz .LBB46_25
; %bb.26:
	s_or_b32 exec_lo, exec_lo, s0
	global_load_b32 v5, v[2:3], off offset:4
	s_mov_b32 s0, 0
.LBB46_27:                              ; =>This Inner Loop Header: Depth=1
	s_wait_loadcnt 0x0
	v_pk_add_f16 v4, v14, v5
	global_atomic_cmpswap_b32 v1, v[2:3], v[4:5], off offset:4 th:TH_ATOMIC_RETURN scope:SCOPE_DEV
	s_wait_loadcnt 0x0
	v_cmp_eq_u32_e32 vcc_lo, v5, v1
	v_mov_b32_e32 v5, v1
	s_or_b32 s0, vcc_lo, s0
	s_delay_alu instid0(SALU_CYCLE_1)
	s_and_not1_b32 exec_lo, exec_lo, s0
	s_cbranch_execnz .LBB46_27
; %bb.28:
	s_or_b32 exec_lo, exec_lo, s0
	v_add_nc_u32_e32 v0, s4, v0
	s_mov_b32 s0, 0
	s_delay_alu instid0(VALU_DEP_1) | instskip(NEXT) | instid1(VALU_DEP_1)
	v_ashrrev_i32_e32 v1, 31, v0
	v_lshl_add_u64 v[2:3], v[0:1], 1, s[10:11]
	global_load_b32 v5, v[2:3], off
.LBB46_29:                              ; =>This Inner Loop Header: Depth=1
	s_wait_loadcnt 0x0
	v_pk_add_f16 v4, v60, v5
	global_atomic_cmpswap_b32 v1, v[2:3], v[4:5], off th:TH_ATOMIC_RETURN scope:SCOPE_DEV
	s_wait_loadcnt 0x0
	v_cmp_eq_u32_e32 vcc_lo, v5, v1
	v_mov_b32_e32 v5, v1
	s_or_b32 s0, vcc_lo, s0
	s_delay_alu instid0(SALU_CYCLE_1)
	s_and_not1_b32 exec_lo, exec_lo, s0
	s_cbranch_execnz .LBB46_29
; %bb.30:
	s_or_b32 exec_lo, exec_lo, s0
	global_load_b32 v5, v[2:3], off offset:4
	s_mov_b32 s0, 0
.LBB46_31:                              ; =>This Inner Loop Header: Depth=1
	s_wait_loadcnt 0x0
	v_pk_add_f16 v4, v59, v5
	global_atomic_cmpswap_b32 v1, v[2:3], v[4:5], off offset:4 th:TH_ATOMIC_RETURN scope:SCOPE_DEV
	s_wait_loadcnt 0x0
	v_cmp_eq_u32_e32 vcc_lo, v5, v1
	v_mov_b32_e32 v5, v1
	s_or_b32 s0, vcc_lo, s0
	s_delay_alu instid0(SALU_CYCLE_1)
	s_and_not1_b32 exec_lo, exec_lo, s0
	s_cbranch_execnz .LBB46_31
; %bb.32:
	s_or_b32 exec_lo, exec_lo, s0
	v_add_nc_u32_e32 v0, s4, v0
	s_mov_b32 s0, 0
	s_delay_alu instid0(VALU_DEP_1) | instskip(NEXT) | instid1(VALU_DEP_1)
	v_ashrrev_i32_e32 v1, 31, v0
	;; [unrolled: 34-line block ×7, first 2 shown]
	v_lshl_add_u64 v[0:1], v[0:1], 1, s[10:11]
	global_load_b32 v3, v[0:1], off
.LBB46_53:                              ; =>This Inner Loop Header: Depth=1
	s_wait_loadcnt 0x0
	v_pk_add_f16 v2, v32, v3
	global_atomic_cmpswap_b32 v2, v[0:1], v[2:3], off th:TH_ATOMIC_RETURN scope:SCOPE_DEV
	s_wait_loadcnt 0x0
	v_cmp_eq_u32_e32 vcc_lo, v3, v2
	v_mov_b32_e32 v3, v2
	s_or_b32 s0, vcc_lo, s0
	s_delay_alu instid0(SALU_CYCLE_1)
	s_and_not1_b32 exec_lo, exec_lo, s0
	s_cbranch_execnz .LBB46_53
; %bb.54:
	s_or_b32 exec_lo, exec_lo, s0
	global_load_b32 v3, v[0:1], off offset:4
	s_mov_b32 s0, 0
.LBB46_55:                              ; =>This Inner Loop Header: Depth=1
	s_wait_loadcnt 0x0
	v_pk_add_f16 v2, v33, v3
	global_atomic_cmpswap_b32 v2, v[0:1], v[2:3], off offset:4 th:TH_ATOMIC_RETURN scope:SCOPE_DEV
	s_wait_loadcnt 0x0
	v_cmp_eq_u32_e32 vcc_lo, v3, v2
	v_mov_b32_e32 v3, v2
	s_or_b32 s0, vcc_lo, s0
	s_delay_alu instid0(SALU_CYCLE_1)
	s_and_not1_b32 exec_lo, exec_lo, s0
	s_cbranch_execnz .LBB46_55
.LBB46_56:
	s_endpgm
	.section	.rodata,"a",@progbits
	.p2align	6, 0x0
	.amdhsa_kernel _ZN4vllm4gptq33gemm_half_q_half_gptq_8bit_kernelILb1ELi8EEEvPK6__halfPKjS6_S4_PS2_iiiibPKi
		.amdhsa_group_segment_fixed_size 2048
		.amdhsa_private_segment_fixed_size 0
		.amdhsa_kernarg_size 72
		.amdhsa_user_sgpr_count 2
		.amdhsa_user_sgpr_dispatch_ptr 0
		.amdhsa_user_sgpr_queue_ptr 0
		.amdhsa_user_sgpr_kernarg_segment_ptr 1
		.amdhsa_user_sgpr_dispatch_id 0
		.amdhsa_user_sgpr_kernarg_preload_length 0
		.amdhsa_user_sgpr_kernarg_preload_offset 0
		.amdhsa_user_sgpr_private_segment_size 0
		.amdhsa_wavefront_size32 1
		.amdhsa_uses_dynamic_stack 0
		.amdhsa_enable_private_segment 0
		.amdhsa_system_sgpr_workgroup_id_x 1
		.amdhsa_system_sgpr_workgroup_id_y 1
		.amdhsa_system_sgpr_workgroup_id_z 1
		.amdhsa_system_sgpr_workgroup_info 0
		.amdhsa_system_vgpr_workitem_id 0
		.amdhsa_next_free_vgpr 109
		.amdhsa_next_free_sgpr 21
		.amdhsa_named_barrier_count 0
		.amdhsa_reserve_vcc 1
		.amdhsa_float_round_mode_32 0
		.amdhsa_float_round_mode_16_64 0
		.amdhsa_float_denorm_mode_32 3
		.amdhsa_float_denorm_mode_16_64 3
		.amdhsa_fp16_overflow 0
		.amdhsa_memory_ordered 1
		.amdhsa_forward_progress 1
		.amdhsa_inst_pref_size 149
		.amdhsa_round_robin_scheduling 0
		.amdhsa_exception_fp_ieee_invalid_op 0
		.amdhsa_exception_fp_denorm_src 0
		.amdhsa_exception_fp_ieee_div_zero 0
		.amdhsa_exception_fp_ieee_overflow 0
		.amdhsa_exception_fp_ieee_underflow 0
		.amdhsa_exception_fp_ieee_inexact 0
		.amdhsa_exception_int_div_zero 0
	.end_amdhsa_kernel
	.section	.text._ZN4vllm4gptq33gemm_half_q_half_gptq_8bit_kernelILb1ELi8EEEvPK6__halfPKjS6_S4_PS2_iiiibPKi,"axG",@progbits,_ZN4vllm4gptq33gemm_half_q_half_gptq_8bit_kernelILb1ELi8EEEvPK6__halfPKjS6_S4_PS2_iiiibPKi,comdat
.Lfunc_end46:
	.size	_ZN4vllm4gptq33gemm_half_q_half_gptq_8bit_kernelILb1ELi8EEEvPK6__halfPKjS6_S4_PS2_iiiibPKi, .Lfunc_end46-_ZN4vllm4gptq33gemm_half_q_half_gptq_8bit_kernelILb1ELi8EEEvPK6__halfPKjS6_S4_PS2_iiiibPKi
                                        ; -- End function
	.set _ZN4vllm4gptq33gemm_half_q_half_gptq_8bit_kernelILb1ELi8EEEvPK6__halfPKjS6_S4_PS2_iiiibPKi.num_vgpr, 109
	.set _ZN4vllm4gptq33gemm_half_q_half_gptq_8bit_kernelILb1ELi8EEEvPK6__halfPKjS6_S4_PS2_iiiibPKi.num_agpr, 0
	.set _ZN4vllm4gptq33gemm_half_q_half_gptq_8bit_kernelILb1ELi8EEEvPK6__halfPKjS6_S4_PS2_iiiibPKi.numbered_sgpr, 21
	.set _ZN4vllm4gptq33gemm_half_q_half_gptq_8bit_kernelILb1ELi8EEEvPK6__halfPKjS6_S4_PS2_iiiibPKi.num_named_barrier, 0
	.set _ZN4vllm4gptq33gemm_half_q_half_gptq_8bit_kernelILb1ELi8EEEvPK6__halfPKjS6_S4_PS2_iiiibPKi.private_seg_size, 0
	.set _ZN4vllm4gptq33gemm_half_q_half_gptq_8bit_kernelILb1ELi8EEEvPK6__halfPKjS6_S4_PS2_iiiibPKi.uses_vcc, 1
	.set _ZN4vllm4gptq33gemm_half_q_half_gptq_8bit_kernelILb1ELi8EEEvPK6__halfPKjS6_S4_PS2_iiiibPKi.uses_flat_scratch, 0
	.set _ZN4vllm4gptq33gemm_half_q_half_gptq_8bit_kernelILb1ELi8EEEvPK6__halfPKjS6_S4_PS2_iiiibPKi.has_dyn_sized_stack, 0
	.set _ZN4vllm4gptq33gemm_half_q_half_gptq_8bit_kernelILb1ELi8EEEvPK6__halfPKjS6_S4_PS2_iiiibPKi.has_recursion, 0
	.set _ZN4vllm4gptq33gemm_half_q_half_gptq_8bit_kernelILb1ELi8EEEvPK6__halfPKjS6_S4_PS2_iiiibPKi.has_indirect_call, 0
	.section	.AMDGPU.csdata,"",@progbits
; Kernel info:
; codeLenInByte = 19016
; TotalNumSgprs: 23
; NumVgprs: 109
; ScratchSize: 0
; MemoryBound: 0
; FloatMode: 240
; IeeeMode: 1
; LDSByteSize: 2048 bytes/workgroup (compile time only)
; SGPRBlocks: 0
; VGPRBlocks: 6
; NumSGPRsForWavesPerEU: 23
; NumVGPRsForWavesPerEU: 109
; NamedBarCnt: 0
; Occupancy: 9
; WaveLimiterHint : 0
; COMPUTE_PGM_RSRC2:SCRATCH_EN: 0
; COMPUTE_PGM_RSRC2:USER_SGPR: 2
; COMPUTE_PGM_RSRC2:TRAP_HANDLER: 0
; COMPUTE_PGM_RSRC2:TGID_X_EN: 1
; COMPUTE_PGM_RSRC2:TGID_Y_EN: 1
; COMPUTE_PGM_RSRC2:TGID_Z_EN: 1
; COMPUTE_PGM_RSRC2:TIDIG_COMP_CNT: 0
	.section	.text._ZN4vllm4gptq23reconstruct_gptq_kernelINS0_17MatrixView_q4_rowELi4EEEvPKjPK6__halfS4_PKiiiibPS5_,"axG",@progbits,_ZN4vllm4gptq23reconstruct_gptq_kernelINS0_17MatrixView_q4_rowELi4EEEvPKjPK6__halfS4_PKiiiibPS5_,comdat
	.protected	_ZN4vllm4gptq23reconstruct_gptq_kernelINS0_17MatrixView_q4_rowELi4EEEvPKjPK6__halfS4_PKiiiibPS5_ ; -- Begin function _ZN4vllm4gptq23reconstruct_gptq_kernelINS0_17MatrixView_q4_rowELi4EEEvPKjPK6__halfS4_PKiiiibPS5_
	.globl	_ZN4vllm4gptq23reconstruct_gptq_kernelINS0_17MatrixView_q4_rowELi4EEEvPKjPK6__halfS4_PKiiiibPS5_
	.p2align	8
	.type	_ZN4vllm4gptq23reconstruct_gptq_kernelINS0_17MatrixView_q4_rowELi4EEEvPKjPK6__halfS4_PKiiiibPS5_,@function
_ZN4vllm4gptq23reconstruct_gptq_kernelINS0_17MatrixView_q4_rowELi4EEEvPKjPK6__halfS4_PKiiiibPS5_: ; @_ZN4vllm4gptq23reconstruct_gptq_kernelINS0_17MatrixView_q4_rowELi4EEEvPKjPK6__halfS4_PKiiiibPS5_
; %bb.0:
	s_load_b32 s2, s[0:1], 0x24
	s_bfe_u32 s3, ttmp6, 0x4000c
	s_and_b32 s4, ttmp6, 15
	s_add_co_i32 s3, s3, 1
	s_delay_alu instid0(SALU_CYCLE_1) | instskip(SKIP_4) | instid1(SALU_CYCLE_1)
	s_mul_i32 s5, ttmp9, s3
	s_getreg_b32 s3, hwreg(HW_REG_IB_STS2, 6, 4)
	s_add_co_i32 s4, s4, s5
	s_cmp_eq_u32 s3, 0
	s_cselect_b32 s4, ttmp9, s4
	v_lshl_add_u32 v1, s4, 7, v0
	s_mov_b32 s4, exec_lo
	s_wait_kmcnt 0x0
	s_delay_alu instid0(VALU_DEP_1)
	v_cmpx_gt_u32_e64 s2, v1
	s_cbranch_execz .LBB47_2
; %bb.1:
	s_clause 0x1
	s_load_b32 s12, s[0:1], 0x2c
	s_load_b256 s[4:11], s[0:1], 0x0
	s_wait_kmcnt 0x0
	s_bitcmp1_b32 s12, 0
	s_load_b64 s[0:1], s[0:1], 0x30
	s_cselect_b32 s20, -1, 0
	s_bfe_u32 s12, ttmp6, 0x40010
	s_bfe_u32 s13, ttmp6, 0x40004
	s_add_co_i32 s12, s12, 1
	s_delay_alu instid0(SALU_CYCLE_1) | instskip(NEXT) | instid1(SALU_CYCLE_1)
	s_mul_i32 s12, ttmp7, s12
	s_add_co_i32 s13, s13, s12
	s_cmp_eq_u32 s3, 0
	s_cselect_b32 s3, ttmp7, s13
	s_load_b256 s[12:19], s[10:11], s3 offset:0x0 scale_offset
	v_mad_u32 v3, s2, s3, v1
	s_wait_xcnt 0x0
	s_lshl_b32 s3, s3, 3
	s_delay_alu instid0(SALU_CYCLE_1)
	s_and_b32 s3, s3, 0x3ffffff8
	global_load_b32 v16, v3, s[4:5] scale_offset
	s_wait_kmcnt 0x0
	s_mul_i32 s4, s12, s2
	v_ashrrev_i32_e32 v2, 31, v1
	s_mul_i32 s11, s15, s2
	s_mul_i32 s10, s14, s2
	;; [unrolled: 1-line block ×4, first 2 shown]
	v_lshrrev_b32_e32 v2, 29, v2
	s_ashr_i32 s16, s4, 31
	s_mul_i32 s13, s17, s2
	s_ashr_i32 s17, s5, 31
	s_mul_i32 s14, s18, s2
	v_add_nc_u32_e32 v2, v1, v2
	s_ashr_i32 s18, s10, 31
	s_lshr_b32 s16, s16, 29
	s_mul_i32 s15, s19, s2
	s_ashr_i32 s19, s11, 31
	v_ashrrev_i32_e32 v2, 3, v2
	s_lshr_b32 s17, s17, 29
	s_ashr_i32 s21, s12, 31
	s_lshr_b32 s18, s18, 29
	s_add_co_i32 s16, s4, s16
	s_ashr_i32 s22, s13, 31
	s_ashr_i32 s23, s14, 31
	;; [unrolled: 1-line block ×3, first 2 shown]
	s_lshr_b32 s19, s19, 29
	s_add_co_i32 s17, s5, s17
	s_lshr_b32 s21, s21, 29
	s_add_co_i32 s18, s10, s18
	s_ashr_i32 s16, s16, 3
	s_lshr_b32 s22, s22, 29
	s_lshr_b32 s23, s23, 29
	;; [unrolled: 1-line block ×3, first 2 shown]
	s_add_co_i32 s19, s11, s19
	s_ashr_i32 s17, s17, 3
	s_add_co_i32 s21, s12, s21
	s_ashr_i32 s18, s18, 3
	v_dual_add_nc_u32 v3, s16, v2 :: v_dual_add_nc_u32 v4, s17, v2
	s_add_co_i32 s22, s13, s22
	s_add_co_i32 s23, s14, s23
	;; [unrolled: 1-line block ×3, first 2 shown]
	s_ashr_i32 s19, s19, 3
	s_ashr_i32 s21, s21, 3
	v_dual_add_nc_u32 v5, s18, v2 :: v_dual_add_nc_u32 v6, s19, v2
	s_ashr_i32 s22, s22, 3
	s_ashr_i32 s23, s23, 3
	;; [unrolled: 1-line block ×3, first 2 shown]
	v_dual_add_nc_u32 v7, s21, v2 :: v_dual_add_nc_u32 v8, s22, v2
	v_dual_add_nc_u32 v9, s23, v2 :: v_dual_add_nc_u32 v2, s24, v2
	s_clause 0x7
	global_load_b32 v17, v3, s[8:9] scale_offset
	global_load_b32 v18, v4, s[8:9] scale_offset
	;; [unrolled: 1-line block ×8, first 2 shown]
	s_wait_xcnt 0x0
	v_dual_add_nc_u32 v3, s4, v1 :: v_dual_add_nc_u32 v2, s5, v1
	v_dual_add_nc_u32 v7, s12, v1 :: v_dual_add_nc_u32 v5, s10, v1
	;; [unrolled: 1-line block ×4, first 2 shown]
	s_clause 0x7
	global_load_u16 v25, v3, s[6:7] scale_offset
	global_load_u16 v26, v2, s[6:7] scale_offset
	;; [unrolled: 1-line block ×8, first 2 shown]
	s_wait_xcnt 0x6
	v_mad_u32 v2, s2, s3, v1
	s_ashr_i32 s3, s2, 31
	s_xor_b32 s4, s20, -1
	s_lshl_b64 s[2:3], s[2:3], 1
	v_cndmask_b32_e64 v33, 0, 1, s4
	s_wait_loadcnt 0x10
	s_delay_alu instid0(VALU_DEP_2) | instskip(SKIP_1) | instid1(VALU_DEP_1)
	v_dual_ashrrev_i32 v3, 31, v2 :: v_dual_bitop2_b32 v34, 15, v16 bitop3:0x40
	s_wait_xcnt 0x4
	v_lshl_add_u64 v[4:5], v[2:3], 1, s[0:1]
	v_lshlrev_b32_e32 v3, 2, v0
	v_bfe_u32 v35, v16, 4, 4
	v_bfe_u32 v36, v16, 8, 4
	v_sub_nc_u32_e32 v34, v34, v33
	v_add_nc_u64_e32 v[4:5], s[2:3], v[4:5]
	v_and_b32_e32 v3, 28, v3
	v_bfe_u32 v37, v16, 12, 4
	v_bfe_u32 v38, v16, 16, 4
	;; [unrolled: 1-line block ×4, first 2 shown]
	v_lshrrev_b32_e32 v16, 28, v16
	s_wait_xcnt 0x2
	v_add_nc_u64_e32 v[6:7], s[2:3], v[4:5]
	v_dual_sub_nc_u32 v35, v35, v33 :: v_dual_sub_nc_u32 v36, v36, v33
	v_dual_sub_nc_u32 v37, v37, v33 :: v_dual_sub_nc_u32 v38, v38, v33
	;; [unrolled: 1-line block ×3, first 2 shown]
	s_wait_xcnt 0x0
	s_delay_alu instid0(VALU_DEP_4) | instskip(NEXT) | instid1(VALU_DEP_1)
	v_add_nc_u64_e32 v[8:9], s[2:3], v[6:7]
	v_add_nc_u64_e32 v[10:11], s[2:3], v[8:9]
	s_delay_alu instid0(VALU_DEP_1) | instskip(NEXT) | instid1(VALU_DEP_1)
	v_add_nc_u64_e32 v[12:13], s[2:3], v[10:11]
	v_add_nc_u64_e32 v[0:1], s[2:3], v[12:13]
	s_delay_alu instid0(VALU_DEP_1)
	v_add_nc_u64_e32 v[14:15], s[2:3], v[0:1]
	s_wait_loadcnt 0xf
	v_bfe_u32 v17, v17, v3, 4
	s_wait_loadcnt 0xe
	v_bfe_u32 v18, v18, v3, 4
	;; [unrolled: 2-line block ×5, first 2 shown]
	v_dual_sub_nc_u32 v16, v16, v33 :: v_dual_sub_nc_u32 v18, v35, v18
	s_wait_loadcnt 0xa
	v_bfe_u32 v22, v22, v3, 4
	s_wait_loadcnt 0x9
	v_bfe_u32 v23, v23, v3, 4
	;; [unrolled: 2-line block ×3, first 2 shown]
	v_dual_sub_nc_u32 v17, v34, v17 :: v_dual_sub_nc_u32 v19, v36, v19
	v_dual_sub_nc_u32 v20, v37, v20 :: v_dual_sub_nc_u32 v21, v38, v21
	;; [unrolled: 1-line block ×3, first 2 shown]
	s_delay_alu instid0(VALU_DEP_4) | instskip(NEXT) | instid1(VALU_DEP_4)
	v_sub_nc_u32_e32 v3, v16, v3
	v_cvt_f32_i32_e32 v16, v17
	v_cvt_f32_i32_e32 v17, v18
	;; [unrolled: 1-line block ×8, first 2 shown]
	v_cvt_f16_f32_e32 v16, v16
	v_cvt_f16_f32_e32 v17, v17
	;; [unrolled: 1-line block ×8, first 2 shown]
	s_wait_loadcnt 0x7
	v_mul_f16_e32 v16, v25, v16
	s_wait_loadcnt 0x6
	v_mul_f16_e32 v17, v26, v17
	;; [unrolled: 2-line block ×8, first 2 shown]
	s_clause 0x7
	global_store_b16 v2, v16, s[0:1] scale_offset
	global_store_b16 v[4:5], v17, off
	global_store_b16 v[6:7], v18, off
	;; [unrolled: 1-line block ×7, first 2 shown]
.LBB47_2:
	s_endpgm
	.section	.rodata,"a",@progbits
	.p2align	6, 0x0
	.amdhsa_kernel _ZN4vllm4gptq23reconstruct_gptq_kernelINS0_17MatrixView_q4_rowELi4EEEvPKjPK6__halfS4_PKiiiibPS5_
		.amdhsa_group_segment_fixed_size 0
		.amdhsa_private_segment_fixed_size 0
		.amdhsa_kernarg_size 56
		.amdhsa_user_sgpr_count 2
		.amdhsa_user_sgpr_dispatch_ptr 0
		.amdhsa_user_sgpr_queue_ptr 0
		.amdhsa_user_sgpr_kernarg_segment_ptr 1
		.amdhsa_user_sgpr_dispatch_id 0
		.amdhsa_user_sgpr_kernarg_preload_length 0
		.amdhsa_user_sgpr_kernarg_preload_offset 0
		.amdhsa_user_sgpr_private_segment_size 0
		.amdhsa_wavefront_size32 1
		.amdhsa_uses_dynamic_stack 0
		.amdhsa_enable_private_segment 0
		.amdhsa_system_sgpr_workgroup_id_x 1
		.amdhsa_system_sgpr_workgroup_id_y 1
		.amdhsa_system_sgpr_workgroup_id_z 0
		.amdhsa_system_sgpr_workgroup_info 0
		.amdhsa_system_vgpr_workitem_id 0
		.amdhsa_next_free_vgpr 41
		.amdhsa_next_free_sgpr 25
		.amdhsa_named_barrier_count 0
		.amdhsa_reserve_vcc 0
		.amdhsa_float_round_mode_32 0
		.amdhsa_float_round_mode_16_64 0
		.amdhsa_float_denorm_mode_32 3
		.amdhsa_float_denorm_mode_16_64 3
		.amdhsa_fp16_overflow 0
		.amdhsa_memory_ordered 1
		.amdhsa_forward_progress 1
		.amdhsa_inst_pref_size 11
		.amdhsa_round_robin_scheduling 0
		.amdhsa_exception_fp_ieee_invalid_op 0
		.amdhsa_exception_fp_denorm_src 0
		.amdhsa_exception_fp_ieee_div_zero 0
		.amdhsa_exception_fp_ieee_overflow 0
		.amdhsa_exception_fp_ieee_underflow 0
		.amdhsa_exception_fp_ieee_inexact 0
		.amdhsa_exception_int_div_zero 0
	.end_amdhsa_kernel
	.section	.text._ZN4vllm4gptq23reconstruct_gptq_kernelINS0_17MatrixView_q4_rowELi4EEEvPKjPK6__halfS4_PKiiiibPS5_,"axG",@progbits,_ZN4vllm4gptq23reconstruct_gptq_kernelINS0_17MatrixView_q4_rowELi4EEEvPKjPK6__halfS4_PKiiiibPS5_,comdat
.Lfunc_end47:
	.size	_ZN4vllm4gptq23reconstruct_gptq_kernelINS0_17MatrixView_q4_rowELi4EEEvPKjPK6__halfS4_PKiiiibPS5_, .Lfunc_end47-_ZN4vllm4gptq23reconstruct_gptq_kernelINS0_17MatrixView_q4_rowELi4EEEvPKjPK6__halfS4_PKiiiibPS5_
                                        ; -- End function
	.set _ZN4vllm4gptq23reconstruct_gptq_kernelINS0_17MatrixView_q4_rowELi4EEEvPKjPK6__halfS4_PKiiiibPS5_.num_vgpr, 41
	.set _ZN4vllm4gptq23reconstruct_gptq_kernelINS0_17MatrixView_q4_rowELi4EEEvPKjPK6__halfS4_PKiiiibPS5_.num_agpr, 0
	.set _ZN4vllm4gptq23reconstruct_gptq_kernelINS0_17MatrixView_q4_rowELi4EEEvPKjPK6__halfS4_PKiiiibPS5_.numbered_sgpr, 25
	.set _ZN4vllm4gptq23reconstruct_gptq_kernelINS0_17MatrixView_q4_rowELi4EEEvPKjPK6__halfS4_PKiiiibPS5_.num_named_barrier, 0
	.set _ZN4vllm4gptq23reconstruct_gptq_kernelINS0_17MatrixView_q4_rowELi4EEEvPKjPK6__halfS4_PKiiiibPS5_.private_seg_size, 0
	.set _ZN4vllm4gptq23reconstruct_gptq_kernelINS0_17MatrixView_q4_rowELi4EEEvPKjPK6__halfS4_PKiiiibPS5_.uses_vcc, 0
	.set _ZN4vllm4gptq23reconstruct_gptq_kernelINS0_17MatrixView_q4_rowELi4EEEvPKjPK6__halfS4_PKiiiibPS5_.uses_flat_scratch, 0
	.set _ZN4vllm4gptq23reconstruct_gptq_kernelINS0_17MatrixView_q4_rowELi4EEEvPKjPK6__halfS4_PKiiiibPS5_.has_dyn_sized_stack, 0
	.set _ZN4vllm4gptq23reconstruct_gptq_kernelINS0_17MatrixView_q4_rowELi4EEEvPKjPK6__halfS4_PKiiiibPS5_.has_recursion, 0
	.set _ZN4vllm4gptq23reconstruct_gptq_kernelINS0_17MatrixView_q4_rowELi4EEEvPKjPK6__halfS4_PKiiiibPS5_.has_indirect_call, 0
	.section	.AMDGPU.csdata,"",@progbits
; Kernel info:
; codeLenInByte = 1284
; TotalNumSgprs: 25
; NumVgprs: 41
; ScratchSize: 0
; MemoryBound: 0
; FloatMode: 240
; IeeeMode: 1
; LDSByteSize: 0 bytes/workgroup (compile time only)
; SGPRBlocks: 0
; VGPRBlocks: 2
; NumSGPRsForWavesPerEU: 25
; NumVGPRsForWavesPerEU: 41
; NamedBarCnt: 0
; Occupancy: 16
; WaveLimiterHint : 0
; COMPUTE_PGM_RSRC2:SCRATCH_EN: 0
; COMPUTE_PGM_RSRC2:USER_SGPR: 2
; COMPUTE_PGM_RSRC2:TRAP_HANDLER: 0
; COMPUTE_PGM_RSRC2:TGID_X_EN: 1
; COMPUTE_PGM_RSRC2:TGID_Y_EN: 1
; COMPUTE_PGM_RSRC2:TGID_Z_EN: 0
; COMPUTE_PGM_RSRC2:TIDIG_COMP_CNT: 0
	.section	.text._ZN4vllm4gptq23reconstruct_gptq_kernelINS0_17MatrixView_q2_rowELi2EEEvPKjPK6__halfS4_PKiiiibPS5_,"axG",@progbits,_ZN4vllm4gptq23reconstruct_gptq_kernelINS0_17MatrixView_q2_rowELi2EEEvPKjPK6__halfS4_PKiiiibPS5_,comdat
	.protected	_ZN4vllm4gptq23reconstruct_gptq_kernelINS0_17MatrixView_q2_rowELi2EEEvPKjPK6__halfS4_PKiiiibPS5_ ; -- Begin function _ZN4vllm4gptq23reconstruct_gptq_kernelINS0_17MatrixView_q2_rowELi2EEEvPKjPK6__halfS4_PKiiiibPS5_
	.globl	_ZN4vllm4gptq23reconstruct_gptq_kernelINS0_17MatrixView_q2_rowELi2EEEvPKjPK6__halfS4_PKiiiibPS5_
	.p2align	8
	.type	_ZN4vllm4gptq23reconstruct_gptq_kernelINS0_17MatrixView_q2_rowELi2EEEvPKjPK6__halfS4_PKiiiibPS5_,@function
_ZN4vllm4gptq23reconstruct_gptq_kernelINS0_17MatrixView_q2_rowELi2EEEvPKjPK6__halfS4_PKiiiibPS5_: ; @_ZN4vllm4gptq23reconstruct_gptq_kernelINS0_17MatrixView_q2_rowELi2EEEvPKjPK6__halfS4_PKiiiibPS5_
; %bb.0:
	s_load_b32 s2, s[0:1], 0x24
	s_bfe_u32 s3, ttmp6, 0x4000c
	s_and_b32 s4, ttmp6, 15
	s_add_co_i32 s3, s3, 1
	s_mov_b32 s29, 0
	s_mul_i32 s5, ttmp9, s3
	s_getreg_b32 s3, hwreg(HW_REG_IB_STS2, 6, 4)
	s_add_co_i32 s4, s4, s5
	s_cmp_eq_u32 s3, 0
	s_cselect_b32 s4, ttmp9, s4
	s_delay_alu instid0(SALU_CYCLE_1) | instskip(SKIP_2) | instid1(VALU_DEP_1)
	v_lshl_add_u32 v1, s4, 7, v0
	s_mov_b32 s4, exec_lo
	s_wait_kmcnt 0x0
	v_cmpx_gt_u32_e64 s2, v1
	s_cbranch_execz .LBB48_2
; %bb.1:
	s_clause 0x1
	s_load_b32 s4, s[0:1], 0x2c
	s_load_b256 s[20:27], s[0:1], 0x0
	s_wait_kmcnt 0x0
	s_bitcmp1_b32 s4, 0
	s_load_b64 s[0:1], s[0:1], 0x30
	s_cselect_b32 s30, -1, 0
	s_bfe_u32 s4, ttmp6, 0x40010
	s_bfe_u32 s5, ttmp6, 0x40004
	s_add_co_i32 s4, s4, 1
	s_delay_alu instid0(SALU_CYCLE_1) | instskip(NEXT) | instid1(SALU_CYCLE_1)
	s_mul_i32 s4, ttmp7, s4
	s_add_co_i32 s5, s5, s4
	s_cmp_eq_u32 s3, 0
	s_cselect_b32 s3, ttmp7, s5
	s_delay_alu instid0(SALU_CYCLE_1) | instskip(SKIP_2) | instid1(SALU_CYCLE_1)
	s_lshl_b32 s4, s3, 4
	v_mad_u32 v3, s2, s3, v1
	s_and_b32 s28, s4, 0x7ffffff0
	s_lshl_b64 s[4:5], s[28:29], 2
	s_delay_alu instid0(SALU_CYCLE_1)
	s_add_nc_u64 s[26:27], s[26:27], s[4:5]
	s_load_b512 s[4:19], s[26:27], 0x0
	global_load_b32 v10, v3, s[20:21] scale_offset
	s_wait_kmcnt 0x0
	s_mul_i32 s3, s4, s2
	s_mul_i32 s4, s5, s2
	v_ashrrev_i32_e32 v2, 31, v1
	s_mul_i32 s5, s6, s2
	s_mul_i32 s6, s7, s2
	;; [unrolled: 1-line block ×4, first 2 shown]
	v_lshrrev_b32_e32 v2, 28, v2
	s_mul_i32 s9, s10, s2
	s_mul_i32 s10, s11, s2
	;; [unrolled: 1-line block ×4, first 2 shown]
	v_add_nc_u32_e32 v2, v1, v2
	s_ashr_i32 s13, s3, 31
	s_wait_xcnt 0x0
	s_ashr_i32 s20, s4, 31
	s_lshr_b32 s13, s13, 28
	s_lshr_b32 s20, s20, 28
	v_ashrrev_i32_e32 v2, 4, v2
	s_add_co_i32 s13, s3, s13
	s_ashr_i32 s21, s5, 31
	s_ashr_i32 s26, s6, 31
	s_add_co_i32 s20, s4, s20
	s_ashr_i32 s13, s13, 4
	s_lshr_b32 s21, s21, 28
	s_ashr_i32 s34, s11, 31
	s_lshr_b32 s26, s26, 28
	s_ashr_i32 s20, s20, 4
	s_delay_alu instid0(SALU_CYCLE_1)
	v_dual_add_nc_u32 v3, s13, v2 :: v_dual_add_nc_u32 v4, s20, v2
	s_ashr_i32 s13, s12, 31
	s_add_co_i32 s21, s5, s21
	s_add_co_i32 s26, s6, s26
	s_lshr_b32 s20, s34, 28
	s_lshr_b32 s13, s13, 28
	s_ashr_i32 s21, s21, 4
	s_ashr_i32 s26, s26, 4
	s_add_co_i32 s20, s11, s20
	s_add_co_i32 s13, s12, s13
	s_ashr_i32 s27, s7, 31
	v_dual_add_nc_u32 v5, s21, v2 :: v_dual_add_nc_u32 v6, s26, v2
	s_ashr_i32 s29, s8, 31
	s_ashr_i32 s20, s20, 4
	;; [unrolled: 1-line block ×4, first 2 shown]
	s_lshr_b32 s27, s27, 28
	s_ashr_i32 s33, s10, 31
	s_lshr_b32 s29, s29, 28
	s_clause 0x3
	global_load_b32 v11, v3, s[24:25] scale_offset
	global_load_b32 v12, v4, s[24:25] scale_offset
	;; [unrolled: 1-line block ×4, first 2 shown]
	s_wait_xcnt 0x2
	v_dual_add_nc_u32 v3, s20, v2 :: v_dual_add_nc_u32 v4, s13, v2
	s_mul_i32 s13, s14, s2
	s_lshr_b32 s31, s31, 28
	s_add_co_i32 s27, s7, s27
	s_lshr_b32 s33, s33, 28
	s_add_co_i32 s29, s8, s29
	s_mul_i32 s14, s15, s2
	s_ashr_i32 s15, s13, 31
	s_add_co_i32 s31, s9, s31
	s_ashr_i32 s27, s27, 4
	s_add_co_i32 s33, s10, s33
	s_ashr_i32 s29, s29, 4
	s_ashr_i32 s20, s14, 31
	s_lshr_b32 s15, s15, 28
	s_ashr_i32 s31, s31, 4
	v_dual_add_nc_u32 v7, s27, v2 :: v_dual_add_nc_u32 v8, s29, v2
	s_ashr_i32 s33, s33, 4
	s_lshr_b32 s20, s20, 28
	s_add_co_i32 s15, s13, s15
	v_dual_add_nc_u32 v9, s31, v2 :: v_dual_add_nc_u32 v15, s33, v2
	s_add_co_i32 s20, s14, s20
	s_ashr_i32 s15, s15, 4
	s_clause 0x5
	global_load_b32 v16, v7, s[24:25] scale_offset
	global_load_b32 v17, v8, s[24:25] scale_offset
	;; [unrolled: 1-line block ×6, first 2 shown]
	s_ashr_i32 s20, s20, 4
	s_wait_xcnt 0x0
	v_dual_add_nc_u32 v3, s15, v2 :: v_dual_add_nc_u32 v4, s20, v2
	s_mul_i32 s15, s16, s2
	s_mul_i32 s16, s17, s2
	s_ashr_i32 s17, s15, 31
	s_ashr_i32 s20, s16, 31
	s_lshr_b32 s17, s17, 28
	s_lshr_b32 s20, s20, 28
	s_add_co_i32 s17, s15, s17
	s_add_co_i32 s20, s16, s20
	s_ashr_i32 s17, s17, 4
	s_ashr_i32 s20, s20, 4
	s_delay_alu instid0(SALU_CYCLE_1)
	v_dual_add_nc_u32 v5, s17, v2 :: v_dual_add_nc_u32 v6, s20, v2
	s_mul_i32 s17, s18, s2
	s_mul_i32 s18, s19, s2
	s_ashr_i32 s19, s17, 31
	s_ashr_i32 s20, s18, 31
	s_lshr_b32 s19, s19, 28
	s_lshr_b32 s20, s20, 28
	s_add_co_i32 s19, s17, s19
	s_add_co_i32 s20, s18, s20
	s_ashr_i32 s19, s19, 4
	s_ashr_i32 s20, s20, 4
	s_delay_alu instid0(SALU_CYCLE_1)
	v_dual_add_nc_u32 v7, s19, v2 :: v_dual_add_nc_u32 v2, s20, v2
	s_clause 0x5
	global_load_b32 v15, v3, s[24:25] scale_offset
	global_load_b32 v22, v4, s[24:25] scale_offset
	global_load_b32 v23, v5, s[24:25] scale_offset
	global_load_b32 v24, v6, s[24:25] scale_offset
	global_load_b32 v25, v7, s[24:25] scale_offset
	global_load_b32 v26, v2, s[24:25] scale_offset
	s_wait_xcnt 0x0
	v_dual_add_nc_u32 v2, s3, v1 :: v_dual_add_nc_u32 v5, s9, v1
	v_add_nc_u32_e32 v3, s4, v1
	s_clause 0x1
	global_load_u16 v28, v2, s[22:23] scale_offset
	global_load_u16 v29, v3, s[22:23] scale_offset
	s_wait_xcnt 0x1
	v_dual_add_nc_u32 v2, s5, v1 :: v_dual_add_nc_u32 v6, s12, v1
	s_wait_xcnt 0x0
	v_add_nc_u32_e32 v3, s6, v1
	s_clause 0x1
	global_load_u16 v30, v2, s[22:23] scale_offset
	global_load_u16 v31, v3, s[22:23] scale_offset
	s_wait_xcnt 0x0
	v_dual_add_nc_u32 v3, s7, v1 :: v_dual_add_nc_u32 v2, s8, v1
	v_dual_add_nc_u32 v7, s11, v1 :: v_dual_add_nc_u32 v4, s10, v1
	;; [unrolled: 1-line block ×5, first 2 shown]
	s_clause 0xb
	global_load_u16 v35, v3, s[22:23] scale_offset
	global_load_u16 v36, v2, s[22:23] scale_offset
	;; [unrolled: 1-line block ×12, first 2 shown]
	s_wait_xcnt 0xa
	v_mad_u32 v2, s2, s28, v1
	s_xor_b32 s4, s30, -1
	s_ashr_i32 s3, s2, 31
	s_wait_xcnt 0x2
	v_cndmask_b32_e64 v27, 0, 1, s4
	s_lshl_b64 s[2:3], s[2:3], 1
	s_wait_loadcnt 0x20
	s_wait_xcnt 0x0
	v_bfe_u32 v33, v10, 2, 2
	v_and_b32_e32 v32, 3, v10
	v_bfe_u32 v34, v10, 4, 2
	v_bfe_u32 v47, v10, 6, 2
	;; [unrolled: 1-line block ×3, first 2 shown]
	v_dual_sub_nc_u32 v33, v33, v27 :: v_dual_ashrrev_i32 v3, 31, v2
	v_sub_nc_u32_e32 v32, v32, v27
	v_bfe_u32 v49, v10, 10, 2
	v_bfe_u32 v50, v10, 12, 2
	;; [unrolled: 1-line block ×3, first 2 shown]
	v_lshl_add_u64 v[4:5], v[2:3], 1, s[0:1]
	v_lshlrev_b32_e32 v3, 1, v0
	v_bfe_u32 v52, v10, 16, 2
	v_bfe_u32 v53, v10, 18, 2
	;; [unrolled: 1-line block ×3, first 2 shown]
	v_add_nc_u64_e32 v[4:5], s[2:3], v[4:5]
	v_bfe_u32 v55, v10, 22, 2
	v_bfe_u32 v56, v10, 24, 2
	v_bfe_u32 v57, v10, 26, 2
	v_bfe_u32 v58, v10, 28, 2
	v_dual_lshrrev_b32 v10, 30, v10 :: v_dual_bitop2_b32 v3, 30, v3 bitop3:0x40
	v_add_nc_u64_e32 v[6:7], s[2:3], v[4:5]
	v_dual_sub_nc_u32 v34, v34, v27 :: v_dual_sub_nc_u32 v47, v47, v27
	v_dual_sub_nc_u32 v48, v48, v27 :: v_dual_sub_nc_u32 v49, v49, v27
	;; [unrolled: 1-line block ×3, first 2 shown]
	s_delay_alu instid0(VALU_DEP_4) | instskip(SKIP_3) | instid1(VALU_DEP_4)
	v_add_nc_u64_e32 v[0:1], s[2:3], v[6:7]
	v_dual_sub_nc_u32 v52, v52, v27 :: v_dual_sub_nc_u32 v53, v53, v27
	v_dual_sub_nc_u32 v54, v54, v27 :: v_dual_sub_nc_u32 v55, v55, v27
	;; [unrolled: 1-line block ×3, first 2 shown]
	v_add_nc_u64_e32 v[8:9], s[2:3], v[0:1]
	s_wait_loadcnt 0x1f
	v_bfe_u32 v59, v11, v3, 2
	s_wait_loadcnt 0x1e
	v_bfe_u32 v12, v12, v3, 2
	;; [unrolled: 2-line block ×4, first 2 shown]
	v_sub_nc_u32_e32 v58, v58, v27
	s_wait_loadcnt 0x1b
	v_bfe_u32 v16, v16, v3, 2
	v_sub_nc_u32_e32 v27, v10, v27
	v_add_nc_u64_e32 v[10:11], s[2:3], v[8:9]
	s_wait_loadcnt 0x1a
	v_bfe_u32 v17, v17, v3, 2
	s_wait_loadcnt 0x19
	v_bfe_u32 v18, v18, v3, 2
	;; [unrolled: 2-line block ×11, first 2 shown]
	v_dual_sub_nc_u32 v26, v32, v59 :: v_dual_sub_nc_u32 v32, v33, v12
	v_add_nc_u64_e32 v[12:13], s[2:3], v[10:11]
	v_dual_sub_nc_u32 v33, v34, v60 :: v_dual_sub_nc_u32 v34, v47, v14
	v_dual_sub_nc_u32 v47, v48, v16 :: v_dual_sub_nc_u32 v48, v49, v17
	;; [unrolled: 1-line block ×3, first 2 shown]
	v_sub_nc_u32_e32 v51, v52, v20
	v_add_nc_u64_e32 v[14:15], s[2:3], v[12:13]
	v_sub_nc_u32_e32 v52, v53, v21
	v_dual_sub_nc_u32 v53, v54, v61 :: v_dual_sub_nc_u32 v54, v55, v22
	v_dual_sub_nc_u32 v55, v56, v62 :: v_dual_sub_nc_u32 v56, v57, v24
	v_sub_nc_u32_e32 v58, v58, v63
	v_add_nc_u64_e32 v[16:17], s[2:3], v[14:15]
	v_cvt_f32_i32_e32 v57, v26
	v_cvt_f32_i32_e32 v32, v32
	v_sub_nc_u32_e32 v3, v27, v3
	v_cvt_f32_i32_e32 v33, v33
	v_cvt_f32_i32_e32 v34, v34
	v_cvt_f16_f32_e32 v57, v57
	v_add_nc_u64_e32 v[18:19], s[2:3], v[16:17]
	v_cvt_f16_f32_e32 v32, v32
	v_cvt_f32_i32_e32 v47, v47
	v_cvt_f32_i32_e32 v48, v48
	;; [unrolled: 1-line block ×5, first 2 shown]
	v_add_nc_u64_e32 v[20:21], s[2:3], v[18:19]
	v_cvt_f32_i32_e32 v52, v52
	v_cvt_f32_i32_e32 v53, v53
	;; [unrolled: 1-line block ×6, first 2 shown]
	v_add_nc_u64_e32 v[22:23], s[2:3], v[20:21]
	v_cvt_f32_i32_e32 v3, v3
	v_cvt_f16_f32_e32 v33, v33
	s_wait_loadcnt 0xf
	v_mul_f16_e32 v57, v28, v57
	s_wait_loadcnt 0xe
	v_mul_f16_e32 v32, v29, v32
	v_cvt_f16_f32_e32 v34, v34
	v_cvt_f16_f32_e32 v47, v47
	v_add_nc_u64_e32 v[24:25], s[2:3], v[22:23]
	v_cvt_f16_f32_e32 v48, v48
	v_cvt_f16_f32_e32 v49, v49
	;; [unrolled: 1-line block ×6, first 2 shown]
	v_add_nc_u64_e32 v[26:27], s[2:3], v[24:25]
	v_cvt_f16_f32_e32 v54, v54
	v_cvt_f16_f32_e32 v55, v55
	;; [unrolled: 1-line block ×5, first 2 shown]
	s_wait_loadcnt 0xd
	v_mul_f16_e32 v33, v30, v33
	v_add_nc_u64_e32 v[28:29], s[2:3], v[26:27]
	s_wait_loadcnt 0xc
	v_mul_f16_e32 v34, v31, v34
	s_wait_loadcnt 0xb
	v_mul_f16_e32 v35, v35, v47
	;; [unrolled: 2-line block ×6, first 2 shown]
	v_add_nc_u64_e32 v[30:31], s[2:3], v[28:29]
	s_wait_loadcnt 0x6
	v_mul_f16_e32 v40, v40, v52
	s_wait_loadcnt 0x5
	v_mul_f16_e32 v41, v41, v53
	;; [unrolled: 2-line block ×7, first 2 shown]
	s_clause 0x9
	global_store_b16 v2, v57, s[0:1] scale_offset
	global_store_b16 v[4:5], v32, off
	global_store_b16 v[6:7], v33, off
	;; [unrolled: 1-line block ×15, first 2 shown]
.LBB48_2:
	s_endpgm
	.section	.rodata,"a",@progbits
	.p2align	6, 0x0
	.amdhsa_kernel _ZN4vllm4gptq23reconstruct_gptq_kernelINS0_17MatrixView_q2_rowELi2EEEvPKjPK6__halfS4_PKiiiibPS5_
		.amdhsa_group_segment_fixed_size 0
		.amdhsa_private_segment_fixed_size 0
		.amdhsa_kernarg_size 56
		.amdhsa_user_sgpr_count 2
		.amdhsa_user_sgpr_dispatch_ptr 0
		.amdhsa_user_sgpr_queue_ptr 0
		.amdhsa_user_sgpr_kernarg_segment_ptr 1
		.amdhsa_user_sgpr_dispatch_id 0
		.amdhsa_user_sgpr_kernarg_preload_length 0
		.amdhsa_user_sgpr_kernarg_preload_offset 0
		.amdhsa_user_sgpr_private_segment_size 0
		.amdhsa_wavefront_size32 1
		.amdhsa_uses_dynamic_stack 0
		.amdhsa_enable_private_segment 0
		.amdhsa_system_sgpr_workgroup_id_x 1
		.amdhsa_system_sgpr_workgroup_id_y 1
		.amdhsa_system_sgpr_workgroup_id_z 0
		.amdhsa_system_sgpr_workgroup_info 0
		.amdhsa_system_vgpr_workitem_id 0
		.amdhsa_next_free_vgpr 64
		.amdhsa_next_free_sgpr 35
		.amdhsa_named_barrier_count 0
		.amdhsa_reserve_vcc 0
		.amdhsa_float_round_mode_32 0
		.amdhsa_float_round_mode_16_64 0
		.amdhsa_float_denorm_mode_32 3
		.amdhsa_float_denorm_mode_16_64 3
		.amdhsa_fp16_overflow 0
		.amdhsa_memory_ordered 1
		.amdhsa_forward_progress 1
		.amdhsa_inst_pref_size 18
		.amdhsa_round_robin_scheduling 0
		.amdhsa_exception_fp_ieee_invalid_op 0
		.amdhsa_exception_fp_denorm_src 0
		.amdhsa_exception_fp_ieee_div_zero 0
		.amdhsa_exception_fp_ieee_overflow 0
		.amdhsa_exception_fp_ieee_underflow 0
		.amdhsa_exception_fp_ieee_inexact 0
		.amdhsa_exception_int_div_zero 0
	.end_amdhsa_kernel
	.section	.text._ZN4vllm4gptq23reconstruct_gptq_kernelINS0_17MatrixView_q2_rowELi2EEEvPKjPK6__halfS4_PKiiiibPS5_,"axG",@progbits,_ZN4vllm4gptq23reconstruct_gptq_kernelINS0_17MatrixView_q2_rowELi2EEEvPKjPK6__halfS4_PKiiiibPS5_,comdat
.Lfunc_end48:
	.size	_ZN4vllm4gptq23reconstruct_gptq_kernelINS0_17MatrixView_q2_rowELi2EEEvPKjPK6__halfS4_PKiiiibPS5_, .Lfunc_end48-_ZN4vllm4gptq23reconstruct_gptq_kernelINS0_17MatrixView_q2_rowELi2EEEvPKjPK6__halfS4_PKiiiibPS5_
                                        ; -- End function
	.set _ZN4vllm4gptq23reconstruct_gptq_kernelINS0_17MatrixView_q2_rowELi2EEEvPKjPK6__halfS4_PKiiiibPS5_.num_vgpr, 64
	.set _ZN4vllm4gptq23reconstruct_gptq_kernelINS0_17MatrixView_q2_rowELi2EEEvPKjPK6__halfS4_PKiiiibPS5_.num_agpr, 0
	.set _ZN4vllm4gptq23reconstruct_gptq_kernelINS0_17MatrixView_q2_rowELi2EEEvPKjPK6__halfS4_PKiiiibPS5_.numbered_sgpr, 35
	.set _ZN4vllm4gptq23reconstruct_gptq_kernelINS0_17MatrixView_q2_rowELi2EEEvPKjPK6__halfS4_PKiiiibPS5_.num_named_barrier, 0
	.set _ZN4vllm4gptq23reconstruct_gptq_kernelINS0_17MatrixView_q2_rowELi2EEEvPKjPK6__halfS4_PKiiiibPS5_.private_seg_size, 0
	.set _ZN4vllm4gptq23reconstruct_gptq_kernelINS0_17MatrixView_q2_rowELi2EEEvPKjPK6__halfS4_PKiiiibPS5_.uses_vcc, 0
	.set _ZN4vllm4gptq23reconstruct_gptq_kernelINS0_17MatrixView_q2_rowELi2EEEvPKjPK6__halfS4_PKiiiibPS5_.uses_flat_scratch, 0
	.set _ZN4vllm4gptq23reconstruct_gptq_kernelINS0_17MatrixView_q2_rowELi2EEEvPKjPK6__halfS4_PKiiiibPS5_.has_dyn_sized_stack, 0
	.set _ZN4vllm4gptq23reconstruct_gptq_kernelINS0_17MatrixView_q2_rowELi2EEEvPKjPK6__halfS4_PKiiiibPS5_.has_recursion, 0
	.set _ZN4vllm4gptq23reconstruct_gptq_kernelINS0_17MatrixView_q2_rowELi2EEEvPKjPK6__halfS4_PKiiiibPS5_.has_indirect_call, 0
	.section	.AMDGPU.csdata,"",@progbits
; Kernel info:
; codeLenInByte = 2272
; TotalNumSgprs: 35
; NumVgprs: 64
; ScratchSize: 0
; MemoryBound: 0
; FloatMode: 240
; IeeeMode: 1
; LDSByteSize: 0 bytes/workgroup (compile time only)
; SGPRBlocks: 0
; VGPRBlocks: 3
; NumSGPRsForWavesPerEU: 35
; NumVGPRsForWavesPerEU: 64
; NamedBarCnt: 0
; Occupancy: 16
; WaveLimiterHint : 0
; COMPUTE_PGM_RSRC2:SCRATCH_EN: 0
; COMPUTE_PGM_RSRC2:USER_SGPR: 2
; COMPUTE_PGM_RSRC2:TRAP_HANDLER: 0
; COMPUTE_PGM_RSRC2:TGID_X_EN: 1
; COMPUTE_PGM_RSRC2:TGID_Y_EN: 1
; COMPUTE_PGM_RSRC2:TGID_Z_EN: 0
; COMPUTE_PGM_RSRC2:TIDIG_COMP_CNT: 0
	.section	.text._ZN4vllm4gptq23reconstruct_gptq_kernelINS0_17MatrixView_q8_rowELi8EEEvPKjPK6__halfS4_PKiiiibPS5_,"axG",@progbits,_ZN4vllm4gptq23reconstruct_gptq_kernelINS0_17MatrixView_q8_rowELi8EEEvPKjPK6__halfS4_PKiiiibPS5_,comdat
	.protected	_ZN4vllm4gptq23reconstruct_gptq_kernelINS0_17MatrixView_q8_rowELi8EEEvPKjPK6__halfS4_PKiiiibPS5_ ; -- Begin function _ZN4vllm4gptq23reconstruct_gptq_kernelINS0_17MatrixView_q8_rowELi8EEEvPKjPK6__halfS4_PKiiiibPS5_
	.globl	_ZN4vllm4gptq23reconstruct_gptq_kernelINS0_17MatrixView_q8_rowELi8EEEvPKjPK6__halfS4_PKiiiibPS5_
	.p2align	8
	.type	_ZN4vllm4gptq23reconstruct_gptq_kernelINS0_17MatrixView_q8_rowELi8EEEvPKjPK6__halfS4_PKiiiibPS5_,@function
_ZN4vllm4gptq23reconstruct_gptq_kernelINS0_17MatrixView_q8_rowELi8EEEvPKjPK6__halfS4_PKiiiibPS5_: ; @_ZN4vllm4gptq23reconstruct_gptq_kernelINS0_17MatrixView_q8_rowELi8EEEvPKjPK6__halfS4_PKiiiibPS5_
; %bb.0:
	s_load_b32 s2, s[0:1], 0x24
	s_bfe_u32 s3, ttmp6, 0x4000c
	s_and_b32 s4, ttmp6, 15
	s_add_co_i32 s3, s3, 1
	s_delay_alu instid0(SALU_CYCLE_1) | instskip(SKIP_4) | instid1(SALU_CYCLE_1)
	s_mul_i32 s5, ttmp9, s3
	s_getreg_b32 s3, hwreg(HW_REG_IB_STS2, 6, 4)
	s_add_co_i32 s4, s4, s5
	s_cmp_eq_u32 s3, 0
	s_cselect_b32 s4, ttmp9, s4
	v_lshl_add_u32 v1, s4, 7, v0
	s_mov_b32 s4, exec_lo
	s_wait_kmcnt 0x0
	s_delay_alu instid0(VALU_DEP_1)
	v_cmpx_gt_u32_e64 s2, v1
	s_cbranch_execz .LBB49_2
; %bb.1:
	s_clause 0x1
	s_load_b32 s12, s[0:1], 0x2c
	s_load_b256 s[4:11], s[0:1], 0x0
	v_lshlrev_b32_e32 v0, 3, v0
	s_wait_xcnt 0x0
	s_load_b64 s[0:1], s[0:1], 0x30
	s_wait_kmcnt 0x0
	s_bitcmp1_b32 s12, 0
	s_cselect_b32 s16, -1, 0
	s_bfe_u32 s12, ttmp6, 0x40010
	s_bfe_u32 s13, ttmp6, 0x40004
	s_add_co_i32 s12, s12, 1
	s_delay_alu instid0(SALU_CYCLE_1) | instskip(NEXT) | instid1(SALU_CYCLE_1)
	s_mul_i32 s12, ttmp7, s12
	s_add_co_i32 s13, s13, s12
	s_cmp_eq_u32 s3, 0
	s_cselect_b32 s3, ttmp7, s13
	s_delay_alu instid0(SALU_CYCLE_1) | instskip(SKIP_2) | instid1(SALU_CYCLE_1)
	s_lshl_b32 s12, s3, 2
	v_mad_u32 v3, s2, s3, v1
	s_and_b32 s17, s12, 0x1ffffffc
	s_lshl_b32 s18, s17, 2
	s_load_b128 s[12:15], s[10:11], s18 offset:0x0
	global_load_b32 v4, v3, s[4:5] scale_offset
	s_wait_kmcnt 0x0
	s_mul_i32 s4, s13, s2
	v_ashrrev_i32_e32 v2, 31, v1
	s_mul_i32 s5, s14, s2
	s_mul_i32 s3, s12, s2
	;; [unrolled: 1-line block ×3, first 2 shown]
	s_ashr_i32 s11, s3, 31
	v_lshrrev_b32_e32 v2, 30, v2
	s_ashr_i32 s12, s4, 31
	s_ashr_i32 s13, s5, 31
	s_lshr_b32 s11, s11, 30
	s_ashr_i32 s14, s10, 31
	v_add_nc_u32_e32 v2, v1, v2
	s_lshr_b32 s12, s12, 30
	s_lshr_b32 s13, s13, 30
	s_add_co_i32 s11, s3, s11
	s_lshr_b32 s14, s14, 30
	v_ashrrev_i32_e32 v2, 2, v2
	s_add_co_i32 s12, s4, s12
	s_add_co_i32 s13, s5, s13
	s_ashr_i32 s11, s11, 2
	s_add_co_i32 s14, s10, s14
	s_ashr_i32 s12, s12, 2
	s_ashr_i32 s13, s13, 2
	v_dual_add_nc_u32 v3, s11, v2 :: v_dual_add_nc_u32 v5, s12, v2
	s_ashr_i32 s14, s14, 2
	s_delay_alu instid0(SALU_CYCLE_1)
	v_dual_add_nc_u32 v6, s13, v2 :: v_dual_add_nc_u32 v2, s14, v2
	s_clause 0x3
	global_load_b32 v7, v3, s[8:9] scale_offset
	global_load_b32 v8, v5, s[8:9] scale_offset
	;; [unrolled: 1-line block ×4, first 2 shown]
	s_wait_xcnt 0x0
	v_dual_add_nc_u32 v2, s3, v1 :: v_dual_add_nc_u32 v3, s4, v1
	v_dual_add_nc_u32 v5, s5, v1 :: v_dual_add_nc_u32 v6, s10, v1
	s_clause 0x3
	global_load_u16 v11, v2, s[6:7] scale_offset
	global_load_u16 v12, v3, s[6:7] scale_offset
	;; [unrolled: 1-line block ×4, first 2 shown]
	s_wait_xcnt 0x3
	v_mad_u32 v2, s2, s17, v1
	s_xor_b32 s4, s16, -1
	s_wait_xcnt 0x1
	v_and_b32_e32 v5, 24, v0
	s_wait_xcnt 0x0
	v_cndmask_b32_e64 v6, 0, 1, s4
	s_ashr_i32 s3, s2, 31
	s_delay_alu instid0(SALU_CYCLE_1) | instskip(NEXT) | instid1(VALU_DEP_3)
	s_lshl_b64 s[2:3], s[2:3], 1
	v_ashrrev_i32_e32 v3, 31, v2
	s_delay_alu instid0(VALU_DEP_1) | instskip(NEXT) | instid1(VALU_DEP_1)
	v_lshl_add_u64 v[0:1], v[2:3], 1, s[0:1]
	v_add_nc_u64_e32 v[0:1], s[2:3], v[0:1]
	s_wait_loadcnt 0x8
	v_and_b32_e32 v3, 0xff, v4
	v_bfe_u32 v15, v4, 8, 8
	v_bfe_u32 v16, v4, 16, 8
	s_delay_alu instid0(VALU_DEP_3) | instskip(NEXT) | instid1(VALU_DEP_2)
	v_dual_lshrrev_b32 v4, 24, v4 :: v_dual_sub_nc_u32 v3, v3, v6
	v_dual_sub_nc_u32 v15, v15, v6 :: v_dual_sub_nc_u32 v16, v16, v6
	s_delay_alu instid0(VALU_DEP_2)
	v_sub_nc_u32_e32 v4, v4, v6
	s_wait_loadcnt 0x7
	v_bfe_u32 v6, v7, v5, 8
	s_wait_loadcnt 0x6
	v_bfe_u32 v7, v8, v5, 8
	;; [unrolled: 2-line block ×4, first 2 shown]
	v_sub_nc_u32_e32 v3, v3, v6
	s_delay_alu instid0(VALU_DEP_3) | instskip(NEXT) | instid1(VALU_DEP_3)
	v_dual_sub_nc_u32 v6, v15, v7 :: v_dual_sub_nc_u32 v7, v16, v8
	v_sub_nc_u32_e32 v8, v4, v5
	v_add_nc_u64_e32 v[4:5], s[2:3], v[0:1]
	s_delay_alu instid0(VALU_DEP_4) | instskip(NEXT) | instid1(VALU_DEP_4)
	v_cvt_f32_i32_e32 v3, v3
	v_cvt_f32_i32_e32 v6, v6
	v_cvt_f32_i32_e32 v7, v7
	v_cvt_f32_i32_e32 v8, v8
	s_delay_alu instid0(VALU_DEP_4) | instskip(NEXT) | instid1(VALU_DEP_4)
	v_cvt_f16_f32_e32 v3, v3
	v_cvt_f16_f32_e32 v9, v6
	s_delay_alu instid0(VALU_DEP_4) | instskip(NEXT) | instid1(VALU_DEP_4)
	v_cvt_f16_f32_e32 v10, v7
	v_cvt_f16_f32_e32 v8, v8
	v_add_nc_u64_e32 v[6:7], s[2:3], v[4:5]
	s_wait_loadcnt 0x3
	v_mul_f16_e32 v3, v11, v3
	s_wait_loadcnt 0x2
	v_mul_f16_e32 v9, v12, v9
	;; [unrolled: 2-line block ×4, first 2 shown]
	s_clause 0x3
	global_store_b16 v2, v3, s[0:1] scale_offset
	global_store_b16 v[0:1], v9, off
	global_store_b16 v[4:5], v10, off
	;; [unrolled: 1-line block ×3, first 2 shown]
.LBB49_2:
	s_endpgm
	.section	.rodata,"a",@progbits
	.p2align	6, 0x0
	.amdhsa_kernel _ZN4vllm4gptq23reconstruct_gptq_kernelINS0_17MatrixView_q8_rowELi8EEEvPKjPK6__halfS4_PKiiiibPS5_
		.amdhsa_group_segment_fixed_size 0
		.amdhsa_private_segment_fixed_size 0
		.amdhsa_kernarg_size 56
		.amdhsa_user_sgpr_count 2
		.amdhsa_user_sgpr_dispatch_ptr 0
		.amdhsa_user_sgpr_queue_ptr 0
		.amdhsa_user_sgpr_kernarg_segment_ptr 1
		.amdhsa_user_sgpr_dispatch_id 0
		.amdhsa_user_sgpr_kernarg_preload_length 0
		.amdhsa_user_sgpr_kernarg_preload_offset 0
		.amdhsa_user_sgpr_private_segment_size 0
		.amdhsa_wavefront_size32 1
		.amdhsa_uses_dynamic_stack 0
		.amdhsa_enable_private_segment 0
		.amdhsa_system_sgpr_workgroup_id_x 1
		.amdhsa_system_sgpr_workgroup_id_y 1
		.amdhsa_system_sgpr_workgroup_id_z 0
		.amdhsa_system_sgpr_workgroup_info 0
		.amdhsa_system_vgpr_workitem_id 0
		.amdhsa_next_free_vgpr 17
		.amdhsa_next_free_sgpr 19
		.amdhsa_named_barrier_count 0
		.amdhsa_reserve_vcc 0
		.amdhsa_float_round_mode_32 0
		.amdhsa_float_round_mode_16_64 0
		.amdhsa_float_denorm_mode_32 3
		.amdhsa_float_denorm_mode_16_64 3
		.amdhsa_fp16_overflow 0
		.amdhsa_memory_ordered 1
		.amdhsa_forward_progress 1
		.amdhsa_inst_pref_size 7
		.amdhsa_round_robin_scheduling 0
		.amdhsa_exception_fp_ieee_invalid_op 0
		.amdhsa_exception_fp_denorm_src 0
		.amdhsa_exception_fp_ieee_div_zero 0
		.amdhsa_exception_fp_ieee_overflow 0
		.amdhsa_exception_fp_ieee_underflow 0
		.amdhsa_exception_fp_ieee_inexact 0
		.amdhsa_exception_int_div_zero 0
	.end_amdhsa_kernel
	.section	.text._ZN4vllm4gptq23reconstruct_gptq_kernelINS0_17MatrixView_q8_rowELi8EEEvPKjPK6__halfS4_PKiiiibPS5_,"axG",@progbits,_ZN4vllm4gptq23reconstruct_gptq_kernelINS0_17MatrixView_q8_rowELi8EEEvPKjPK6__halfS4_PKiiiibPS5_,comdat
.Lfunc_end49:
	.size	_ZN4vllm4gptq23reconstruct_gptq_kernelINS0_17MatrixView_q8_rowELi8EEEvPKjPK6__halfS4_PKiiiibPS5_, .Lfunc_end49-_ZN4vllm4gptq23reconstruct_gptq_kernelINS0_17MatrixView_q8_rowELi8EEEvPKjPK6__halfS4_PKiiiibPS5_
                                        ; -- End function
	.set _ZN4vllm4gptq23reconstruct_gptq_kernelINS0_17MatrixView_q8_rowELi8EEEvPKjPK6__halfS4_PKiiiibPS5_.num_vgpr, 17
	.set _ZN4vllm4gptq23reconstruct_gptq_kernelINS0_17MatrixView_q8_rowELi8EEEvPKjPK6__halfS4_PKiiiibPS5_.num_agpr, 0
	.set _ZN4vllm4gptq23reconstruct_gptq_kernelINS0_17MatrixView_q8_rowELi8EEEvPKjPK6__halfS4_PKiiiibPS5_.numbered_sgpr, 19
	.set _ZN4vllm4gptq23reconstruct_gptq_kernelINS0_17MatrixView_q8_rowELi8EEEvPKjPK6__halfS4_PKiiiibPS5_.num_named_barrier, 0
	.set _ZN4vllm4gptq23reconstruct_gptq_kernelINS0_17MatrixView_q8_rowELi8EEEvPKjPK6__halfS4_PKiiiibPS5_.private_seg_size, 0
	.set _ZN4vllm4gptq23reconstruct_gptq_kernelINS0_17MatrixView_q8_rowELi8EEEvPKjPK6__halfS4_PKiiiibPS5_.uses_vcc, 0
	.set _ZN4vllm4gptq23reconstruct_gptq_kernelINS0_17MatrixView_q8_rowELi8EEEvPKjPK6__halfS4_PKiiiibPS5_.uses_flat_scratch, 0
	.set _ZN4vllm4gptq23reconstruct_gptq_kernelINS0_17MatrixView_q8_rowELi8EEEvPKjPK6__halfS4_PKiiiibPS5_.has_dyn_sized_stack, 0
	.set _ZN4vllm4gptq23reconstruct_gptq_kernelINS0_17MatrixView_q8_rowELi8EEEvPKjPK6__halfS4_PKiiiibPS5_.has_recursion, 0
	.set _ZN4vllm4gptq23reconstruct_gptq_kernelINS0_17MatrixView_q8_rowELi8EEEvPKjPK6__halfS4_PKiiiibPS5_.has_indirect_call, 0
	.section	.AMDGPU.csdata,"",@progbits
; Kernel info:
; codeLenInByte = 820
; TotalNumSgprs: 19
; NumVgprs: 17
; ScratchSize: 0
; MemoryBound: 0
; FloatMode: 240
; IeeeMode: 1
; LDSByteSize: 0 bytes/workgroup (compile time only)
; SGPRBlocks: 0
; VGPRBlocks: 1
; NumSGPRsForWavesPerEU: 19
; NumVGPRsForWavesPerEU: 17
; NamedBarCnt: 0
; Occupancy: 16
; WaveLimiterHint : 0
; COMPUTE_PGM_RSRC2:SCRATCH_EN: 0
; COMPUTE_PGM_RSRC2:USER_SGPR: 2
; COMPUTE_PGM_RSRC2:TRAP_HANDLER: 0
; COMPUTE_PGM_RSRC2:TGID_X_EN: 1
; COMPUTE_PGM_RSRC2:TGID_Y_EN: 1
; COMPUTE_PGM_RSRC2:TGID_Z_EN: 0
; COMPUTE_PGM_RSRC2:TIDIG_COMP_CNT: 0
	.text
	.p2alignl 7, 3214868480
	.fill 96, 4, 3214868480
	.section	.AMDGPU.gpr_maximums,"",@progbits
	.set amdgpu.max_num_vgpr, 0
	.set amdgpu.max_num_agpr, 0
	.set amdgpu.max_num_sgpr, 0
	.text
	.type	__hip_cuid_7cedc384a60768eb,@object ; @__hip_cuid_7cedc384a60768eb
	.section	.bss,"aw",@nobits
	.globl	__hip_cuid_7cedc384a60768eb
__hip_cuid_7cedc384a60768eb:
	.byte	0                               ; 0x0
	.size	__hip_cuid_7cedc384a60768eb, 1

	.ident	"AMD clang version 22.0.0git (https://github.com/RadeonOpenCompute/llvm-project roc-7.2.4 26084 f58b06dce1f9c15707c5f808fd002e18c2accf7e)"
	.section	".note.GNU-stack","",@progbits
	.addrsig
	.addrsig_sym __hip_cuid_7cedc384a60768eb
	.amdgpu_metadata
---
amdhsa.kernels:
  - .args:
      - .actual_access:  read_only
        .address_space:  global
        .offset:         0
        .size:           8
        .value_kind:     global_buffer
      - .actual_access:  read_only
        .address_space:  global
        .offset:         8
        .size:           8
        .value_kind:     global_buffer
      - .actual_access:  read_only
        .address_space:  global
        .offset:         16
        .size:           8
        .value_kind:     global_buffer
      - .actual_access:  read_only
        .address_space:  global
        .offset:         24
        .size:           8
        .value_kind:     global_buffer
      - .offset:         32
        .size:           4
        .value_kind:     by_value
      - .offset:         36
        .size:           4
        .value_kind:     by_value
      - .offset:         40
        .size:           4
        .value_kind:     by_value
      - .offset:         44
        .size:           1
        .value_kind:     by_value
      - .actual_access:  write_only
        .address_space:  global
        .offset:         48
        .size:           8
        .value_kind:     global_buffer
    .group_segment_fixed_size: 512
    .kernarg_segment_align: 8
    .kernarg_segment_size: 56
    .language:       OpenCL C
    .language_version:
      - 2
      - 0
    .max_flat_workgroup_size: 1024
    .name:           _ZN4vllm4gptq31reconstruct_exllama_8bit_kernelEPKjPKiS2_PK6__halfiiibPS5_
    .private_segment_fixed_size: 0
    .sgpr_count:     57
    .sgpr_spill_count: 0
    .symbol:         _ZN4vllm4gptq31reconstruct_exllama_8bit_kernelEPKjPKiS2_PK6__halfiiibPS5_.kd
    .uniform_work_group_size: 1
    .uses_dynamic_stack: false
    .vgpr_count:     78
    .vgpr_spill_count: 0
    .wavefront_size: 32
  - .args:
      - .actual_access:  read_only
        .address_space:  global
        .offset:         0
        .size:           8
        .value_kind:     global_buffer
      - .actual_access:  read_only
        .address_space:  global
        .offset:         8
        .size:           8
        .value_kind:     global_buffer
      - .actual_access:  read_only
        .address_space:  global
        .offset:         16
        .size:           8
        .value_kind:     global_buffer
      - .actual_access:  read_only
        .address_space:  global
        .offset:         24
        .size:           8
        .value_kind:     global_buffer
      - .offset:         32
        .size:           4
        .value_kind:     by_value
      - .offset:         36
        .size:           4
        .value_kind:     by_value
      - .offset:         40
        .size:           4
        .value_kind:     by_value
      - .offset:         44
        .size:           1
        .value_kind:     by_value
      - .actual_access:  write_only
        .address_space:  global
        .offset:         48
        .size:           8
        .value_kind:     global_buffer
    .group_segment_fixed_size: 512
    .kernarg_segment_align: 8
    .kernarg_segment_size: 56
    .language:       OpenCL C
    .language_version:
      - 2
      - 0
    .max_flat_workgroup_size: 1024
    .name:           _ZN4vllm4gptq31reconstruct_exllama_4bit_kernelEPKjPKiS2_PK6__halfiiibPS5_
    .private_segment_fixed_size: 0
    .sgpr_count:     56
    .sgpr_spill_count: 0
    .symbol:         _ZN4vllm4gptq31reconstruct_exllama_4bit_kernelEPKjPKiS2_PK6__halfiiibPS5_.kd
    .uniform_work_group_size: 1
    .uses_dynamic_stack: false
    .vgpr_count:     74
    .vgpr_spill_count: 0
    .wavefront_size: 32
  - .args:
      - .actual_access:  read_only
        .address_space:  global
        .offset:         0
        .size:           8
        .value_kind:     global_buffer
      - .actual_access:  read_only
        .address_space:  global
        .offset:         8
        .size:           8
        .value_kind:     global_buffer
      - .actual_access:  read_only
        .address_space:  global
        .offset:         16
        .size:           8
        .value_kind:     global_buffer
      - .actual_access:  read_only
        .address_space:  global
        .offset:         24
        .size:           8
        .value_kind:     global_buffer
      - .offset:         32
        .size:           4
        .value_kind:     by_value
      - .offset:         36
        .size:           4
        .value_kind:     by_value
      - .offset:         40
        .size:           4
        .value_kind:     by_value
      - .offset:         44
        .size:           1
        .value_kind:     by_value
      - .actual_access:  write_only
        .address_space:  global
        .offset:         48
        .size:           8
        .value_kind:     global_buffer
    .group_segment_fixed_size: 512
    .kernarg_segment_align: 8
    .kernarg_segment_size: 56
    .language:       OpenCL C
    .language_version:
      - 2
      - 0
    .max_flat_workgroup_size: 1024
    .name:           _ZN4vllm4gptq31reconstruct_exllama_3bit_kernelEPKjPKiS2_PK6__halfiiibPS5_
    .private_segment_fixed_size: 44
    .sgpr_count:     66
    .sgpr_spill_count: 0
    .symbol:         _ZN4vllm4gptq31reconstruct_exllama_3bit_kernelEPKjPKiS2_PK6__halfiiibPS5_.kd
    .uniform_work_group_size: 1
    .uses_dynamic_stack: false
    .vgpr_count:     128
    .vgpr_spill_count: 14
    .wavefront_size: 32
  - .args:
      - .actual_access:  read_only
        .address_space:  global
        .offset:         0
        .size:           8
        .value_kind:     global_buffer
      - .actual_access:  read_only
        .address_space:  global
        .offset:         8
        .size:           8
        .value_kind:     global_buffer
      - .actual_access:  read_only
        .address_space:  global
        .offset:         16
        .size:           8
        .value_kind:     global_buffer
      - .actual_access:  read_only
        .address_space:  global
        .offset:         24
        .size:           8
        .value_kind:     global_buffer
      - .offset:         32
        .size:           4
        .value_kind:     by_value
      - .offset:         36
        .size:           4
        .value_kind:     by_value
      - .offset:         40
        .size:           4
        .value_kind:     by_value
      - .offset:         44
        .size:           1
        .value_kind:     by_value
      - .actual_access:  write_only
        .address_space:  global
        .offset:         48
        .size:           8
        .value_kind:     global_buffer
    .group_segment_fixed_size: 512
    .kernarg_segment_align: 8
    .kernarg_segment_size: 56
    .language:       OpenCL C
    .language_version:
      - 2
      - 0
    .max_flat_workgroup_size: 1024
    .name:           _ZN4vllm4gptq31reconstruct_exllama_2bit_kernelEPKjPKiS2_PK6__halfiiibPS5_
    .private_segment_fixed_size: 0
    .sgpr_count:     58
    .sgpr_spill_count: 0
    .symbol:         _ZN4vllm4gptq31reconstruct_exllama_2bit_kernelEPKjPKiS2_PK6__halfiiibPS5_.kd
    .uniform_work_group_size: 1
    .uses_dynamic_stack: false
    .vgpr_count:     122
    .vgpr_spill_count: 0
    .wavefront_size: 32
  - .args:
      - .actual_access:  read_only
        .address_space:  global
        .offset:         0
        .size:           8
        .value_kind:     global_buffer
      - .actual_access:  read_only
        .address_space:  global
        .offset:         8
        .size:           8
        .value_kind:     global_buffer
      - .address_space:  global
        .offset:         16
        .size:           8
        .value_kind:     global_buffer
      - .actual_access:  read_only
        .address_space:  global
        .offset:         24
        .size:           8
        .value_kind:     global_buffer
      - .actual_access:  read_only
        .address_space:  global
        .offset:         32
        .size:           8
        .value_kind:     global_buffer
      - .actual_access:  read_only
        .address_space:  global
        .offset:         40
        .size:           8
        .value_kind:     global_buffer
      - .offset:         48
        .size:           4
        .value_kind:     by_value
      - .offset:         52
        .size:           4
        .value_kind:     by_value
      - .offset:         56
        .size:           4
        .value_kind:     by_value
      - .offset:         60
        .size:           1
        .value_kind:     by_value
    .group_segment_fixed_size: 26624
    .kernarg_segment_align: 8
    .kernarg_segment_size: 64
    .language:       OpenCL C
    .language_version:
      - 2
      - 0
    .max_flat_workgroup_size: 1024
    .name:           _ZN4vllm4gptq32gemm_half_q_half_alt_4bit_kernelEPK7__half2PKjP6__halfPKS6_S5_PKiiiib
    .private_segment_fixed_size: 0
    .sgpr_count:     38
    .sgpr_spill_count: 0
    .symbol:         _ZN4vllm4gptq32gemm_half_q_half_alt_4bit_kernelEPK7__half2PKjP6__halfPKS6_S5_PKiiiib.kd
    .uniform_work_group_size: 1
    .uses_dynamic_stack: false
    .vgpr_count:     37
    .vgpr_spill_count: 0
    .wavefront_size: 32
  - .args:
      - .actual_access:  read_only
        .address_space:  global
        .offset:         0
        .size:           8
        .value_kind:     global_buffer
      - .actual_access:  read_only
        .address_space:  global
        .offset:         8
        .size:           8
        .value_kind:     global_buffer
      - .address_space:  global
        .offset:         16
        .size:           8
        .value_kind:     global_buffer
      - .actual_access:  read_only
        .address_space:  global
        .offset:         24
        .size:           8
        .value_kind:     global_buffer
      - .actual_access:  read_only
        .address_space:  global
        .offset:         32
        .size:           8
        .value_kind:     global_buffer
      - .actual_access:  read_only
        .address_space:  global
        .offset:         40
        .size:           8
        .value_kind:     global_buffer
      - .offset:         48
        .size:           4
        .value_kind:     by_value
      - .offset:         52
        .size:           4
        .value_kind:     by_value
      - .offset:         56
        .size:           4
        .value_kind:     by_value
      - .offset:         60
        .size:           1
        .value_kind:     by_value
    .group_segment_fixed_size: 18432
    .kernarg_segment_align: 8
    .kernarg_segment_size: 64
    .language:       OpenCL C
    .language_version:
      - 2
      - 0
    .max_flat_workgroup_size: 1024
    .name:           _ZN4vllm4gptq32gemm_half_q_half_alt_8bit_kernelEPK7__half2PKjP6__halfPKS6_S5_PKiiiib
    .private_segment_fixed_size: 0
    .sgpr_count:     34
    .sgpr_spill_count: 0
    .symbol:         _ZN4vllm4gptq32gemm_half_q_half_alt_8bit_kernelEPK7__half2PKjP6__halfPKS6_S5_PKiiiib.kd
    .uniform_work_group_size: 1
    .uses_dynamic_stack: false
    .vgpr_count:     20
    .vgpr_spill_count: 0
    .wavefront_size: 32
  - .args:
      - .actual_access:  read_only
        .address_space:  global
        .offset:         0
        .size:           8
        .value_kind:     global_buffer
      - .actual_access:  read_only
        .address_space:  global
        .offset:         8
        .size:           8
        .value_kind:     global_buffer
      - .actual_access:  read_only
        .address_space:  global
        .offset:         16
        .size:           8
        .value_kind:     global_buffer
      - .actual_access:  read_only
        .address_space:  global
        .offset:         24
        .size:           8
        .value_kind:     global_buffer
      - .offset:         32
        .size:           4
        .value_kind:     by_value
      - .offset:         36
        .size:           4
        .value_kind:     by_value
      - .offset:         40
        .size:           4
        .value_kind:     by_value
      - .offset:         44
        .size:           1
        .value_kind:     by_value
      - .actual_access:  write_only
        .address_space:  global
        .offset:         48
        .size:           8
        .value_kind:     global_buffer
    .group_segment_fixed_size: 0
    .kernarg_segment_align: 8
    .kernarg_segment_size: 56
    .language:       OpenCL C
    .language_version:
      - 2
      - 0
    .max_flat_workgroup_size: 1024
    .name:           _ZN4vllm4gptq28reconstruct_gptq_3bit_kernelEPKjPK6__halfS2_PKiiiibPS3_
    .private_segment_fixed_size: 0
    .sgpr_count:     21
    .sgpr_spill_count: 0
    .symbol:         _ZN4vllm4gptq28reconstruct_gptq_3bit_kernelEPKjPK6__halfS2_PKiiiibPS3_.kd
    .uniform_work_group_size: 1
    .uses_dynamic_stack: false
    .vgpr_count:     16
    .vgpr_spill_count: 0
    .wavefront_size: 32
  - .args:
      - .address_space:  global
        .offset:         0
        .size:           8
        .value_kind:     global_buffer
      - .offset:         8
        .size:           4
        .value_kind:     by_value
      - .offset:         12
        .size:           4
        .value_kind:     by_value
    .group_segment_fixed_size: 0
    .kernarg_segment_align: 8
    .kernarg_segment_size: 16
    .language:       OpenCL C
    .language_version:
      - 2
      - 0
    .max_flat_workgroup_size: 1024
    .name:           _ZN4vllm4gptq19shuffle_4bit_kernelEPjii
    .private_segment_fixed_size: 0
    .sgpr_count:     9
    .sgpr_spill_count: 0
    .symbol:         _ZN4vllm4gptq19shuffle_4bit_kernelEPjii.kd
    .uniform_work_group_size: 1
    .uses_dynamic_stack: false
    .vgpr_count:     9
    .vgpr_spill_count: 0
    .wavefront_size: 32
  - .args:
      - .actual_access:  read_only
        .address_space:  global
        .offset:         0
        .size:           8
        .value_kind:     global_buffer
      - .offset:         8
        .size:           4
        .value_kind:     by_value
      - .offset:         12
        .size:           4
        .value_kind:     by_value
    .group_segment_fixed_size: 0
    .kernarg_segment_align: 8
    .kernarg_segment_size: 16
    .language:       OpenCL C
    .language_version:
      - 2
      - 0
    .max_flat_workgroup_size: 1024
    .name:           _ZN4vllm4gptq19shuffle_8bit_kernelEPjii
    .private_segment_fixed_size: 0
    .sgpr_count:     0
    .sgpr_spill_count: 0
    .symbol:         _ZN4vllm4gptq19shuffle_8bit_kernelEPjii.kd
    .uniform_work_group_size: 1
    .uses_dynamic_stack: false
    .vgpr_count:     0
    .vgpr_spill_count: 0
    .wavefront_size: 32
  - .args:
      - .address_space:  global
        .offset:         0
        .size:           8
        .value_kind:     global_buffer
      - .offset:         8
        .size:           4
        .value_kind:     by_value
      - .offset:         12
        .size:           4
        .value_kind:     by_value
    .group_segment_fixed_size: 0
    .kernarg_segment_align: 8
    .kernarg_segment_size: 16
    .language:       OpenCL C
    .language_version:
      - 2
      - 0
    .max_flat_workgroup_size: 1024
    .name:           _ZN4vllm4gptq19shuffle_2bit_kernelEPjii
    .private_segment_fixed_size: 0
    .sgpr_count:     9
    .sgpr_spill_count: 0
    .symbol:         _ZN4vllm4gptq19shuffle_2bit_kernelEPjii.kd
    .uniform_work_group_size: 1
    .uses_dynamic_stack: false
    .vgpr_count:     10
    .vgpr_spill_count: 0
    .wavefront_size: 32
  - .args:
      - .address_space:  global
        .offset:         0
        .size:           8
        .value_kind:     global_buffer
      - .offset:         8
        .size:           4
        .value_kind:     by_value
      - .offset:         12
        .size:           4
        .value_kind:     by_value
    .group_segment_fixed_size: 0
    .kernarg_segment_align: 8
    .kernarg_segment_size: 16
    .language:       OpenCL C
    .language_version:
      - 2
      - 0
    .max_flat_workgroup_size: 1024
    .name:           _ZN4vllm4gptq19shuffle_3bit_kernelEPjii
    .private_segment_fixed_size: 0
    .sgpr_count:     11
    .sgpr_spill_count: 0
    .symbol:         _ZN4vllm4gptq19shuffle_3bit_kernelEPjii.kd
    .uniform_work_group_size: 1
    .uses_dynamic_stack: false
    .vgpr_count:     39
    .vgpr_spill_count: 0
    .wavefront_size: 32
  - .args:
      - .actual_access:  read_only
        .address_space:  global
        .offset:         0
        .size:           8
        .value_kind:     global_buffer
      - .actual_access:  write_only
        .address_space:  global
        .offset:         8
        .size:           8
        .value_kind:     global_buffer
      - .actual_access:  read_only
        .address_space:  global
        .offset:         16
        .size:           8
        .value_kind:     global_buffer
      - .offset:         24
        .size:           4
        .value_kind:     by_value
    .group_segment_fixed_size: 0
    .kernarg_segment_align: 8
    .kernarg_segment_size: 28
    .language:       OpenCL C
    .language_version:
      - 2
      - 0
    .max_flat_workgroup_size: 1024
    .name:           _ZN4vllm4gptq27make_sequential_4bit_kernelEPKjPjPKii
    .private_segment_fixed_size: 0
    .sgpr_count:     22
    .sgpr_spill_count: 0
    .symbol:         _ZN4vllm4gptq27make_sequential_4bit_kernelEPKjPjPKii.kd
    .uniform_work_group_size: 1
    .uses_dynamic_stack: false
    .vgpr_count:     25
    .vgpr_spill_count: 0
    .wavefront_size: 32
  - .args:
      - .actual_access:  read_only
        .address_space:  global
        .offset:         0
        .size:           8
        .value_kind:     global_buffer
      - .actual_access:  write_only
        .address_space:  global
        .offset:         8
        .size:           8
        .value_kind:     global_buffer
      - .actual_access:  read_only
        .address_space:  global
        .offset:         16
        .size:           8
        .value_kind:     global_buffer
      - .offset:         24
        .size:           4
        .value_kind:     by_value
    .group_segment_fixed_size: 0
    .kernarg_segment_align: 8
    .kernarg_segment_size: 28
    .language:       OpenCL C
    .language_version:
      - 2
      - 0
    .max_flat_workgroup_size: 1024
    .name:           _ZN4vllm4gptq27make_sequential_2bit_kernelEPKjPjPKii
    .private_segment_fixed_size: 0
    .sgpr_count:     39
    .sgpr_spill_count: 0
    .symbol:         _ZN4vllm4gptq27make_sequential_2bit_kernelEPKjPjPKii.kd
    .uniform_work_group_size: 1
    .uses_dynamic_stack: false
    .vgpr_count:     45
    .vgpr_spill_count: 0
    .wavefront_size: 32
  - .args:
      - .actual_access:  read_only
        .address_space:  global
        .offset:         0
        .size:           8
        .value_kind:     global_buffer
      - .actual_access:  write_only
        .address_space:  global
        .offset:         8
        .size:           8
        .value_kind:     global_buffer
      - .actual_access:  read_only
        .address_space:  global
        .offset:         16
        .size:           8
        .value_kind:     global_buffer
      - .offset:         24
        .size:           4
        .value_kind:     by_value
    .group_segment_fixed_size: 0
    .kernarg_segment_align: 8
    .kernarg_segment_size: 28
    .language:       OpenCL C
    .language_version:
      - 2
      - 0
    .max_flat_workgroup_size: 1024
    .name:           _ZN4vllm4gptq27make_sequential_3bit_kernelEPKjPjPKii
    .private_segment_fixed_size: 0
    .sgpr_count:     17
    .sgpr_spill_count: 0
    .symbol:         _ZN4vllm4gptq27make_sequential_3bit_kernelEPKjPjPKii.kd
    .uniform_work_group_size: 1
    .uses_dynamic_stack: false
    .vgpr_count:     38
    .vgpr_spill_count: 0
    .wavefront_size: 32
  - .args:
      - .actual_access:  read_only
        .address_space:  global
        .offset:         0
        .size:           8
        .value_kind:     global_buffer
      - .actual_access:  write_only
        .address_space:  global
        .offset:         8
        .size:           8
        .value_kind:     global_buffer
      - .actual_access:  read_only
        .address_space:  global
        .offset:         16
        .size:           8
        .value_kind:     global_buffer
      - .offset:         24
        .size:           4
        .value_kind:     by_value
    .group_segment_fixed_size: 0
    .kernarg_segment_align: 8
    .kernarg_segment_size: 28
    .language:       OpenCL C
    .language_version:
      - 2
      - 0
    .max_flat_workgroup_size: 1024
    .name:           _ZN4vllm4gptq27make_sequential_8bit_kernelEPKjPjPKii
    .private_segment_fixed_size: 0
    .sgpr_count:     14
    .sgpr_spill_count: 0
    .symbol:         _ZN4vllm4gptq27make_sequential_8bit_kernelEPKjPjPKii.kd
    .uniform_work_group_size: 1
    .uses_dynamic_stack: false
    .vgpr_count:     13
    .vgpr_spill_count: 0
    .wavefront_size: 32
  - .args:
      - .actual_access:  read_only
        .address_space:  global
        .offset:         0
        .size:           8
        .value_kind:     global_buffer
      - .actual_access:  read_only
        .address_space:  global
        .offset:         8
        .size:           8
        .value_kind:     global_buffer
      - .actual_access:  read_only
        .address_space:  global
        .offset:         16
        .size:           8
        .value_kind:     global_buffer
      - .actual_access:  read_only
        .address_space:  global
        .offset:         24
        .size:           8
        .value_kind:     global_buffer
      - .address_space:  global
        .offset:         32
        .size:           8
        .value_kind:     global_buffer
      - .offset:         40
        .size:           4
        .value_kind:     by_value
      - .offset:         44
        .size:           4
        .value_kind:     by_value
      - .offset:         48
        .size:           4
        .value_kind:     by_value
      - .offset:         52
        .size:           4
        .value_kind:     by_value
      - .offset:         56
        .size:           1
        .value_kind:     by_value
      - .actual_access:  read_only
        .address_space:  global
        .offset:         64
        .size:           8
        .value_kind:     global_buffer
    .group_segment_fixed_size: 256
    .kernarg_segment_align: 8
    .kernarg_segment_size: 72
    .language:       OpenCL C
    .language_version:
      - 2
      - 0
    .max_flat_workgroup_size: 1024
    .name:           _ZN4vllm4gptq33gemm_half_q_half_gptq_2bit_kernelILb1ELi1EEEvPK6__halfPKjS6_S4_PS2_iiiibPKi
    .private_segment_fixed_size: 0
    .sgpr_count:     25
    .sgpr_spill_count: 0
    .symbol:         _ZN4vllm4gptq33gemm_half_q_half_gptq_2bit_kernelILb1ELi1EEEvPK6__halfPKjS6_S4_PS2_iiiibPKi.kd
    .uniform_work_group_size: 1
    .uses_dynamic_stack: false
    .vgpr_count:     63
    .vgpr_spill_count: 0
    .wavefront_size: 32
  - .args:
      - .actual_access:  read_only
        .address_space:  global
        .offset:         0
        .size:           8
        .value_kind:     global_buffer
      - .actual_access:  read_only
        .address_space:  global
        .offset:         8
        .size:           8
        .value_kind:     global_buffer
      - .actual_access:  read_only
        .address_space:  global
        .offset:         16
        .size:           8
        .value_kind:     global_buffer
      - .actual_access:  read_only
        .address_space:  global
        .offset:         24
        .size:           8
        .value_kind:     global_buffer
      - .address_space:  global
        .offset:         32
        .size:           8
        .value_kind:     global_buffer
      - .offset:         40
        .size:           4
        .value_kind:     by_value
      - .offset:         44
        .size:           4
        .value_kind:     by_value
      - .offset:         48
        .size:           4
        .value_kind:     by_value
      - .offset:         52
        .size:           4
        .value_kind:     by_value
      - .offset:         56
        .size:           1
        .value_kind:     by_value
      - .actual_access:  read_only
        .address_space:  global
        .offset:         64
        .size:           8
        .value_kind:     global_buffer
    .group_segment_fixed_size: 256
    .kernarg_segment_align: 8
    .kernarg_segment_size: 72
    .language:       OpenCL C
    .language_version:
      - 2
      - 0
    .max_flat_workgroup_size: 1024
    .name:           _ZN4vllm4gptq33gemm_half_q_half_gptq_3bit_kernelILb1ELi1EEEvPK6__halfPKjS6_S4_PS2_iiiibPKi
    .private_segment_fixed_size: 0
    .sgpr_count:     32
    .sgpr_spill_count: 0
    .symbol:         _ZN4vllm4gptq33gemm_half_q_half_gptq_3bit_kernelILb1ELi1EEEvPK6__halfPKjS6_S4_PS2_iiiibPKi.kd
    .uniform_work_group_size: 1
    .uses_dynamic_stack: false
    .vgpr_count:     80
    .vgpr_spill_count: 0
    .wavefront_size: 32
  - .args:
      - .actual_access:  read_only
        .address_space:  global
        .offset:         0
        .size:           8
        .value_kind:     global_buffer
      - .actual_access:  read_only
        .address_space:  global
        .offset:         8
        .size:           8
        .value_kind:     global_buffer
      - .actual_access:  read_only
        .address_space:  global
        .offset:         16
        .size:           8
        .value_kind:     global_buffer
      - .actual_access:  read_only
        .address_space:  global
        .offset:         24
        .size:           8
        .value_kind:     global_buffer
      - .address_space:  global
        .offset:         32
        .size:           8
        .value_kind:     global_buffer
      - .offset:         40
        .size:           4
        .value_kind:     by_value
      - .offset:         44
        .size:           4
        .value_kind:     by_value
      - .offset:         48
        .size:           4
        .value_kind:     by_value
      - .offset:         52
        .size:           4
        .value_kind:     by_value
      - .offset:         56
        .size:           1
        .value_kind:     by_value
      - .actual_access:  read_only
        .address_space:  global
        .offset:         64
        .size:           8
        .value_kind:     global_buffer
    .group_segment_fixed_size: 256
    .kernarg_segment_align: 8
    .kernarg_segment_size: 72
    .language:       OpenCL C
    .language_version:
      - 2
      - 0
    .max_flat_workgroup_size: 1024
    .name:           _ZN4vllm4gptq33gemm_half_q_half_gptq_4bit_kernelILb1ELi1EEEvPK6__halfPKjS6_S4_PS2_iiiibPKi
    .private_segment_fixed_size: 0
    .sgpr_count:     25
    .sgpr_spill_count: 0
    .symbol:         _ZN4vllm4gptq33gemm_half_q_half_gptq_4bit_kernelILb1ELi1EEEvPK6__halfPKjS6_S4_PS2_iiiibPKi.kd
    .uniform_work_group_size: 1
    .uses_dynamic_stack: false
    .vgpr_count:     55
    .vgpr_spill_count: 0
    .wavefront_size: 32
  - .args:
      - .actual_access:  read_only
        .address_space:  global
        .offset:         0
        .size:           8
        .value_kind:     global_buffer
      - .actual_access:  read_only
        .address_space:  global
        .offset:         8
        .size:           8
        .value_kind:     global_buffer
      - .actual_access:  read_only
        .address_space:  global
        .offset:         16
        .size:           8
        .value_kind:     global_buffer
      - .actual_access:  read_only
        .address_space:  global
        .offset:         24
        .size:           8
        .value_kind:     global_buffer
      - .address_space:  global
        .offset:         32
        .size:           8
        .value_kind:     global_buffer
      - .offset:         40
        .size:           4
        .value_kind:     by_value
      - .offset:         44
        .size:           4
        .value_kind:     by_value
      - .offset:         48
        .size:           4
        .value_kind:     by_value
      - .offset:         52
        .size:           4
        .value_kind:     by_value
      - .offset:         56
        .size:           1
        .value_kind:     by_value
      - .actual_access:  read_only
        .address_space:  global
        .offset:         64
        .size:           8
        .value_kind:     global_buffer
    .group_segment_fixed_size: 256
    .kernarg_segment_align: 8
    .kernarg_segment_size: 72
    .language:       OpenCL C
    .language_version:
      - 2
      - 0
    .max_flat_workgroup_size: 1024
    .name:           _ZN4vllm4gptq33gemm_half_q_half_gptq_8bit_kernelILb1ELi1EEEvPK6__halfPKjS6_S4_PS2_iiiibPKi
    .private_segment_fixed_size: 0
    .sgpr_count:     23
    .sgpr_spill_count: 0
    .symbol:         _ZN4vllm4gptq33gemm_half_q_half_gptq_8bit_kernelILb1ELi1EEEvPK6__halfPKjS6_S4_PS2_iiiibPKi.kd
    .uniform_work_group_size: 1
    .uses_dynamic_stack: false
    .vgpr_count:     78
    .vgpr_spill_count: 0
    .wavefront_size: 32
  - .args:
      - .actual_access:  read_only
        .address_space:  global
        .offset:         0
        .size:           8
        .value_kind:     global_buffer
      - .actual_access:  read_only
        .address_space:  global
        .offset:         8
        .size:           8
        .value_kind:     global_buffer
      - .actual_access:  read_only
        .address_space:  global
        .offset:         16
        .size:           8
        .value_kind:     global_buffer
      - .actual_access:  read_only
        .address_space:  global
        .offset:         24
        .size:           8
        .value_kind:     global_buffer
      - .address_space:  global
        .offset:         32
        .size:           8
        .value_kind:     global_buffer
      - .offset:         40
        .size:           4
        .value_kind:     by_value
      - .offset:         44
        .size:           4
        .value_kind:     by_value
      - .offset:         48
        .size:           4
        .value_kind:     by_value
      - .offset:         52
        .size:           4
        .value_kind:     by_value
      - .offset:         56
        .size:           1
        .value_kind:     by_value
      - .actual_access:  read_only
        .address_space:  global
        .offset:         64
        .size:           8
        .value_kind:     global_buffer
    .group_segment_fixed_size: 512
    .kernarg_segment_align: 8
    .kernarg_segment_size: 72
    .language:       OpenCL C
    .language_version:
      - 2
      - 0
    .max_flat_workgroup_size: 1024
    .name:           _ZN4vllm4gptq33gemm_half_q_half_gptq_2bit_kernelILb1ELi2EEEvPK6__halfPKjS6_S4_PS2_iiiibPKi
    .private_segment_fixed_size: 0
    .sgpr_count:     25
    .sgpr_spill_count: 0
    .symbol:         _ZN4vllm4gptq33gemm_half_q_half_gptq_2bit_kernelILb1ELi2EEEvPK6__halfPKjS6_S4_PS2_iiiibPKi.kd
    .uniform_work_group_size: 1
    .uses_dynamic_stack: false
    .vgpr_count:     61
    .vgpr_spill_count: 0
    .wavefront_size: 32
  - .args:
      - .actual_access:  read_only
        .address_space:  global
        .offset:         0
        .size:           8
        .value_kind:     global_buffer
      - .actual_access:  read_only
        .address_space:  global
        .offset:         8
        .size:           8
        .value_kind:     global_buffer
      - .actual_access:  read_only
        .address_space:  global
        .offset:         16
        .size:           8
        .value_kind:     global_buffer
      - .actual_access:  read_only
        .address_space:  global
        .offset:         24
        .size:           8
        .value_kind:     global_buffer
      - .address_space:  global
        .offset:         32
        .size:           8
        .value_kind:     global_buffer
      - .offset:         40
        .size:           4
        .value_kind:     by_value
      - .offset:         44
        .size:           4
        .value_kind:     by_value
      - .offset:         48
        .size:           4
        .value_kind:     by_value
      - .offset:         52
        .size:           4
        .value_kind:     by_value
      - .offset:         56
        .size:           1
        .value_kind:     by_value
      - .actual_access:  read_only
        .address_space:  global
        .offset:         64
        .size:           8
        .value_kind:     global_buffer
    .group_segment_fixed_size: 512
    .kernarg_segment_align: 8
    .kernarg_segment_size: 72
    .language:       OpenCL C
    .language_version:
      - 2
      - 0
    .max_flat_workgroup_size: 1024
    .name:           _ZN4vllm4gptq33gemm_half_q_half_gptq_3bit_kernelILb1ELi2EEEvPK6__halfPKjS6_S4_PS2_iiiibPKi
    .private_segment_fixed_size: 0
    .sgpr_count:     32
    .sgpr_spill_count: 0
    .symbol:         _ZN4vllm4gptq33gemm_half_q_half_gptq_3bit_kernelILb1ELi2EEEvPK6__halfPKjS6_S4_PS2_iiiibPKi.kd
    .uniform_work_group_size: 1
    .uses_dynamic_stack: false
    .vgpr_count:     95
    .vgpr_spill_count: 0
    .wavefront_size: 32
  - .args:
      - .actual_access:  read_only
        .address_space:  global
        .offset:         0
        .size:           8
        .value_kind:     global_buffer
      - .actual_access:  read_only
        .address_space:  global
        .offset:         8
        .size:           8
        .value_kind:     global_buffer
      - .actual_access:  read_only
        .address_space:  global
        .offset:         16
        .size:           8
        .value_kind:     global_buffer
      - .actual_access:  read_only
        .address_space:  global
        .offset:         24
        .size:           8
        .value_kind:     global_buffer
      - .address_space:  global
        .offset:         32
        .size:           8
        .value_kind:     global_buffer
      - .offset:         40
        .size:           4
        .value_kind:     by_value
      - .offset:         44
        .size:           4
        .value_kind:     by_value
      - .offset:         48
        .size:           4
        .value_kind:     by_value
      - .offset:         52
        .size:           4
        .value_kind:     by_value
      - .offset:         56
        .size:           1
        .value_kind:     by_value
      - .actual_access:  read_only
        .address_space:  global
        .offset:         64
        .size:           8
        .value_kind:     global_buffer
    .group_segment_fixed_size: 512
    .kernarg_segment_align: 8
    .kernarg_segment_size: 72
    .language:       OpenCL C
    .language_version:
      - 2
      - 0
    .max_flat_workgroup_size: 1024
    .name:           _ZN4vllm4gptq33gemm_half_q_half_gptq_4bit_kernelILb1ELi2EEEvPK6__halfPKjS6_S4_PS2_iiiibPKi
    .private_segment_fixed_size: 0
    .sgpr_count:     25
    .sgpr_spill_count: 0
    .symbol:         _ZN4vllm4gptq33gemm_half_q_half_gptq_4bit_kernelILb1ELi2EEEvPK6__halfPKjS6_S4_PS2_iiiibPKi.kd
    .uniform_work_group_size: 1
    .uses_dynamic_stack: false
    .vgpr_count:     61
    .vgpr_spill_count: 0
    .wavefront_size: 32
  - .args:
      - .actual_access:  read_only
        .address_space:  global
        .offset:         0
        .size:           8
        .value_kind:     global_buffer
      - .actual_access:  read_only
        .address_space:  global
        .offset:         8
        .size:           8
        .value_kind:     global_buffer
      - .actual_access:  read_only
        .address_space:  global
        .offset:         16
        .size:           8
        .value_kind:     global_buffer
      - .actual_access:  read_only
        .address_space:  global
        .offset:         24
        .size:           8
        .value_kind:     global_buffer
      - .address_space:  global
        .offset:         32
        .size:           8
        .value_kind:     global_buffer
      - .offset:         40
        .size:           4
        .value_kind:     by_value
      - .offset:         44
        .size:           4
        .value_kind:     by_value
      - .offset:         48
        .size:           4
        .value_kind:     by_value
      - .offset:         52
        .size:           4
        .value_kind:     by_value
      - .offset:         56
        .size:           1
        .value_kind:     by_value
      - .actual_access:  read_only
        .address_space:  global
        .offset:         64
        .size:           8
        .value_kind:     global_buffer
    .group_segment_fixed_size: 512
    .kernarg_segment_align: 8
    .kernarg_segment_size: 72
    .language:       OpenCL C
    .language_version:
      - 2
      - 0
    .max_flat_workgroup_size: 1024
    .name:           _ZN4vllm4gptq33gemm_half_q_half_gptq_8bit_kernelILb1ELi2EEEvPK6__halfPKjS6_S4_PS2_iiiibPKi
    .private_segment_fixed_size: 0
    .sgpr_count:     23
    .sgpr_spill_count: 0
    .symbol:         _ZN4vllm4gptq33gemm_half_q_half_gptq_8bit_kernelILb1ELi2EEEvPK6__halfPKjS6_S4_PS2_iiiibPKi.kd
    .uniform_work_group_size: 1
    .uses_dynamic_stack: false
    .vgpr_count:     81
    .vgpr_spill_count: 0
    .wavefront_size: 32
  - .args:
      - .actual_access:  read_only
        .address_space:  global
        .offset:         0
        .size:           8
        .value_kind:     global_buffer
      - .actual_access:  read_only
        .address_space:  global
        .offset:         8
        .size:           8
        .value_kind:     global_buffer
      - .actual_access:  read_only
        .address_space:  global
        .offset:         16
        .size:           8
        .value_kind:     global_buffer
      - .actual_access:  read_only
        .address_space:  global
        .offset:         24
        .size:           8
        .value_kind:     global_buffer
      - .address_space:  global
        .offset:         32
        .size:           8
        .value_kind:     global_buffer
      - .offset:         40
        .size:           4
        .value_kind:     by_value
      - .offset:         44
        .size:           4
        .value_kind:     by_value
      - .offset:         48
        .size:           4
        .value_kind:     by_value
      - .offset:         52
        .size:           4
        .value_kind:     by_value
      - .offset:         56
        .size:           1
        .value_kind:     by_value
      - .actual_access:  read_only
        .address_space:  global
        .offset:         64
        .size:           8
        .value_kind:     global_buffer
    .group_segment_fixed_size: 768
    .kernarg_segment_align: 8
    .kernarg_segment_size: 72
    .language:       OpenCL C
    .language_version:
      - 2
      - 0
    .max_flat_workgroup_size: 1024
    .name:           _ZN4vllm4gptq33gemm_half_q_half_gptq_2bit_kernelILb1ELi3EEEvPK6__halfPKjS6_S4_PS2_iiiibPKi
    .private_segment_fixed_size: 0
    .sgpr_count:     25
    .sgpr_spill_count: 0
    .symbol:         _ZN4vllm4gptq33gemm_half_q_half_gptq_2bit_kernelILb1ELi3EEEvPK6__halfPKjS6_S4_PS2_iiiibPKi.kd
    .uniform_work_group_size: 1
    .uses_dynamic_stack: false
    .vgpr_count:     64
    .vgpr_spill_count: 0
    .wavefront_size: 32
  - .args:
      - .actual_access:  read_only
        .address_space:  global
        .offset:         0
        .size:           8
        .value_kind:     global_buffer
      - .actual_access:  read_only
        .address_space:  global
        .offset:         8
        .size:           8
        .value_kind:     global_buffer
      - .actual_access:  read_only
        .address_space:  global
        .offset:         16
        .size:           8
        .value_kind:     global_buffer
      - .actual_access:  read_only
        .address_space:  global
        .offset:         24
        .size:           8
        .value_kind:     global_buffer
      - .address_space:  global
        .offset:         32
        .size:           8
        .value_kind:     global_buffer
      - .offset:         40
        .size:           4
        .value_kind:     by_value
      - .offset:         44
        .size:           4
        .value_kind:     by_value
      - .offset:         48
        .size:           4
        .value_kind:     by_value
      - .offset:         52
        .size:           4
        .value_kind:     by_value
      - .offset:         56
        .size:           1
        .value_kind:     by_value
      - .actual_access:  read_only
        .address_space:  global
        .offset:         64
        .size:           8
        .value_kind:     global_buffer
    .group_segment_fixed_size: 768
    .kernarg_segment_align: 8
    .kernarg_segment_size: 72
    .language:       OpenCL C
    .language_version:
      - 2
      - 0
    .max_flat_workgroup_size: 1024
    .name:           _ZN4vllm4gptq33gemm_half_q_half_gptq_3bit_kernelILb1ELi3EEEvPK6__halfPKjS6_S4_PS2_iiiibPKi
    .private_segment_fixed_size: 0
    .sgpr_count:     32
    .sgpr_spill_count: 0
    .symbol:         _ZN4vllm4gptq33gemm_half_q_half_gptq_3bit_kernelILb1ELi3EEEvPK6__halfPKjS6_S4_PS2_iiiibPKi.kd
    .uniform_work_group_size: 1
    .uses_dynamic_stack: false
    .vgpr_count:     99
    .vgpr_spill_count: 0
    .wavefront_size: 32
  - .args:
      - .actual_access:  read_only
        .address_space:  global
        .offset:         0
        .size:           8
        .value_kind:     global_buffer
      - .actual_access:  read_only
        .address_space:  global
        .offset:         8
        .size:           8
        .value_kind:     global_buffer
      - .actual_access:  read_only
        .address_space:  global
        .offset:         16
        .size:           8
        .value_kind:     global_buffer
      - .actual_access:  read_only
        .address_space:  global
        .offset:         24
        .size:           8
        .value_kind:     global_buffer
      - .address_space:  global
        .offset:         32
        .size:           8
        .value_kind:     global_buffer
      - .offset:         40
        .size:           4
        .value_kind:     by_value
      - .offset:         44
        .size:           4
        .value_kind:     by_value
      - .offset:         48
        .size:           4
        .value_kind:     by_value
      - .offset:         52
        .size:           4
        .value_kind:     by_value
      - .offset:         56
        .size:           1
        .value_kind:     by_value
      - .actual_access:  read_only
        .address_space:  global
        .offset:         64
        .size:           8
        .value_kind:     global_buffer
    .group_segment_fixed_size: 768
    .kernarg_segment_align: 8
    .kernarg_segment_size: 72
    .language:       OpenCL C
    .language_version:
      - 2
      - 0
    .max_flat_workgroup_size: 1024
    .name:           _ZN4vllm4gptq33gemm_half_q_half_gptq_4bit_kernelILb1ELi3EEEvPK6__halfPKjS6_S4_PS2_iiiibPKi
    .private_segment_fixed_size: 0
    .sgpr_count:     25
    .sgpr_spill_count: 0
    .symbol:         _ZN4vllm4gptq33gemm_half_q_half_gptq_4bit_kernelILb1ELi3EEEvPK6__halfPKjS6_S4_PS2_iiiibPKi.kd
    .uniform_work_group_size: 1
    .uses_dynamic_stack: false
    .vgpr_count:     65
    .vgpr_spill_count: 0
    .wavefront_size: 32
  - .args:
      - .actual_access:  read_only
        .address_space:  global
        .offset:         0
        .size:           8
        .value_kind:     global_buffer
      - .actual_access:  read_only
        .address_space:  global
        .offset:         8
        .size:           8
        .value_kind:     global_buffer
      - .actual_access:  read_only
        .address_space:  global
        .offset:         16
        .size:           8
        .value_kind:     global_buffer
      - .actual_access:  read_only
        .address_space:  global
        .offset:         24
        .size:           8
        .value_kind:     global_buffer
      - .address_space:  global
        .offset:         32
        .size:           8
        .value_kind:     global_buffer
      - .offset:         40
        .size:           4
        .value_kind:     by_value
      - .offset:         44
        .size:           4
        .value_kind:     by_value
      - .offset:         48
        .size:           4
        .value_kind:     by_value
      - .offset:         52
        .size:           4
        .value_kind:     by_value
      - .offset:         56
        .size:           1
        .value_kind:     by_value
      - .actual_access:  read_only
        .address_space:  global
        .offset:         64
        .size:           8
        .value_kind:     global_buffer
    .group_segment_fixed_size: 768
    .kernarg_segment_align: 8
    .kernarg_segment_size: 72
    .language:       OpenCL C
    .language_version:
      - 2
      - 0
    .max_flat_workgroup_size: 1024
    .name:           _ZN4vllm4gptq33gemm_half_q_half_gptq_8bit_kernelILb1ELi3EEEvPK6__halfPKjS6_S4_PS2_iiiibPKi
    .private_segment_fixed_size: 0
    .sgpr_count:     23
    .sgpr_spill_count: 0
    .symbol:         _ZN4vllm4gptq33gemm_half_q_half_gptq_8bit_kernelILb1ELi3EEEvPK6__halfPKjS6_S4_PS2_iiiibPKi.kd
    .uniform_work_group_size: 1
    .uses_dynamic_stack: false
    .vgpr_count:     82
    .vgpr_spill_count: 0
    .wavefront_size: 32
  - .args:
      - .actual_access:  read_only
        .address_space:  global
        .offset:         0
        .size:           8
        .value_kind:     global_buffer
      - .actual_access:  read_only
        .address_space:  global
        .offset:         8
        .size:           8
        .value_kind:     global_buffer
      - .actual_access:  read_only
        .address_space:  global
        .offset:         16
        .size:           8
        .value_kind:     global_buffer
      - .actual_access:  read_only
        .address_space:  global
        .offset:         24
        .size:           8
        .value_kind:     global_buffer
      - .address_space:  global
        .offset:         32
        .size:           8
        .value_kind:     global_buffer
      - .offset:         40
        .size:           4
        .value_kind:     by_value
      - .offset:         44
        .size:           4
        .value_kind:     by_value
      - .offset:         48
        .size:           4
        .value_kind:     by_value
      - .offset:         52
        .size:           4
        .value_kind:     by_value
      - .offset:         56
        .size:           1
        .value_kind:     by_value
      - .actual_access:  read_only
        .address_space:  global
        .offset:         64
        .size:           8
        .value_kind:     global_buffer
    .group_segment_fixed_size: 1024
    .kernarg_segment_align: 8
    .kernarg_segment_size: 72
    .language:       OpenCL C
    .language_version:
      - 2
      - 0
    .max_flat_workgroup_size: 1024
    .name:           _ZN4vllm4gptq33gemm_half_q_half_gptq_2bit_kernelILb1ELi4EEEvPK6__halfPKjS6_S4_PS2_iiiibPKi
    .private_segment_fixed_size: 0
    .sgpr_count:     25
    .sgpr_spill_count: 0
    .symbol:         _ZN4vllm4gptq33gemm_half_q_half_gptq_2bit_kernelILb1ELi4EEEvPK6__halfPKjS6_S4_PS2_iiiibPKi.kd
    .uniform_work_group_size: 1
    .uses_dynamic_stack: false
    .vgpr_count:     74
    .vgpr_spill_count: 0
    .wavefront_size: 32
  - .args:
      - .actual_access:  read_only
        .address_space:  global
        .offset:         0
        .size:           8
        .value_kind:     global_buffer
      - .actual_access:  read_only
        .address_space:  global
        .offset:         8
        .size:           8
        .value_kind:     global_buffer
      - .actual_access:  read_only
        .address_space:  global
        .offset:         16
        .size:           8
        .value_kind:     global_buffer
      - .actual_access:  read_only
        .address_space:  global
        .offset:         24
        .size:           8
        .value_kind:     global_buffer
      - .address_space:  global
        .offset:         32
        .size:           8
        .value_kind:     global_buffer
      - .offset:         40
        .size:           4
        .value_kind:     by_value
      - .offset:         44
        .size:           4
        .value_kind:     by_value
      - .offset:         48
        .size:           4
        .value_kind:     by_value
      - .offset:         52
        .size:           4
        .value_kind:     by_value
      - .offset:         56
        .size:           1
        .value_kind:     by_value
      - .actual_access:  read_only
        .address_space:  global
        .offset:         64
        .size:           8
        .value_kind:     global_buffer
    .group_segment_fixed_size: 1024
    .kernarg_segment_align: 8
    .kernarg_segment_size: 72
    .language:       OpenCL C
    .language_version:
      - 2
      - 0
    .max_flat_workgroup_size: 1024
    .name:           _ZN4vllm4gptq33gemm_half_q_half_gptq_3bit_kernelILb1ELi4EEEvPK6__halfPKjS6_S4_PS2_iiiibPKi
    .private_segment_fixed_size: 0
    .sgpr_count:     32
    .sgpr_spill_count: 0
    .symbol:         _ZN4vllm4gptq33gemm_half_q_half_gptq_3bit_kernelILb1ELi4EEEvPK6__halfPKjS6_S4_PS2_iiiibPKi.kd
    .uniform_work_group_size: 1
    .uses_dynamic_stack: false
    .vgpr_count:     114
    .vgpr_spill_count: 0
    .wavefront_size: 32
  - .args:
      - .actual_access:  read_only
        .address_space:  global
        .offset:         0
        .size:           8
        .value_kind:     global_buffer
      - .actual_access:  read_only
        .address_space:  global
        .offset:         8
        .size:           8
        .value_kind:     global_buffer
      - .actual_access:  read_only
        .address_space:  global
        .offset:         16
        .size:           8
        .value_kind:     global_buffer
      - .actual_access:  read_only
        .address_space:  global
        .offset:         24
        .size:           8
        .value_kind:     global_buffer
      - .address_space:  global
        .offset:         32
        .size:           8
        .value_kind:     global_buffer
      - .offset:         40
        .size:           4
        .value_kind:     by_value
      - .offset:         44
        .size:           4
        .value_kind:     by_value
      - .offset:         48
        .size:           4
        .value_kind:     by_value
      - .offset:         52
        .size:           4
        .value_kind:     by_value
      - .offset:         56
        .size:           1
        .value_kind:     by_value
      - .actual_access:  read_only
        .address_space:  global
        .offset:         64
        .size:           8
        .value_kind:     global_buffer
    .group_segment_fixed_size: 1024
    .kernarg_segment_align: 8
    .kernarg_segment_size: 72
    .language:       OpenCL C
    .language_version:
      - 2
      - 0
    .max_flat_workgroup_size: 1024
    .name:           _ZN4vllm4gptq33gemm_half_q_half_gptq_4bit_kernelILb1ELi4EEEvPK6__halfPKjS6_S4_PS2_iiiibPKi
    .private_segment_fixed_size: 0
    .sgpr_count:     25
    .sgpr_spill_count: 0
    .symbol:         _ZN4vllm4gptq33gemm_half_q_half_gptq_4bit_kernelILb1ELi4EEEvPK6__halfPKjS6_S4_PS2_iiiibPKi.kd
    .uniform_work_group_size: 1
    .uses_dynamic_stack: false
    .vgpr_count:     69
    .vgpr_spill_count: 0
    .wavefront_size: 32
  - .args:
      - .actual_access:  read_only
        .address_space:  global
        .offset:         0
        .size:           8
        .value_kind:     global_buffer
      - .actual_access:  read_only
        .address_space:  global
        .offset:         8
        .size:           8
        .value_kind:     global_buffer
      - .actual_access:  read_only
        .address_space:  global
        .offset:         16
        .size:           8
        .value_kind:     global_buffer
      - .actual_access:  read_only
        .address_space:  global
        .offset:         24
        .size:           8
        .value_kind:     global_buffer
      - .address_space:  global
        .offset:         32
        .size:           8
        .value_kind:     global_buffer
      - .offset:         40
        .size:           4
        .value_kind:     by_value
      - .offset:         44
        .size:           4
        .value_kind:     by_value
      - .offset:         48
        .size:           4
        .value_kind:     by_value
      - .offset:         52
        .size:           4
        .value_kind:     by_value
      - .offset:         56
        .size:           1
        .value_kind:     by_value
      - .actual_access:  read_only
        .address_space:  global
        .offset:         64
        .size:           8
        .value_kind:     global_buffer
    .group_segment_fixed_size: 1024
    .kernarg_segment_align: 8
    .kernarg_segment_size: 72
    .language:       OpenCL C
    .language_version:
      - 2
      - 0
    .max_flat_workgroup_size: 1024
    .name:           _ZN4vllm4gptq33gemm_half_q_half_gptq_8bit_kernelILb1ELi4EEEvPK6__halfPKjS6_S4_PS2_iiiibPKi
    .private_segment_fixed_size: 0
    .sgpr_count:     23
    .sgpr_spill_count: 0
    .symbol:         _ZN4vllm4gptq33gemm_half_q_half_gptq_8bit_kernelILb1ELi4EEEvPK6__halfPKjS6_S4_PS2_iiiibPKi.kd
    .uniform_work_group_size: 1
    .uses_dynamic_stack: false
    .vgpr_count:     91
    .vgpr_spill_count: 0
    .wavefront_size: 32
  - .args:
      - .actual_access:  read_only
        .address_space:  global
        .offset:         0
        .size:           8
        .value_kind:     global_buffer
      - .actual_access:  read_only
        .address_space:  global
        .offset:         8
        .size:           8
        .value_kind:     global_buffer
      - .actual_access:  read_only
        .address_space:  global
        .offset:         16
        .size:           8
        .value_kind:     global_buffer
      - .actual_access:  read_only
        .address_space:  global
        .offset:         24
        .size:           8
        .value_kind:     global_buffer
      - .address_space:  global
        .offset:         32
        .size:           8
        .value_kind:     global_buffer
      - .offset:         40
        .size:           4
        .value_kind:     by_value
      - .offset:         44
        .size:           4
        .value_kind:     by_value
      - .offset:         48
        .size:           4
        .value_kind:     by_value
      - .offset:         52
        .size:           4
        .value_kind:     by_value
      - .offset:         56
        .size:           1
        .value_kind:     by_value
      - .actual_access:  read_only
        .address_space:  global
        .offset:         64
        .size:           8
        .value_kind:     global_buffer
    .group_segment_fixed_size: 1280
    .kernarg_segment_align: 8
    .kernarg_segment_size: 72
    .language:       OpenCL C
    .language_version:
      - 2
      - 0
    .max_flat_workgroup_size: 1024
    .name:           _ZN4vllm4gptq33gemm_half_q_half_gptq_2bit_kernelILb1ELi5EEEvPK6__halfPKjS6_S4_PS2_iiiibPKi
    .private_segment_fixed_size: 0
    .sgpr_count:     25
    .sgpr_spill_count: 0
    .symbol:         _ZN4vllm4gptq33gemm_half_q_half_gptq_2bit_kernelILb1ELi5EEEvPK6__halfPKjS6_S4_PS2_iiiibPKi.kd
    .uniform_work_group_size: 1
    .uses_dynamic_stack: false
    .vgpr_count:     76
    .vgpr_spill_count: 0
    .wavefront_size: 32
  - .args:
      - .actual_access:  read_only
        .address_space:  global
        .offset:         0
        .size:           8
        .value_kind:     global_buffer
      - .actual_access:  read_only
        .address_space:  global
        .offset:         8
        .size:           8
        .value_kind:     global_buffer
      - .actual_access:  read_only
        .address_space:  global
        .offset:         16
        .size:           8
        .value_kind:     global_buffer
      - .actual_access:  read_only
        .address_space:  global
        .offset:         24
        .size:           8
        .value_kind:     global_buffer
      - .address_space:  global
        .offset:         32
        .size:           8
        .value_kind:     global_buffer
      - .offset:         40
        .size:           4
        .value_kind:     by_value
      - .offset:         44
        .size:           4
        .value_kind:     by_value
      - .offset:         48
        .size:           4
        .value_kind:     by_value
      - .offset:         52
        .size:           4
        .value_kind:     by_value
      - .offset:         56
        .size:           1
        .value_kind:     by_value
      - .actual_access:  read_only
        .address_space:  global
        .offset:         64
        .size:           8
        .value_kind:     global_buffer
    .group_segment_fixed_size: 1280
    .kernarg_segment_align: 8
    .kernarg_segment_size: 72
    .language:       OpenCL C
    .language_version:
      - 2
      - 0
    .max_flat_workgroup_size: 1024
    .name:           _ZN4vllm4gptq33gemm_half_q_half_gptq_3bit_kernelILb1ELi5EEEvPK6__halfPKjS6_S4_PS2_iiiibPKi
    .private_segment_fixed_size: 0
    .sgpr_count:     32
    .sgpr_spill_count: 0
    .symbol:         _ZN4vllm4gptq33gemm_half_q_half_gptq_3bit_kernelILb1ELi5EEEvPK6__halfPKjS6_S4_PS2_iiiibPKi.kd
    .uniform_work_group_size: 1
    .uses_dynamic_stack: false
    .vgpr_count:     113
    .vgpr_spill_count: 0
    .wavefront_size: 32
  - .args:
      - .actual_access:  read_only
        .address_space:  global
        .offset:         0
        .size:           8
        .value_kind:     global_buffer
      - .actual_access:  read_only
        .address_space:  global
        .offset:         8
        .size:           8
        .value_kind:     global_buffer
      - .actual_access:  read_only
        .address_space:  global
        .offset:         16
        .size:           8
        .value_kind:     global_buffer
      - .actual_access:  read_only
        .address_space:  global
        .offset:         24
        .size:           8
        .value_kind:     global_buffer
      - .address_space:  global
        .offset:         32
        .size:           8
        .value_kind:     global_buffer
      - .offset:         40
        .size:           4
        .value_kind:     by_value
      - .offset:         44
        .size:           4
        .value_kind:     by_value
      - .offset:         48
        .size:           4
        .value_kind:     by_value
      - .offset:         52
        .size:           4
        .value_kind:     by_value
      - .offset:         56
        .size:           1
        .value_kind:     by_value
      - .actual_access:  read_only
        .address_space:  global
        .offset:         64
        .size:           8
        .value_kind:     global_buffer
    .group_segment_fixed_size: 1280
    .kernarg_segment_align: 8
    .kernarg_segment_size: 72
    .language:       OpenCL C
    .language_version:
      - 2
      - 0
    .max_flat_workgroup_size: 1024
    .name:           _ZN4vllm4gptq33gemm_half_q_half_gptq_4bit_kernelILb1ELi5EEEvPK6__halfPKjS6_S4_PS2_iiiibPKi
    .private_segment_fixed_size: 0
    .sgpr_count:     25
    .sgpr_spill_count: 0
    .symbol:         _ZN4vllm4gptq33gemm_half_q_half_gptq_4bit_kernelILb1ELi5EEEvPK6__halfPKjS6_S4_PS2_iiiibPKi.kd
    .uniform_work_group_size: 1
    .uses_dynamic_stack: false
    .vgpr_count:     73
    .vgpr_spill_count: 0
    .wavefront_size: 32
  - .args:
      - .actual_access:  read_only
        .address_space:  global
        .offset:         0
        .size:           8
        .value_kind:     global_buffer
      - .actual_access:  read_only
        .address_space:  global
        .offset:         8
        .size:           8
        .value_kind:     global_buffer
      - .actual_access:  read_only
        .address_space:  global
        .offset:         16
        .size:           8
        .value_kind:     global_buffer
      - .actual_access:  read_only
        .address_space:  global
        .offset:         24
        .size:           8
        .value_kind:     global_buffer
      - .address_space:  global
        .offset:         32
        .size:           8
        .value_kind:     global_buffer
      - .offset:         40
        .size:           4
        .value_kind:     by_value
      - .offset:         44
        .size:           4
        .value_kind:     by_value
      - .offset:         48
        .size:           4
        .value_kind:     by_value
      - .offset:         52
        .size:           4
        .value_kind:     by_value
      - .offset:         56
        .size:           1
        .value_kind:     by_value
      - .actual_access:  read_only
        .address_space:  global
        .offset:         64
        .size:           8
        .value_kind:     global_buffer
    .group_segment_fixed_size: 1280
    .kernarg_segment_align: 8
    .kernarg_segment_size: 72
    .language:       OpenCL C
    .language_version:
      - 2
      - 0
    .max_flat_workgroup_size: 1024
    .name:           _ZN4vllm4gptq33gemm_half_q_half_gptq_8bit_kernelILb1ELi5EEEvPK6__halfPKjS6_S4_PS2_iiiibPKi
    .private_segment_fixed_size: 0
    .sgpr_count:     23
    .sgpr_spill_count: 0
    .symbol:         _ZN4vllm4gptq33gemm_half_q_half_gptq_8bit_kernelILb1ELi5EEEvPK6__halfPKjS6_S4_PS2_iiiibPKi.kd
    .uniform_work_group_size: 1
    .uses_dynamic_stack: false
    .vgpr_count:     94
    .vgpr_spill_count: 0
    .wavefront_size: 32
  - .args:
      - .actual_access:  read_only
        .address_space:  global
        .offset:         0
        .size:           8
        .value_kind:     global_buffer
      - .actual_access:  read_only
        .address_space:  global
        .offset:         8
        .size:           8
        .value_kind:     global_buffer
      - .actual_access:  read_only
        .address_space:  global
        .offset:         16
        .size:           8
        .value_kind:     global_buffer
      - .actual_access:  read_only
        .address_space:  global
        .offset:         24
        .size:           8
        .value_kind:     global_buffer
      - .address_space:  global
        .offset:         32
        .size:           8
        .value_kind:     global_buffer
      - .offset:         40
        .size:           4
        .value_kind:     by_value
      - .offset:         44
        .size:           4
        .value_kind:     by_value
      - .offset:         48
        .size:           4
        .value_kind:     by_value
      - .offset:         52
        .size:           4
        .value_kind:     by_value
      - .offset:         56
        .size:           1
        .value_kind:     by_value
      - .actual_access:  read_only
        .address_space:  global
        .offset:         64
        .size:           8
        .value_kind:     global_buffer
    .group_segment_fixed_size: 1536
    .kernarg_segment_align: 8
    .kernarg_segment_size: 72
    .language:       OpenCL C
    .language_version:
      - 2
      - 0
    .max_flat_workgroup_size: 1024
    .name:           _ZN4vllm4gptq33gemm_half_q_half_gptq_2bit_kernelILb1ELi6EEEvPK6__halfPKjS6_S4_PS2_iiiibPKi
    .private_segment_fixed_size: 0
    .sgpr_count:     25
    .sgpr_spill_count: 0
    .symbol:         _ZN4vllm4gptq33gemm_half_q_half_gptq_2bit_kernelILb1ELi6EEEvPK6__halfPKjS6_S4_PS2_iiiibPKi.kd
    .uniform_work_group_size: 1
    .uses_dynamic_stack: false
    .vgpr_count:     88
    .vgpr_spill_count: 0
    .wavefront_size: 32
  - .args:
      - .actual_access:  read_only
        .address_space:  global
        .offset:         0
        .size:           8
        .value_kind:     global_buffer
      - .actual_access:  read_only
        .address_space:  global
        .offset:         8
        .size:           8
        .value_kind:     global_buffer
      - .actual_access:  read_only
        .address_space:  global
        .offset:         16
        .size:           8
        .value_kind:     global_buffer
      - .actual_access:  read_only
        .address_space:  global
        .offset:         24
        .size:           8
        .value_kind:     global_buffer
      - .address_space:  global
        .offset:         32
        .size:           8
        .value_kind:     global_buffer
      - .offset:         40
        .size:           4
        .value_kind:     by_value
      - .offset:         44
        .size:           4
        .value_kind:     by_value
      - .offset:         48
        .size:           4
        .value_kind:     by_value
      - .offset:         52
        .size:           4
        .value_kind:     by_value
      - .offset:         56
        .size:           1
        .value_kind:     by_value
      - .actual_access:  read_only
        .address_space:  global
        .offset:         64
        .size:           8
        .value_kind:     global_buffer
    .group_segment_fixed_size: 1536
    .kernarg_segment_align: 8
    .kernarg_segment_size: 72
    .language:       OpenCL C
    .language_version:
      - 2
      - 0
    .max_flat_workgroup_size: 1024
    .name:           _ZN4vllm4gptq33gemm_half_q_half_gptq_3bit_kernelILb1ELi6EEEvPK6__halfPKjS6_S4_PS2_iiiibPKi
    .private_segment_fixed_size: 0
    .sgpr_count:     32
    .sgpr_spill_count: 0
    .symbol:         _ZN4vllm4gptq33gemm_half_q_half_gptq_3bit_kernelILb1ELi6EEEvPK6__halfPKjS6_S4_PS2_iiiibPKi.kd
    .uniform_work_group_size: 1
    .uses_dynamic_stack: false
    .vgpr_count:     126
    .vgpr_spill_count: 0
    .wavefront_size: 32
  - .args:
      - .actual_access:  read_only
        .address_space:  global
        .offset:         0
        .size:           8
        .value_kind:     global_buffer
      - .actual_access:  read_only
        .address_space:  global
        .offset:         8
        .size:           8
        .value_kind:     global_buffer
      - .actual_access:  read_only
        .address_space:  global
        .offset:         16
        .size:           8
        .value_kind:     global_buffer
      - .actual_access:  read_only
        .address_space:  global
        .offset:         24
        .size:           8
        .value_kind:     global_buffer
      - .address_space:  global
        .offset:         32
        .size:           8
        .value_kind:     global_buffer
      - .offset:         40
        .size:           4
        .value_kind:     by_value
      - .offset:         44
        .size:           4
        .value_kind:     by_value
      - .offset:         48
        .size:           4
        .value_kind:     by_value
      - .offset:         52
        .size:           4
        .value_kind:     by_value
      - .offset:         56
        .size:           1
        .value_kind:     by_value
      - .actual_access:  read_only
        .address_space:  global
        .offset:         64
        .size:           8
        .value_kind:     global_buffer
    .group_segment_fixed_size: 1536
    .kernarg_segment_align: 8
    .kernarg_segment_size: 72
    .language:       OpenCL C
    .language_version:
      - 2
      - 0
    .max_flat_workgroup_size: 1024
    .name:           _ZN4vllm4gptq33gemm_half_q_half_gptq_4bit_kernelILb1ELi6EEEvPK6__halfPKjS6_S4_PS2_iiiibPKi
    .private_segment_fixed_size: 0
    .sgpr_count:     25
    .sgpr_spill_count: 0
    .symbol:         _ZN4vllm4gptq33gemm_half_q_half_gptq_4bit_kernelILb1ELi6EEEvPK6__halfPKjS6_S4_PS2_iiiibPKi.kd
    .uniform_work_group_size: 1
    .uses_dynamic_stack: false
    .vgpr_count:     77
    .vgpr_spill_count: 0
    .wavefront_size: 32
  - .args:
      - .actual_access:  read_only
        .address_space:  global
        .offset:         0
        .size:           8
        .value_kind:     global_buffer
      - .actual_access:  read_only
        .address_space:  global
        .offset:         8
        .size:           8
        .value_kind:     global_buffer
      - .actual_access:  read_only
        .address_space:  global
        .offset:         16
        .size:           8
        .value_kind:     global_buffer
      - .actual_access:  read_only
        .address_space:  global
        .offset:         24
        .size:           8
        .value_kind:     global_buffer
      - .address_space:  global
        .offset:         32
        .size:           8
        .value_kind:     global_buffer
      - .offset:         40
        .size:           4
        .value_kind:     by_value
      - .offset:         44
        .size:           4
        .value_kind:     by_value
      - .offset:         48
        .size:           4
        .value_kind:     by_value
      - .offset:         52
        .size:           4
        .value_kind:     by_value
      - .offset:         56
        .size:           1
        .value_kind:     by_value
      - .actual_access:  read_only
        .address_space:  global
        .offset:         64
        .size:           8
        .value_kind:     global_buffer
    .group_segment_fixed_size: 1536
    .kernarg_segment_align: 8
    .kernarg_segment_size: 72
    .language:       OpenCL C
    .language_version:
      - 2
      - 0
    .max_flat_workgroup_size: 1024
    .name:           _ZN4vllm4gptq33gemm_half_q_half_gptq_8bit_kernelILb1ELi6EEEvPK6__halfPKjS6_S4_PS2_iiiibPKi
    .private_segment_fixed_size: 0
    .sgpr_count:     23
    .sgpr_spill_count: 0
    .symbol:         _ZN4vllm4gptq33gemm_half_q_half_gptq_8bit_kernelILb1ELi6EEEvPK6__halfPKjS6_S4_PS2_iiiibPKi.kd
    .uniform_work_group_size: 1
    .uses_dynamic_stack: false
    .vgpr_count:     99
    .vgpr_spill_count: 0
    .wavefront_size: 32
  - .args:
      - .actual_access:  read_only
        .address_space:  global
        .offset:         0
        .size:           8
        .value_kind:     global_buffer
      - .actual_access:  read_only
        .address_space:  global
        .offset:         8
        .size:           8
        .value_kind:     global_buffer
      - .actual_access:  read_only
        .address_space:  global
        .offset:         16
        .size:           8
        .value_kind:     global_buffer
      - .actual_access:  read_only
        .address_space:  global
        .offset:         24
        .size:           8
        .value_kind:     global_buffer
      - .address_space:  global
        .offset:         32
        .size:           8
        .value_kind:     global_buffer
      - .offset:         40
        .size:           4
        .value_kind:     by_value
      - .offset:         44
        .size:           4
        .value_kind:     by_value
      - .offset:         48
        .size:           4
        .value_kind:     by_value
      - .offset:         52
        .size:           4
        .value_kind:     by_value
      - .offset:         56
        .size:           1
        .value_kind:     by_value
      - .actual_access:  read_only
        .address_space:  global
        .offset:         64
        .size:           8
        .value_kind:     global_buffer
    .group_segment_fixed_size: 1792
    .kernarg_segment_align: 8
    .kernarg_segment_size: 72
    .language:       OpenCL C
    .language_version:
      - 2
      - 0
    .max_flat_workgroup_size: 1024
    .name:           _ZN4vllm4gptq33gemm_half_q_half_gptq_2bit_kernelILb1ELi7EEEvPK6__halfPKjS6_S4_PS2_iiiibPKi
    .private_segment_fixed_size: 0
    .sgpr_count:     25
    .sgpr_spill_count: 0
    .symbol:         _ZN4vllm4gptq33gemm_half_q_half_gptq_2bit_kernelILb1ELi7EEEvPK6__halfPKjS6_S4_PS2_iiiibPKi.kd
    .uniform_work_group_size: 1
    .uses_dynamic_stack: false
    .vgpr_count:     99
    .vgpr_spill_count: 0
    .wavefront_size: 32
  - .args:
      - .actual_access:  read_only
        .address_space:  global
        .offset:         0
        .size:           8
        .value_kind:     global_buffer
      - .actual_access:  read_only
        .address_space:  global
        .offset:         8
        .size:           8
        .value_kind:     global_buffer
      - .actual_access:  read_only
        .address_space:  global
        .offset:         16
        .size:           8
        .value_kind:     global_buffer
      - .actual_access:  read_only
        .address_space:  global
        .offset:         24
        .size:           8
        .value_kind:     global_buffer
      - .address_space:  global
        .offset:         32
        .size:           8
        .value_kind:     global_buffer
      - .offset:         40
        .size:           4
        .value_kind:     by_value
      - .offset:         44
        .size:           4
        .value_kind:     by_value
      - .offset:         48
        .size:           4
        .value_kind:     by_value
      - .offset:         52
        .size:           4
        .value_kind:     by_value
      - .offset:         56
        .size:           1
        .value_kind:     by_value
      - .actual_access:  read_only
        .address_space:  global
        .offset:         64
        .size:           8
        .value_kind:     global_buffer
    .group_segment_fixed_size: 1792
    .kernarg_segment_align: 8
    .kernarg_segment_size: 72
    .language:       OpenCL C
    .language_version:
      - 2
      - 0
    .max_flat_workgroup_size: 1024
    .name:           _ZN4vllm4gptq33gemm_half_q_half_gptq_3bit_kernelILb1ELi7EEEvPK6__halfPKjS6_S4_PS2_iiiibPKi
    .private_segment_fixed_size: 28
    .sgpr_count:     32
    .sgpr_spill_count: 0
    .symbol:         _ZN4vllm4gptq33gemm_half_q_half_gptq_3bit_kernelILb1ELi7EEEvPK6__halfPKjS6_S4_PS2_iiiibPKi.kd
    .uniform_work_group_size: 1
    .uses_dynamic_stack: false
    .vgpr_count:     128
    .vgpr_spill_count: 8
    .wavefront_size: 32
  - .args:
      - .actual_access:  read_only
        .address_space:  global
        .offset:         0
        .size:           8
        .value_kind:     global_buffer
      - .actual_access:  read_only
        .address_space:  global
        .offset:         8
        .size:           8
        .value_kind:     global_buffer
      - .actual_access:  read_only
        .address_space:  global
        .offset:         16
        .size:           8
        .value_kind:     global_buffer
      - .actual_access:  read_only
        .address_space:  global
        .offset:         24
        .size:           8
        .value_kind:     global_buffer
      - .address_space:  global
        .offset:         32
        .size:           8
        .value_kind:     global_buffer
      - .offset:         40
        .size:           4
        .value_kind:     by_value
      - .offset:         44
        .size:           4
        .value_kind:     by_value
      - .offset:         48
        .size:           4
        .value_kind:     by_value
      - .offset:         52
        .size:           4
        .value_kind:     by_value
      - .offset:         56
        .size:           1
        .value_kind:     by_value
      - .actual_access:  read_only
        .address_space:  global
        .offset:         64
        .size:           8
        .value_kind:     global_buffer
    .group_segment_fixed_size: 1792
    .kernarg_segment_align: 8
    .kernarg_segment_size: 72
    .language:       OpenCL C
    .language_version:
      - 2
      - 0
    .max_flat_workgroup_size: 1024
    .name:           _ZN4vllm4gptq33gemm_half_q_half_gptq_4bit_kernelILb1ELi7EEEvPK6__halfPKjS6_S4_PS2_iiiibPKi
    .private_segment_fixed_size: 0
    .sgpr_count:     25
    .sgpr_spill_count: 0
    .symbol:         _ZN4vllm4gptq33gemm_half_q_half_gptq_4bit_kernelILb1ELi7EEEvPK6__halfPKjS6_S4_PS2_iiiibPKi.kd
    .uniform_work_group_size: 1
    .uses_dynamic_stack: false
    .vgpr_count:     81
    .vgpr_spill_count: 0
    .wavefront_size: 32
  - .args:
      - .actual_access:  read_only
        .address_space:  global
        .offset:         0
        .size:           8
        .value_kind:     global_buffer
      - .actual_access:  read_only
        .address_space:  global
        .offset:         8
        .size:           8
        .value_kind:     global_buffer
      - .actual_access:  read_only
        .address_space:  global
        .offset:         16
        .size:           8
        .value_kind:     global_buffer
      - .actual_access:  read_only
        .address_space:  global
        .offset:         24
        .size:           8
        .value_kind:     global_buffer
      - .address_space:  global
        .offset:         32
        .size:           8
        .value_kind:     global_buffer
      - .offset:         40
        .size:           4
        .value_kind:     by_value
      - .offset:         44
        .size:           4
        .value_kind:     by_value
      - .offset:         48
        .size:           4
        .value_kind:     by_value
      - .offset:         52
        .size:           4
        .value_kind:     by_value
      - .offset:         56
        .size:           1
        .value_kind:     by_value
      - .actual_access:  read_only
        .address_space:  global
        .offset:         64
        .size:           8
        .value_kind:     global_buffer
    .group_segment_fixed_size: 1792
    .kernarg_segment_align: 8
    .kernarg_segment_size: 72
    .language:       OpenCL C
    .language_version:
      - 2
      - 0
    .max_flat_workgroup_size: 1024
    .name:           _ZN4vllm4gptq33gemm_half_q_half_gptq_8bit_kernelILb1ELi7EEEvPK6__halfPKjS6_S4_PS2_iiiibPKi
    .private_segment_fixed_size: 0
    .sgpr_count:     23
    .sgpr_spill_count: 0
    .symbol:         _ZN4vllm4gptq33gemm_half_q_half_gptq_8bit_kernelILb1ELi7EEEvPK6__halfPKjS6_S4_PS2_iiiibPKi.kd
    .uniform_work_group_size: 1
    .uses_dynamic_stack: false
    .vgpr_count:     104
    .vgpr_spill_count: 0
    .wavefront_size: 32
  - .args:
      - .actual_access:  read_only
        .address_space:  global
        .offset:         0
        .size:           8
        .value_kind:     global_buffer
      - .actual_access:  read_only
        .address_space:  global
        .offset:         8
        .size:           8
        .value_kind:     global_buffer
      - .actual_access:  read_only
        .address_space:  global
        .offset:         16
        .size:           8
        .value_kind:     global_buffer
      - .actual_access:  read_only
        .address_space:  global
        .offset:         24
        .size:           8
        .value_kind:     global_buffer
      - .address_space:  global
        .offset:         32
        .size:           8
        .value_kind:     global_buffer
      - .offset:         40
        .size:           4
        .value_kind:     by_value
      - .offset:         44
        .size:           4
        .value_kind:     by_value
      - .offset:         48
        .size:           4
        .value_kind:     by_value
      - .offset:         52
        .size:           4
        .value_kind:     by_value
      - .offset:         56
        .size:           1
        .value_kind:     by_value
      - .actual_access:  read_only
        .address_space:  global
        .offset:         64
        .size:           8
        .value_kind:     global_buffer
    .group_segment_fixed_size: 2048
    .kernarg_segment_align: 8
    .kernarg_segment_size: 72
    .language:       OpenCL C
    .language_version:
      - 2
      - 0
    .max_flat_workgroup_size: 1024
    .name:           _ZN4vllm4gptq33gemm_half_q_half_gptq_2bit_kernelILb1ELi8EEEvPK6__halfPKjS6_S4_PS2_iiiibPKi
    .private_segment_fixed_size: 0
    .sgpr_count:     25
    .sgpr_spill_count: 0
    .symbol:         _ZN4vllm4gptq33gemm_half_q_half_gptq_2bit_kernelILb1ELi8EEEvPK6__halfPKjS6_S4_PS2_iiiibPKi.kd
    .uniform_work_group_size: 1
    .uses_dynamic_stack: false
    .vgpr_count:     102
    .vgpr_spill_count: 0
    .wavefront_size: 32
  - .args:
      - .actual_access:  read_only
        .address_space:  global
        .offset:         0
        .size:           8
        .value_kind:     global_buffer
      - .actual_access:  read_only
        .address_space:  global
        .offset:         8
        .size:           8
        .value_kind:     global_buffer
      - .actual_access:  read_only
        .address_space:  global
        .offset:         16
        .size:           8
        .value_kind:     global_buffer
      - .actual_access:  read_only
        .address_space:  global
        .offset:         24
        .size:           8
        .value_kind:     global_buffer
      - .address_space:  global
        .offset:         32
        .size:           8
        .value_kind:     global_buffer
      - .offset:         40
        .size:           4
        .value_kind:     by_value
      - .offset:         44
        .size:           4
        .value_kind:     by_value
      - .offset:         48
        .size:           4
        .value_kind:     by_value
      - .offset:         52
        .size:           4
        .value_kind:     by_value
      - .offset:         56
        .size:           1
        .value_kind:     by_value
      - .actual_access:  read_only
        .address_space:  global
        .offset:         64
        .size:           8
        .value_kind:     global_buffer
    .group_segment_fixed_size: 2048
    .kernarg_segment_align: 8
    .kernarg_segment_size: 72
    .language:       OpenCL C
    .language_version:
      - 2
      - 0
    .max_flat_workgroup_size: 1024
    .name:           _ZN4vllm4gptq33gemm_half_q_half_gptq_3bit_kernelILb1ELi8EEEvPK6__halfPKjS6_S4_PS2_iiiibPKi
    .private_segment_fixed_size: 48
    .sgpr_count:     32
    .sgpr_spill_count: 0
    .symbol:         _ZN4vllm4gptq33gemm_half_q_half_gptq_3bit_kernelILb1ELi8EEEvPK6__halfPKjS6_S4_PS2_iiiibPKi.kd
    .uniform_work_group_size: 1
    .uses_dynamic_stack: false
    .vgpr_count:     128
    .vgpr_spill_count: 17
    .wavefront_size: 32
  - .args:
      - .actual_access:  read_only
        .address_space:  global
        .offset:         0
        .size:           8
        .value_kind:     global_buffer
      - .actual_access:  read_only
        .address_space:  global
        .offset:         8
        .size:           8
        .value_kind:     global_buffer
      - .actual_access:  read_only
        .address_space:  global
        .offset:         16
        .size:           8
        .value_kind:     global_buffer
      - .actual_access:  read_only
        .address_space:  global
        .offset:         24
        .size:           8
        .value_kind:     global_buffer
      - .address_space:  global
        .offset:         32
        .size:           8
        .value_kind:     global_buffer
      - .offset:         40
        .size:           4
        .value_kind:     by_value
      - .offset:         44
        .size:           4
        .value_kind:     by_value
      - .offset:         48
        .size:           4
        .value_kind:     by_value
      - .offset:         52
        .size:           4
        .value_kind:     by_value
      - .offset:         56
        .size:           1
        .value_kind:     by_value
      - .actual_access:  read_only
        .address_space:  global
        .offset:         64
        .size:           8
        .value_kind:     global_buffer
    .group_segment_fixed_size: 2048
    .kernarg_segment_align: 8
    .kernarg_segment_size: 72
    .language:       OpenCL C
    .language_version:
      - 2
      - 0
    .max_flat_workgroup_size: 1024
    .name:           _ZN4vllm4gptq33gemm_half_q_half_gptq_4bit_kernelILb1ELi8EEEvPK6__halfPKjS6_S4_PS2_iiiibPKi
    .private_segment_fixed_size: 0
    .sgpr_count:     25
    .sgpr_spill_count: 0
    .symbol:         _ZN4vllm4gptq33gemm_half_q_half_gptq_4bit_kernelILb1ELi8EEEvPK6__halfPKjS6_S4_PS2_iiiibPKi.kd
    .uniform_work_group_size: 1
    .uses_dynamic_stack: false
    .vgpr_count:     85
    .vgpr_spill_count: 0
    .wavefront_size: 32
  - .args:
      - .actual_access:  read_only
        .address_space:  global
        .offset:         0
        .size:           8
        .value_kind:     global_buffer
      - .actual_access:  read_only
        .address_space:  global
        .offset:         8
        .size:           8
        .value_kind:     global_buffer
      - .actual_access:  read_only
        .address_space:  global
        .offset:         16
        .size:           8
        .value_kind:     global_buffer
      - .actual_access:  read_only
        .address_space:  global
        .offset:         24
        .size:           8
        .value_kind:     global_buffer
      - .address_space:  global
        .offset:         32
        .size:           8
        .value_kind:     global_buffer
      - .offset:         40
        .size:           4
        .value_kind:     by_value
      - .offset:         44
        .size:           4
        .value_kind:     by_value
      - .offset:         48
        .size:           4
        .value_kind:     by_value
      - .offset:         52
        .size:           4
        .value_kind:     by_value
      - .offset:         56
        .size:           1
        .value_kind:     by_value
      - .actual_access:  read_only
        .address_space:  global
        .offset:         64
        .size:           8
        .value_kind:     global_buffer
    .group_segment_fixed_size: 2048
    .kernarg_segment_align: 8
    .kernarg_segment_size: 72
    .language:       OpenCL C
    .language_version:
      - 2
      - 0
    .max_flat_workgroup_size: 1024
    .name:           _ZN4vllm4gptq33gemm_half_q_half_gptq_8bit_kernelILb1ELi8EEEvPK6__halfPKjS6_S4_PS2_iiiibPKi
    .private_segment_fixed_size: 0
    .sgpr_count:     23
    .sgpr_spill_count: 0
    .symbol:         _ZN4vllm4gptq33gemm_half_q_half_gptq_8bit_kernelILb1ELi8EEEvPK6__halfPKjS6_S4_PS2_iiiibPKi.kd
    .uniform_work_group_size: 1
    .uses_dynamic_stack: false
    .vgpr_count:     109
    .vgpr_spill_count: 0
    .wavefront_size: 32
  - .args:
      - .actual_access:  read_only
        .address_space:  global
        .offset:         0
        .size:           8
        .value_kind:     global_buffer
      - .actual_access:  read_only
        .address_space:  global
        .offset:         8
        .size:           8
        .value_kind:     global_buffer
      - .actual_access:  read_only
        .address_space:  global
        .offset:         16
        .size:           8
        .value_kind:     global_buffer
      - .actual_access:  read_only
        .address_space:  global
        .offset:         24
        .size:           8
        .value_kind:     global_buffer
      - .offset:         32
        .size:           4
        .value_kind:     by_value
      - .offset:         36
        .size:           4
        .value_kind:     by_value
      - .offset:         40
        .size:           4
        .value_kind:     by_value
      - .offset:         44
        .size:           1
        .value_kind:     by_value
      - .actual_access:  write_only
        .address_space:  global
        .offset:         48
        .size:           8
        .value_kind:     global_buffer
    .group_segment_fixed_size: 0
    .kernarg_segment_align: 8
    .kernarg_segment_size: 56
    .language:       OpenCL C
    .language_version:
      - 2
      - 0
    .max_flat_workgroup_size: 1024
    .name:           _ZN4vllm4gptq23reconstruct_gptq_kernelINS0_17MatrixView_q4_rowELi4EEEvPKjPK6__halfS4_PKiiiibPS5_
    .private_segment_fixed_size: 0
    .sgpr_count:     25
    .sgpr_spill_count: 0
    .symbol:         _ZN4vllm4gptq23reconstruct_gptq_kernelINS0_17MatrixView_q4_rowELi4EEEvPKjPK6__halfS4_PKiiiibPS5_.kd
    .uniform_work_group_size: 1
    .uses_dynamic_stack: false
    .vgpr_count:     41
    .vgpr_spill_count: 0
    .wavefront_size: 32
  - .args:
      - .actual_access:  read_only
        .address_space:  global
        .offset:         0
        .size:           8
        .value_kind:     global_buffer
      - .actual_access:  read_only
        .address_space:  global
        .offset:         8
        .size:           8
        .value_kind:     global_buffer
      - .actual_access:  read_only
        .address_space:  global
        .offset:         16
        .size:           8
        .value_kind:     global_buffer
      - .actual_access:  read_only
        .address_space:  global
        .offset:         24
        .size:           8
        .value_kind:     global_buffer
      - .offset:         32
        .size:           4
        .value_kind:     by_value
      - .offset:         36
        .size:           4
        .value_kind:     by_value
      - .offset:         40
        .size:           4
        .value_kind:     by_value
      - .offset:         44
        .size:           1
        .value_kind:     by_value
      - .actual_access:  write_only
        .address_space:  global
        .offset:         48
        .size:           8
        .value_kind:     global_buffer
    .group_segment_fixed_size: 0
    .kernarg_segment_align: 8
    .kernarg_segment_size: 56
    .language:       OpenCL C
    .language_version:
      - 2
      - 0
    .max_flat_workgroup_size: 1024
    .name:           _ZN4vllm4gptq23reconstruct_gptq_kernelINS0_17MatrixView_q2_rowELi2EEEvPKjPK6__halfS4_PKiiiibPS5_
    .private_segment_fixed_size: 0
    .sgpr_count:     35
    .sgpr_spill_count: 0
    .symbol:         _ZN4vllm4gptq23reconstruct_gptq_kernelINS0_17MatrixView_q2_rowELi2EEEvPKjPK6__halfS4_PKiiiibPS5_.kd
    .uniform_work_group_size: 1
    .uses_dynamic_stack: false
    .vgpr_count:     64
    .vgpr_spill_count: 0
    .wavefront_size: 32
  - .args:
      - .actual_access:  read_only
        .address_space:  global
        .offset:         0
        .size:           8
        .value_kind:     global_buffer
      - .actual_access:  read_only
        .address_space:  global
        .offset:         8
        .size:           8
        .value_kind:     global_buffer
      - .actual_access:  read_only
        .address_space:  global
        .offset:         16
        .size:           8
        .value_kind:     global_buffer
      - .actual_access:  read_only
        .address_space:  global
        .offset:         24
        .size:           8
        .value_kind:     global_buffer
      - .offset:         32
        .size:           4
        .value_kind:     by_value
      - .offset:         36
        .size:           4
        .value_kind:     by_value
      - .offset:         40
        .size:           4
        .value_kind:     by_value
      - .offset:         44
        .size:           1
        .value_kind:     by_value
      - .actual_access:  write_only
        .address_space:  global
        .offset:         48
        .size:           8
        .value_kind:     global_buffer
    .group_segment_fixed_size: 0
    .kernarg_segment_align: 8
    .kernarg_segment_size: 56
    .language:       OpenCL C
    .language_version:
      - 2
      - 0
    .max_flat_workgroup_size: 1024
    .name:           _ZN4vllm4gptq23reconstruct_gptq_kernelINS0_17MatrixView_q8_rowELi8EEEvPKjPK6__halfS4_PKiiiibPS5_
    .private_segment_fixed_size: 0
    .sgpr_count:     19
    .sgpr_spill_count: 0
    .symbol:         _ZN4vllm4gptq23reconstruct_gptq_kernelINS0_17MatrixView_q8_rowELi8EEEvPKjPK6__halfS4_PKiiiibPS5_.kd
    .uniform_work_group_size: 1
    .uses_dynamic_stack: false
    .vgpr_count:     17
    .vgpr_spill_count: 0
    .wavefront_size: 32
amdhsa.target:   amdgcn-amd-amdhsa--gfx1250
amdhsa.version:
  - 1
  - 2
...

	.end_amdgpu_metadata
